;; amdgpu-corpus repo=vllm-project/vllm kind=compiled arch=gfx906 opt=O3
	.amdgcn_target "amdgcn-amd-amdhsa--gfx906"
	.amdhsa_code_object_version 6
	.text
	.protected	_ZN4vllm4gptq31reconstruct_exllama_8bit_kernelEPKjPKiS2_PK6__halfiiibPS5_ ; -- Begin function _ZN4vllm4gptq31reconstruct_exllama_8bit_kernelEPKjPKiS2_PK6__halfiiibPS5_
	.globl	_ZN4vllm4gptq31reconstruct_exllama_8bit_kernelEPKjPKiS2_PK6__halfiiibPS5_
	.p2align	8
	.type	_ZN4vllm4gptq31reconstruct_exllama_8bit_kernelEPKjPKiS2_PK6__halfiiibPS5_,@function
_ZN4vllm4gptq31reconstruct_exllama_8bit_kernelEPKjPKiS2_PK6__halfiiibPS5_: ; @_ZN4vllm4gptq31reconstruct_exllama_8bit_kernelEPKjPKiS2_PK6__halfiiibPS5_
; %bb.0:
	s_load_dwordx2 s[0:1], s[4:5], 0x8
	s_load_dwordx4 s[8:11], s[4:5], 0x20
	s_lshl_b32 s18, s7, 7
	s_waitcnt lgkmcnt(0)
	s_cmp_lg_u64 s[0:1], 0
	s_cselect_b64 s[2:3], -1, 0
	s_cmp_eq_u64 s[0:1], 0
	s_cbranch_scc1 .LBB0_4
; %bb.1:
	v_add_u32_e32 v1, s18, v0
	v_cmp_gt_u32_e32 vcc, s8, v1
	s_and_saveexec_b64 s[12:13], vcc
	s_cbranch_execz .LBB0_3
; %bb.2:
	v_mov_b32_e32 v2, 0
	v_lshlrev_b64 v[1:2], 2, v[1:2]
	v_mov_b32_e32 v3, s1
	v_add_co_u32_e32 v1, vcc, s0, v1
	v_addc_co_u32_e32 v2, vcc, v3, v2, vcc
	global_load_dword v1, v[1:2], off
	v_lshlrev_b32_e32 v2, 2, v0
	s_waitcnt vmcnt(0)
	ds_write_b32 v2, v1
.LBB0_3:
	s_or_b64 exec, exec, s[12:13]
.LBB0_4:
	s_lshl_b32 s6, s6, 9
	v_lshlrev_b32_e32 v17, 2, v0
	v_add_u32_e32 v12, s6, v17
	v_cmp_gt_i32_e32 vcc, s9, v12
	s_and_saveexec_b64 s[0:1], vcc
	s_cbranch_execz .LBB0_26
; %bb.5:
	s_abs_i32 s0, s10
	v_cvt_f32_u32_e32 v2, s0
	s_add_i32 s1, s18, 0x80
	s_xor_b32 s10, s8, s10
	v_cvt_f64_i32_e32 v[0:1], s8
	v_rcp_iflag_f32_e32 v4, v2
	v_cvt_f64_u32_e32 v[2:3], s1
	s_ashr_i32 s1, s10, 31
	s_sub_i32 s10, 0, s0
	v_mul_f32_e32 v4, 0x4f7ffffe, v4
	v_cvt_u32_f32_e32 v4, v4
	s_abs_i32 s8, s8
	v_min_f64 v[0:1], v[2:3], v[0:1]
	s_mov_b32 s19, 0
	v_readfirstlane_b32 s12, v4
	s_mul_i32 s10, s10, s12
	s_mul_hi_u32 s10, s12, s10
	s_add_i32 s12, s12, s10
	s_mul_hi_u32 s10, s8, s12
	s_mul_i32 s12, s10, s0
	s_sub_i32 s8, s8, s12
	s_add_i32 s13, s10, 1
	s_sub_i32 s12, s8, s0
	s_cmp_ge_u32 s8, s0
	s_cselect_b32 s10, s13, s10
	s_cselect_b32 s8, s12, s8
	s_add_i32 s12, s10, 1
	s_cmp_ge_u32 s8, s0
	s_cselect_b32 s0, s12, s10
	s_xor_b32 s0, s0, s1
	s_sub_i32 s8, s0, s1
	v_cvt_f32_u32_e32 v2, s8
	v_cvt_i32_f64_e32 v18, v[0:1]
	s_waitcnt lgkmcnt(0)
	s_barrier
	v_rcp_iflag_f32_e32 v2, v2
	v_cmp_ge_i32_e32 vcc, s18, v18
	v_mul_f32_e32 v0, 0x4f7ffffe, v2
	v_cvt_u32_f32_e32 v0, v0
	v_readfirstlane_b32 s0, v0
	s_cbranch_vccnz .LBB0_26
; %bb.6:
	s_sub_i32 s1, 0, s8
	s_mul_i32 s1, s1, s0
	s_mul_hi_u32 s1, s0, s1
	s_add_i32 s0, s0, s1
	s_mul_hi_u32 s0, s18, s0
	s_mul_i32 s1, s0, s8
	s_sub_i32 s1, s18, s1
	s_add_i32 s10, s0, 1
	s_sub_i32 s16, s1, s8
	s_cmp_ge_u32 s1, s8
	s_cselect_b32 s0, s10, s0
	s_cselect_b32 s1, s16, s1
	s_add_i32 s10, s0, 1
	s_cmp_ge_u32 s1, s8
	s_cselect_b32 s20, s10, s0
	s_mul_i32 s0, s20, s9
	s_ashr_i32 s1, s0, 31
	s_load_dwordx4 s[12:15], s[4:5], 0x10
	s_lshr_b32 s1, s1, 30
	s_add_i32 s1, s0, s1
	v_add_u32_e32 v2, s0, v12
	s_ashr_i32 s1, s1, 2
	v_ashrrev_i32_e32 v19, 2, v12
	v_ashrrev_i32_e32 v3, 31, v2
	v_add_u32_e32 v0, s1, v19
	v_lshlrev_b64 v[2:3], 1, v[2:3]
	v_ashrrev_i32_e32 v1, 31, v0
	v_lshlrev_b64 v[0:1], 2, v[0:1]
	s_waitcnt lgkmcnt(0)
	v_mov_b32_e32 v5, s15
	v_add_co_u32_e32 v2, vcc, s14, v2
	v_addc_co_u32_e32 v3, vcc, v5, v3, vcc
	v_mov_b32_e32 v4, s13
	v_add_co_u32_e32 v0, vcc, s12, v0
	v_addc_co_u32_e32 v1, vcc, v4, v1, vcc
	global_load_dwordx2 v[2:3], v[2:3], off
	s_bitcmp1_b32 s11, 0
	global_load_dword v4, v[0:1], off
	s_load_dwordx2 s[22:23], s[4:5], 0x0
	s_load_dwordx2 s[16:17], s[4:5], 0x30
	s_cselect_b64 s[4:5], -1, 0
	s_lshr_b32 s1, s18, 2
	s_xor_b64 s[4:5], s[4:5], -1
	v_cndmask_b32_e64 v20, 0, 1, s[4:5]
	s_mul_i32 s4, s9, s1
	s_ashr_i32 s5, s4, 31
	v_ashrrev_i32_e32 v13, 31, v12
	s_lshl_b64 s[4:5], s[4:5], 2
	v_lshlrev_b64 v[0:1], 2, v[12:13]
	s_waitcnt lgkmcnt(0)
	s_add_u32 s10, s22, s4
	s_addc_u32 s4, s23, s5
	s_add_i32 s35, s18, 18
	v_add_co_u32_e32 v13, vcc, s10, v0
	s_mul_i32 s10, s9, s35
	s_add_i32 s25, s18, 29
	s_add_i32 s35, s10, s6
	;; [unrolled: 1-line block ×4, first 2 shown]
	s_mul_i32 s36, s9, s25
	s_mul_i32 s10, s9, s10
	s_mul_i32 s37, s9, s26
	s_add_i32 s26, s36, s6
	s_add_i32 s36, s10, s6
	s_add_i32 s10, s18, 17
	s_add_i32 s27, s18, 27
	s_mul_i32 s10, s9, s10
	s_mul_i32 s38, s9, s27
	s_add_i32 s27, s37, s6
	s_add_i32 s37, s10, s6
	s_add_i32 s10, s18, 16
	s_add_i32 s28, s18, 25
	s_mul_i32 s10, s9, s10
	s_mul_i32 s39, s9, s28
	;; [unrolled: 6-line block ×5, first 2 shown]
	s_add_i32 s31, s41, s6
	s_add_i32 s41, s10, s6
	;; [unrolled: 1-line block ×4, first 2 shown]
	s_mul_i32 s10, s9, s10
	s_add_i32 s24, s18, 28
	s_mul_i32 s43, s9, s33
	s_add_i32 s33, s42, s6
	s_add_i32 s42, s10, s6
	;; [unrolled: 1-line block ×3, first 2 shown]
	s_mul_i32 s34, s9, s24
	s_mul_i32 s10, s9, s10
	s_add_i32 s25, s34, s6
	s_add_i32 s34, s43, s6
	;; [unrolled: 1-line block ×4, first 2 shown]
	s_mul_i32 s10, s9, s10
	s_add_i32 s44, s10, s6
	s_add_i32 s10, s18, 8
	s_mul_i32 s10, s9, s10
	s_add_i32 s45, s10, s6
	s_add_i32 s10, s18, 6
	;; [unrolled: 3-line block ×5, first 2 shown]
	s_mul_i32 s7, s7, s9
	s_mul_i32 s10, s9, s10
	s_lshl_b32 s7, s7, 7
	s_add_i32 s11, s18, 30
	s_add_i32 s49, s10, s6
	;; [unrolled: 1-line block ×5, first 2 shown]
	s_mov_b32 s21, 0x10001
	s_mov_b32 s0, s9
	s_ashr_i32 s1, s9, 31
	v_mov_b32_e32 v5, s4
	s_mul_i32 s11, s9, s11
	s_mul_i32 s10, s9, s10
	;; [unrolled: 1-line block ×3, first 2 shown]
	s_add_i32 s22, s8, s18
	s_lshl_b32 s23, s9, 5
	s_lshl_b64 s[4:5], s[0:1], 5
	v_addc_co_u32_e32 v14, vcc, v5, v1, vcc
	s_add_i32 s24, s11, s6
	s_waitcnt vmcnt(1)
	v_mul_u32_u24_sdwa v24, v3, s21 dst_sel:DWORD dst_unused:UNUSED_PAD src0_sel:WORD_1 src1_sel:DWORD
	v_mul_u32_u24_sdwa v21, v3, s21 dst_sel:DWORD dst_unused:UNUSED_PAD src0_sel:WORD_0 src1_sel:DWORD
	v_mul_u32_u24_sdwa v22, v2, s21 dst_sel:DWORD dst_unused:UNUSED_PAD src0_sel:WORD_1 src1_sel:DWORD
	v_mul_u32_u24_sdwa v23, v2, s21 dst_sel:DWORD dst_unused:UNUSED_PAD src0_sel:WORD_0 src1_sel:DWORD
	s_waitcnt vmcnt(0)
	v_and_b32_e32 v25, 0xff, v4
	v_bfe_u32 v26, v4, 8, 8
	v_bfe_u32 v27, v4, 16, 8
	v_lshrrev_b32_e32 v28, 24, v4
	s_add_i32 s50, s10, s6
	s_add_i32 s52, s7, s6
	s_lshl_b64 s[6:7], s[0:1], 2
	s_mov_b32 s53, 0xffff0000
	s_branch .LBB0_8
.LBB0_7:                                ;   in Loop: Header=BB0_8 Depth=1
	v_mul_lo_u32 v3, v3, s9
	v_lshrrev_b32_e32 v2, 16, v43
	v_and_or_b32 v0, v0, s53, v2
	v_lshrrev_b32_e32 v4, 16, v39
	v_add_u32_e32 v2, v3, v12
	v_ashrrev_i32_e32 v3, 31, v2
	v_lshlrev_b64 v[2:3], 1, v[2:3]
	v_and_or_b32 v1, v1, s53, v4
	v_mov_b32_e32 v4, s17
	v_add_co_u32_e32 v2, vcc, s16, v2
	v_addc_co_u32_e32 v3, vcc, v4, v3, vcc
	global_store_dwordx2 v[2:3], v[0:1], off
	v_mov_b32_e32 v0, s5
	v_add_co_u32_e32 v13, vcc, s4, v13
	s_add_i32 s18, s18, 32
	v_addc_co_u32_e32 v14, vcc, v14, v0, vcc
	v_cmp_lt_i32_e32 vcc, s18, v18
	s_addk_i32 s19, 0x80
	s_add_i32 s24, s24, s23
	s_add_i32 s25, s25, s23
	;; [unrolled: 1-line block ×28, first 2 shown]
	s_cbranch_vccz .LBB0_26
.LBB0_8:                                ; =>This Inner Loop Header: Depth=1
	s_cmp_lg_u32 s18, s22
	s_cbranch_scc1 .LBB0_10
; %bb.9:                                ;   in Loop: Header=BB0_8 Depth=1
	s_add_i32 s20, s20, 1
	s_mul_i32 s0, s20, s9
	s_ashr_i32 s1, s0, 31
	s_lshr_b32 s1, s1, 30
	s_add_i32 s1, s0, s1
	v_add_u32_e32 v2, s0, v12
	s_ashr_i32 s1, s1, 2
	v_ashrrev_i32_e32 v3, 31, v2
	v_add_u32_e32 v0, s1, v19
	v_lshlrev_b64 v[2:3], 1, v[2:3]
	v_ashrrev_i32_e32 v1, 31, v0
	v_lshlrev_b64 v[0:1], 2, v[0:1]
	v_mov_b32_e32 v5, s15
	v_add_co_u32_e32 v2, vcc, s14, v2
	v_addc_co_u32_e32 v3, vcc, v5, v3, vcc
	v_mov_b32_e32 v4, s13
	v_add_co_u32_e32 v0, vcc, s12, v0
	v_addc_co_u32_e32 v1, vcc, v4, v1, vcc
	global_load_dwordx2 v[2:3], v[2:3], off
	s_add_i32 s22, s22, s8
	global_load_dword v0, v[0:1], off
	s_waitcnt vmcnt(1)
	v_mul_u32_u24_sdwa v23, v2, s21 dst_sel:DWORD dst_unused:UNUSED_PAD src0_sel:WORD_0 src1_sel:DWORD
	v_mul_u32_u24_sdwa v22, v2, s21 dst_sel:DWORD dst_unused:UNUSED_PAD src0_sel:WORD_1 src1_sel:DWORD
	v_mul_u32_u24_sdwa v21, v3, s21 dst_sel:DWORD dst_unused:UNUSED_PAD src0_sel:WORD_0 src1_sel:DWORD
	s_waitcnt vmcnt(0)
	v_and_b32_e32 v25, 0xff, v0
	v_bfe_u32 v26, v0, 8, 8
	v_bfe_u32 v27, v0, 16, 8
	v_lshrrev_b32_e32 v28, 24, v0
	v_mul_u32_u24_sdwa v24, v3, s21 dst_sel:DWORD dst_unused:UNUSED_PAD src0_sel:WORD_1 src1_sel:DWORD
.LBB0_10:                               ;   in Loop: Header=BB0_8 Depth=1
	v_mov_b32_e32 v0, s7
	v_add_co_u32_e32 v8, vcc, s6, v13
	v_addc_co_u32_e32 v9, vcc, v14, v0, vcc
	global_load_dwordx4 v[4:7], v[13:14], off
	global_load_dwordx4 v[0:3], v[8:9], off
	v_add_u32_e32 v32, v25, v20
	v_add_u32_e32 v31, v26, v20
	v_add_u32_e32 v30, v27, v20
	v_add_u32_e32 v29, v28, v20
	s_andn2_b64 vcc, exec, s[2:3]
	s_waitcnt vmcnt(1)
	v_sub_u32_sdwa v10, v4, v32 dst_sel:DWORD dst_unused:UNUSED_PAD src0_sel:BYTE_0 src1_sel:DWORD
	v_sub_u32_sdwa v11, v4, v32 dst_sel:DWORD dst_unused:UNUSED_PAD src0_sel:BYTE_1 src1_sel:DWORD
	v_sub_u32_sdwa v15, v4, v32 dst_sel:DWORD dst_unused:UNUSED_PAD src0_sel:BYTE_2 src1_sel:DWORD
	v_sub_u32_sdwa v4, v4, v32 dst_sel:DWORD dst_unused:UNUSED_PAD src0_sel:BYTE_3 src1_sel:DWORD
	v_sub_u32_sdwa v16, v5, v31 dst_sel:DWORD dst_unused:UNUSED_PAD src0_sel:BYTE_0 src1_sel:DWORD
	v_sub_u32_sdwa v33, v5, v31 dst_sel:DWORD dst_unused:UNUSED_PAD src0_sel:BYTE_1 src1_sel:DWORD
	v_sub_u32_sdwa v34, v5, v31 dst_sel:DWORD dst_unused:UNUSED_PAD src0_sel:BYTE_2 src1_sel:DWORD
	v_sub_u32_sdwa v5, v5, v31 dst_sel:DWORD dst_unused:UNUSED_PAD src0_sel:BYTE_3 src1_sel:DWORD
	v_sub_u32_sdwa v35, v6, v30 dst_sel:DWORD dst_unused:UNUSED_PAD src0_sel:BYTE_0 src1_sel:DWORD
	v_sub_u32_sdwa v36, v6, v30 dst_sel:DWORD dst_unused:UNUSED_PAD src0_sel:BYTE_1 src1_sel:DWORD
	s_waitcnt vmcnt(0)
	v_sub_u32_sdwa v38, v0, v32 dst_sel:DWORD dst_unused:UNUSED_PAD src0_sel:BYTE_0 src1_sel:DWORD
	v_sub_u32_sdwa v39, v0, v32 dst_sel:DWORD dst_unused:UNUSED_PAD src0_sel:BYTE_1 src1_sel:DWORD
	v_sub_u32_sdwa v40, v0, v32 dst_sel:DWORD dst_unused:UNUSED_PAD src0_sel:BYTE_2 src1_sel:DWORD
	v_sub_u32_sdwa v0, v0, v32 dst_sel:DWORD dst_unused:UNUSED_PAD src0_sel:BYTE_3 src1_sel:DWORD
	v_sub_u32_sdwa v44, v2, v30 dst_sel:DWORD dst_unused:UNUSED_PAD src0_sel:BYTE_0 src1_sel:DWORD
	v_sub_u32_sdwa v45, v2, v30 dst_sel:DWORD dst_unused:UNUSED_PAD src0_sel:BYTE_1 src1_sel:DWORD
	v_sub_u32_sdwa v46, v2, v30 dst_sel:DWORD dst_unused:UNUSED_PAD src0_sel:BYTE_2 src1_sel:DWORD
	v_sub_u32_sdwa v2, v2, v30 dst_sel:DWORD dst_unused:UNUSED_PAD src0_sel:BYTE_3 src1_sel:DWORD
	v_sub_u32_sdwa v37, v6, v30 dst_sel:DWORD dst_unused:UNUSED_PAD src0_sel:BYTE_2 src1_sel:DWORD
	v_sub_u32_sdwa v6, v6, v30 dst_sel:DWORD dst_unused:UNUSED_PAD src0_sel:BYTE_3 src1_sel:DWORD
	v_cvt_f32_i32_e32 v10, v10
	v_cvt_f32_i32_e32 v11, v11
	;; [unrolled: 1-line block ×10, first 2 shown]
	v_sub_u32_sdwa v41, v1, v31 dst_sel:DWORD dst_unused:UNUSED_PAD src0_sel:BYTE_0 src1_sel:DWORD
	v_sub_u32_sdwa v42, v1, v31 dst_sel:DWORD dst_unused:UNUSED_PAD src0_sel:BYTE_1 src1_sel:DWORD
	v_sub_u32_sdwa v43, v1, v31 dst_sel:DWORD dst_unused:UNUSED_PAD src0_sel:BYTE_2 src1_sel:DWORD
	v_sub_u32_sdwa v1, v1, v31 dst_sel:DWORD dst_unused:UNUSED_PAD src0_sel:BYTE_3 src1_sel:DWORD
	v_cvt_f32_i32_e32 v38, v38
	v_cvt_f32_i32_e32 v39, v39
	;; [unrolled: 1-line block ×10, first 2 shown]
	v_cvt_f16_f32_e32 v10, v10
	v_cvt_f16_f32_e32 v11, v11
	;; [unrolled: 1-line block ×20, first 2 shown]
	v_pack_b32_f16 v10, v10, v11
	v_pack_b32_f16 v4, v15, v4
	v_pack_b32_f16 v11, v16, v33
	v_pack_b32_f16 v5, v34, v5
	v_pack_b32_f16 v34, v35, v36
	v_pack_b32_f16 v36, v38, v39
	v_pack_b32_f16 v15, v40, v0
	v_pack_b32_f16 v33, v46, v2
	v_sub_u32_sdwa v2, v7, v29 dst_sel:DWORD dst_unused:UNUSED_PAD src0_sel:BYTE_0 src1_sel:DWORD
	v_sub_u32_sdwa v35, v7, v29 dst_sel:DWORD dst_unused:UNUSED_PAD src0_sel:BYTE_1 src1_sel:DWORD
	v_sub_u32_sdwa v38, v3, v29 dst_sel:DWORD dst_unused:UNUSED_PAD src0_sel:BYTE_0 src1_sel:DWORD
	v_sub_u32_sdwa v39, v3, v29 dst_sel:DWORD dst_unused:UNUSED_PAD src0_sel:BYTE_1 src1_sel:DWORD
	v_sub_u32_sdwa v40, v3, v29 dst_sel:DWORD dst_unused:UNUSED_PAD src0_sel:BYTE_2 src1_sel:DWORD
	v_sub_u32_sdwa v3, v3, v29 dst_sel:DWORD dst_unused:UNUSED_PAD src0_sel:BYTE_3 src1_sel:DWORD
	v_cvt_f32_i32_e32 v41, v41
	v_cvt_f32_i32_e32 v42, v42
	v_cvt_f32_i32_e32 v44, v44
	v_cvt_f32_i32_e32 v45, v45
	v_pack_b32_f16 v16, v43, v1
	v_pack_b32_f16 v1, v37, v6
	v_cvt_f32_i32_e32 v2, v2
	v_cvt_f32_i32_e32 v35, v35
	v_sub_u32_sdwa v37, v7, v29 dst_sel:DWORD dst_unused:UNUSED_PAD src0_sel:BYTE_2 src1_sel:DWORD
	v_sub_u32_sdwa v7, v7, v29 dst_sel:DWORD dst_unused:UNUSED_PAD src0_sel:BYTE_3 src1_sel:DWORD
	v_cvt_f32_i32_e32 v40, v40
	v_cvt_f32_i32_e32 v3, v3
	v_cvt_f32_i32_e32 v37, v37
	v_cvt_f32_i32_e32 v7, v7
	v_cvt_f32_i32_e32 v38, v38
	v_cvt_f32_i32_e32 v39, v39
	v_cvt_f16_f32_e32 v41, v41
	v_cvt_f16_f32_e32 v42, v42
	;; [unrolled: 1-line block ×12, first 2 shown]
	v_pack_b32_f16 v0, v41, v42
	v_pack_b32_f16 v6, v44, v45
	;; [unrolled: 1-line block ×4, first 2 shown]
	v_pk_mul_f16 v3, v23, v10
	v_pk_mul_f16 v10, v21, v34
	v_pack_b32_f16 v7, v37, v7
	v_pack_b32_f16 v37, v38, v39
	v_pk_mul_f16 v38, v22, v11
	v_pk_mul_f16 v2, v24, v2
	v_cndmask_b32_e64 v11, 0, 1, s[2:3]
	v_and_b32_e32 v39, 0xffff, v3
	v_and_b32_e32 v40, 0xffff, v10
	v_lshrrev_b32_e32 v3, 16, v3
	v_lshrrev_b32_e32 v41, 16, v10
	v_pk_mul_f16 v43, v23, v4
	v_pk_mul_f16 v1, v21, v1
	;; [unrolled: 1-line block ×5, first 2 shown]
	v_cmp_ne_u32_e64 s[0:1], 1, v11
	v_pk_mul_f16 v34, v22, v5
	v_pk_mul_f16 v35, v24, v7
	;; [unrolled: 1-line block ×3, first 2 shown]
	v_lshl_or_b32 v6, v38, 16, v39
	v_lshl_or_b32 v7, v2, 16, v40
	v_and_or_b32 v4, v38, s53, v3
	v_and_or_b32 v5, v2, s53, v41
	v_and_b32_e32 v47, 0xffff, v43
	v_and_b32_e32 v48, 0xffff, v1
	v_lshrrev_b32_e32 v45, 16, v43
	v_lshrrev_b32_e32 v46, 16, v1
	v_and_b32_e32 v43, 0xffff, v36
	v_and_b32_e32 v44, 0xffff, v0
	v_lshrrev_b32_e32 v40, 16, v36
	v_lshrrev_b32_e32 v41, 16, v0
	v_pk_mul_f16 v36, v23, v15
	v_pk_mul_f16 v37, v22, v16
	;; [unrolled: 1-line block ×4, first 2 shown]
	s_cbranch_vccnz .LBB0_21
; %bb.11:                               ;   in Loop: Header=BB0_8 Depth=1
	v_mov_b32_e32 v0, s19
	ds_read_b128 v[49:52], v0
	ds_read_b128 v[0:3], v0 offset:16
	v_mov_b32_e32 v54, s17
	v_mov_b32_e32 v55, s17
	v_pk_mul_f16 v33, v21, v33
	s_waitcnt lgkmcnt(1)
	v_mul_lo_u32 v49, v49, s9
	v_mul_lo_u32 v50, v50, s9
	v_mul_lo_u32 v51, v51, s9
	s_waitcnt lgkmcnt(0)
	v_mul_lo_u32 v0, v0, s9
	v_add_u32_e32 v49, v49, v12
	v_add_u32_e32 v53, v50, v12
	v_ashrrev_i32_e32 v50, 31, v49
	v_lshlrev_b64 v[49:50], 1, v[49:50]
	v_mul_lo_u32 v2, v2, s9
	v_add_co_u32_e32 v49, vcc, s16, v49
	v_addc_co_u32_e32 v50, vcc, v54, v50, vcc
	v_ashrrev_i32_e32 v54, 31, v53
	v_lshlrev_b64 v[53:54], 1, v[53:54]
	global_store_dwordx2 v[49:50], v[6:7], off
	v_add_co_u32_e32 v49, vcc, s16, v53
	v_addc_co_u32_e32 v50, vcc, v55, v54, vcc
	global_store_dwordx2 v[49:50], v[4:5], off
	v_add_u32_e32 v49, v51, v12
	v_ashrrev_i32_e32 v50, 31, v49
	v_lshlrev_b64 v[49:50], 1, v[49:50]
	v_mul_lo_u32 v53, v52, s9
	v_mov_b32_e32 v51, s17
	v_add_co_u32_e32 v49, vcc, s16, v49
	v_addc_co_u32_e32 v50, vcc, v51, v50, vcc
	v_lshl_or_b32 v51, v34, 16, v47
	v_lshl_or_b32 v52, v35, 16, v48
	global_store_dwordx2 v[49:50], v[51:52], off
	v_add_u32_e32 v51, v53, v12
	v_ashrrev_i32_e32 v52, 31, v51
	v_lshlrev_b64 v[51:52], 1, v[51:52]
	v_mov_b32_e32 v53, s17
	v_add_co_u32_e32 v51, vcc, s16, v51
	v_and_or_b32 v49, v34, s53, v45
	v_and_or_b32 v50, v35, s53, v46
	v_addc_co_u32_e32 v52, vcc, v53, v52, vcc
	global_store_dwordx2 v[51:52], v[49:50], off
	v_add_u32_e32 v51, v0, v12
	v_ashrrev_i32_e32 v52, 31, v51
	v_lshlrev_b64 v[51:52], 1, v[51:52]
	v_mul_lo_u32 v53, v1, s9
	v_mov_b32_e32 v0, s17
	v_add_co_u32_e32 v51, vcc, s16, v51
	v_lshl_or_b32 v49, v10, 16, v43
	v_lshl_or_b32 v50, v11, 16, v44
	v_addc_co_u32_e32 v52, vcc, v0, v52, vcc
	global_store_dwordx2 v[51:52], v[49:50], off
	v_add_u32_e32 v49, v53, v12
	v_ashrrev_i32_e32 v50, 31, v49
	v_lshlrev_b64 v[49:50], 1, v[49:50]
	v_mov_b32_e32 v51, s17
	v_add_co_u32_e32 v49, vcc, s16, v49
	v_and_or_b32 v0, v10, s53, v40
	v_and_or_b32 v1, v11, s53, v41
	v_addc_co_u32_e32 v50, vcc, v51, v50, vcc
	global_store_dwordx2 v[49:50], v[0:1], off
	v_add_u32_e32 v50, v2, v12
	v_ashrrev_i32_e32 v51, 31, v50
	v_lshlrev_b64 v[50:51], 1, v[50:51]
	v_pk_mul_f16 v49, v23, v15
	v_pk_mul_f16 v0, v22, v16
	v_pk_mul_f16 v1, v24, v42
	v_and_b32_e32 v15, 0xffff, v49
	v_and_b32_e32 v16, 0xffff, v33
	v_mov_b32_e32 v2, s17
	v_add_co_u32_e32 v50, vcc, s16, v50
	v_lshl_or_b32 v15, v0, 16, v15
	v_lshl_or_b32 v16, v1, 16, v16
	v_addc_co_u32_e32 v51, vcc, v2, v51, vcc
	global_store_dwordx2 v[50:51], v[15:16], off
	s_cbranch_execnz .LBB0_13
.LBB0_12:                               ;   in Loop: Header=BB0_8 Depth=1
	v_add_u32_e32 v0, s51, v17
	v_ashrrev_i32_e32 v1, 31, v0
	v_lshlrev_b64 v[0:1], 1, v[0:1]
	v_mov_b32_e32 v2, s17
	v_add_co_u32_e32 v0, vcc, s16, v0
	v_addc_co_u32_e32 v1, vcc, v2, v1, vcc
	global_store_dwordx2 v[0:1], v[6:7], off
	v_add_u32_e32 v0, s52, v17
	v_ashrrev_i32_e32 v1, 31, v0
	v_lshlrev_b64 v[0:1], 1, v[0:1]
	s_add_i32 s10, s18, 7
	v_add_co_u32_e32 v0, vcc, s16, v0
	v_addc_co_u32_e32 v1, vcc, v2, v1, vcc
	v_add_u32_e32 v2, s49, v17
	v_ashrrev_i32_e32 v3, 31, v2
	v_lshlrev_b64 v[2:3], 1, v[2:3]
	global_store_dwordx2 v[0:1], v[4:5], off
	v_mov_b32_e32 v4, s17
	v_add_co_u32_e32 v2, vcc, s16, v2
	v_lshl_or_b32 v0, v34, 16, v47
	v_lshl_or_b32 v1, v35, 16, v48
	v_addc_co_u32_e32 v3, vcc, v4, v3, vcc
	global_store_dwordx2 v[2:3], v[0:1], off
	v_add_u32_e32 v2, s50, v17
	v_ashrrev_i32_e32 v3, 31, v2
	v_lshlrev_b64 v[2:3], 1, v[2:3]
	v_and_or_b32 v0, v34, s53, v45
	v_add_co_u32_e32 v2, vcc, s16, v2
	v_and_or_b32 v1, v35, s53, v46
	v_addc_co_u32_e32 v3, vcc, v4, v3, vcc
	global_store_dwordx2 v[2:3], v[0:1], off
	v_add_u32_e32 v2, s47, v17
	v_ashrrev_i32_e32 v3, 31, v2
	v_lshlrev_b64 v[2:3], 1, v[2:3]
	v_lshl_or_b32 v0, v10, 16, v43
	v_add_co_u32_e32 v2, vcc, s16, v2
	v_lshl_or_b32 v1, v11, 16, v44
	v_addc_co_u32_e32 v3, vcc, v4, v3, vcc
	global_store_dwordx2 v[2:3], v[0:1], off
	v_add_u32_e32 v2, s48, v17
	v_ashrrev_i32_e32 v3, 31, v2
	v_lshlrev_b64 v[2:3], 1, v[2:3]
	v_and_or_b32 v0, v10, s53, v40
	v_add_co_u32_e32 v2, vcc, s16, v2
	v_and_or_b32 v1, v11, s53, v41
	v_addc_co_u32_e32 v3, vcc, v4, v3, vcc
	global_store_dwordx2 v[2:3], v[0:1], off
	v_add_u32_e32 v2, s46, v17
	v_ashrrev_i32_e32 v3, 31, v2
	v_lshlrev_b64 v[2:3], 1, v[2:3]
	v_and_b32_e32 v0, 0xffff, v36
	v_and_b32_e32 v1, 0xffff, v38
	v_add_co_u32_e32 v2, vcc, s16, v2
	v_lshl_or_b32 v0, v37, 16, v0
	v_lshl_or_b32 v1, v39, 16, v1
	v_addc_co_u32_e32 v3, vcc, v4, v3, vcc
	global_store_dwordx2 v[2:3], v[0:1], off
	v_mov_b32_e32 v3, s10
	v_mov_b32_e32 v49, v36
	;; [unrolled: 1-line block ×5, first 2 shown]
.LBB0_13:                               ;   in Loop: Header=BB0_8 Depth=1
	v_mov_b32_e32 v2, s7
	v_add_co_u32_e32 v4, vcc, s6, v8
	v_addc_co_u32_e32 v5, vcc, v9, v2, vcc
	v_add_co_u32_e32 v15, vcc, s6, v4
	v_addc_co_u32_e32 v16, vcc, v5, v2, vcc
	global_load_dwordx4 v[8:11], v[4:5], off
	v_mul_lo_u32 v3, v3, s9
	global_load_dwordx4 v[4:7], v[15:16], off
	v_lshrrev_b32_e32 v2, 16, v49
	v_and_or_b32 v0, v0, s53, v2
	v_add_u32_e32 v2, v3, v12
	v_ashrrev_i32_e32 v3, 31, v2
	v_lshlrev_b64 v[2:3], 1, v[2:3]
	v_lshrrev_b32_e32 v33, 16, v33
	v_mov_b32_e32 v34, s17
	v_add_co_u32_e32 v2, vcc, s16, v2
	v_and_or_b32 v1, v1, s53, v33
	v_addc_co_u32_e32 v3, vcc, v34, v3, vcc
	global_store_dwordx2 v[2:3], v[0:1], off
	s_and_b64 vcc, exec, s[0:1]
	s_waitcnt vmcnt(2)
	v_sub_u32_sdwa v0, v8, v32 dst_sel:DWORD dst_unused:UNUSED_PAD src0_sel:BYTE_0 src1_sel:DWORD
	v_sub_u32_sdwa v1, v8, v32 dst_sel:DWORD dst_unused:UNUSED_PAD src0_sel:BYTE_1 src1_sel:DWORD
	v_sub_u32_sdwa v2, v8, v32 dst_sel:DWORD dst_unused:UNUSED_PAD src0_sel:BYTE_2 src1_sel:DWORD
	v_sub_u32_sdwa v3, v8, v32 dst_sel:DWORD dst_unused:UNUSED_PAD src0_sel:BYTE_3 src1_sel:DWORD
	v_sub_u32_sdwa v8, v9, v31 dst_sel:DWORD dst_unused:UNUSED_PAD src0_sel:BYTE_0 src1_sel:DWORD
	v_sub_u32_sdwa v33, v9, v31 dst_sel:DWORD dst_unused:UNUSED_PAD src0_sel:BYTE_1 src1_sel:DWORD
	v_sub_u32_sdwa v34, v9, v31 dst_sel:DWORD dst_unused:UNUSED_PAD src0_sel:BYTE_2 src1_sel:DWORD
	v_sub_u32_sdwa v9, v9, v31 dst_sel:DWORD dst_unused:UNUSED_PAD src0_sel:BYTE_3 src1_sel:DWORD
	s_waitcnt vmcnt(1)
	v_sub_u32_sdwa v41, v5, v31 dst_sel:DWORD dst_unused:UNUSED_PAD src0_sel:BYTE_0 src1_sel:DWORD
	v_sub_u32_sdwa v42, v5, v31 dst_sel:DWORD dst_unused:UNUSED_PAD src0_sel:BYTE_1 src1_sel:DWORD
	v_sub_u32_sdwa v43, v5, v31 dst_sel:DWORD dst_unused:UNUSED_PAD src0_sel:BYTE_2 src1_sel:DWORD
	v_sub_u32_sdwa v5, v5, v31 dst_sel:DWORD dst_unused:UNUSED_PAD src0_sel:BYTE_3 src1_sel:DWORD
	v_cvt_f32_i32_e32 v0, v0
	v_cvt_f32_i32_e32 v1, v1
	v_cvt_f32_i32_e32 v2, v2
	v_cvt_f32_i32_e32 v3, v3
	v_cvt_f32_i32_e32 v8, v8
	v_cvt_f32_i32_e32 v33, v33
	v_cvt_f32_i32_e32 v34, v34
	v_cvt_f32_i32_e32 v9, v9
	v_cvt_f32_i32_e32 v43, v43
	v_cvt_f32_i32_e32 v5, v5
	v_cvt_f16_f32_e32 v0, v0
	v_cvt_f16_f32_e32 v1, v1
	;; [unrolled: 1-line block ×10, first 2 shown]
	v_sub_u32_sdwa v35, v10, v30 dst_sel:DWORD dst_unused:UNUSED_PAD src0_sel:BYTE_0 src1_sel:DWORD
	v_sub_u32_sdwa v36, v10, v30 dst_sel:DWORD dst_unused:UNUSED_PAD src0_sel:BYTE_1 src1_sel:DWORD
	v_sub_u32_sdwa v37, v10, v30 dst_sel:DWORD dst_unused:UNUSED_PAD src0_sel:BYTE_2 src1_sel:DWORD
	v_sub_u32_sdwa v10, v10, v30 dst_sel:DWORD dst_unused:UNUSED_PAD src0_sel:BYTE_3 src1_sel:DWORD
	v_pack_b32_f16 v0, v0, v1
	v_pack_b32_f16 v1, v2, v3
	;; [unrolled: 1-line block ×5, first 2 shown]
	v_sub_u32_sdwa v5, v6, v30 dst_sel:DWORD dst_unused:UNUSED_PAD src0_sel:BYTE_0 src1_sel:DWORD
	v_sub_u32_sdwa v9, v6, v30 dst_sel:DWORD dst_unused:UNUSED_PAD src0_sel:BYTE_1 src1_sel:DWORD
	v_sub_u32_sdwa v33, v6, v30 dst_sel:DWORD dst_unused:UNUSED_PAD src0_sel:BYTE_2 src1_sel:DWORD
	v_sub_u32_sdwa v6, v6, v30 dst_sel:DWORD dst_unused:UNUSED_PAD src0_sel:BYTE_3 src1_sel:DWORD
	v_cvt_f32_i32_e32 v35, v35
	v_cvt_f32_i32_e32 v36, v36
	;; [unrolled: 1-line block ×8, first 2 shown]
	v_cvt_f16_f32_e32 v35, v35
	v_cvt_f16_f32_e32 v36, v36
	;; [unrolled: 1-line block ×8, first 2 shown]
	v_sub_u32_sdwa v38, v4, v32 dst_sel:DWORD dst_unused:UNUSED_PAD src0_sel:BYTE_0 src1_sel:DWORD
	v_sub_u32_sdwa v39, v4, v32 dst_sel:DWORD dst_unused:UNUSED_PAD src0_sel:BYTE_1 src1_sel:DWORD
	v_pack_b32_f16 v34, v35, v36
	v_pack_b32_f16 v10, v37, v10
	;; [unrolled: 1-line block ×4, first 2 shown]
	v_sub_u32_sdwa v6, v11, v29 dst_sel:DWORD dst_unused:UNUSED_PAD src0_sel:BYTE_0 src1_sel:DWORD
	v_sub_u32_sdwa v9, v11, v29 dst_sel:DWORD dst_unused:UNUSED_PAD src0_sel:BYTE_1 src1_sel:DWORD
	v_sub_u32_sdwa v33, v11, v29 dst_sel:DWORD dst_unused:UNUSED_PAD src0_sel:BYTE_2 src1_sel:DWORD
	v_sub_u32_sdwa v11, v11, v29 dst_sel:DWORD dst_unused:UNUSED_PAD src0_sel:BYTE_3 src1_sel:DWORD
	v_sub_u32_sdwa v35, v7, v29 dst_sel:DWORD dst_unused:UNUSED_PAD src0_sel:BYTE_0 src1_sel:DWORD
	v_sub_u32_sdwa v36, v7, v29 dst_sel:DWORD dst_unused:UNUSED_PAD src0_sel:BYTE_1 src1_sel:DWORD
	v_sub_u32_sdwa v37, v7, v29 dst_sel:DWORD dst_unused:UNUSED_PAD src0_sel:BYTE_2 src1_sel:DWORD
	v_sub_u32_sdwa v7, v7, v29 dst_sel:DWORD dst_unused:UNUSED_PAD src0_sel:BYTE_3 src1_sel:DWORD
	v_sub_u32_sdwa v40, v4, v32 dst_sel:DWORD dst_unused:UNUSED_PAD src0_sel:BYTE_2 src1_sel:DWORD
	v_sub_u32_sdwa v4, v4, v32 dst_sel:DWORD dst_unused:UNUSED_PAD src0_sel:BYTE_3 src1_sel:DWORD
	v_cvt_f32_i32_e32 v38, v38
	v_cvt_f32_i32_e32 v39, v39
	;; [unrolled: 1-line block ×14, first 2 shown]
	v_cvt_f16_f32_e32 v38, v38
	v_cvt_f16_f32_e32 v39, v39
	;; [unrolled: 1-line block ×14, first 2 shown]
	v_pack_b32_f16 v8, v38, v39
	v_pack_b32_f16 v6, v6, v9
	;; [unrolled: 1-line block ×4, first 2 shown]
	v_pk_mul_f16 v0, v23, v0
	v_pk_mul_f16 v7, v21, v34
	v_pack_b32_f16 v45, v40, v4
	v_pack_b32_f16 v4, v41, v42
	;; [unrolled: 1-line block ×3, first 2 shown]
	v_pk_mul_f16 v2, v22, v2
	v_pk_mul_f16 v35, v24, v6
	v_and_b32_e32 v6, 0xffff, v0
	v_and_b32_e32 v36, 0xffff, v7
	v_lshrrev_b32_e32 v0, 16, v0
	v_lshrrev_b32_e32 v39, 16, v7
	v_pk_mul_f16 v1, v23, v1
	v_pk_mul_f16 v37, v22, v3
	;; [unrolled: 1-line block ×8, first 2 shown]
	v_lshl_or_b32 v6, v2, 16, v6
	v_lshl_or_b32 v7, v35, 16, v36
	v_and_or_b32 v4, v2, s53, v0
	v_and_or_b32 v5, v35, s53, v39
	v_and_b32_e32 v43, 0xffff, v1
	v_and_b32_e32 v44, 0xffff, v3
	v_lshrrev_b32_e32 v41, 16, v1
	v_lshrrev_b32_e32 v42, 16, v3
	v_and_b32_e32 v39, 0xffff, v8
	v_and_b32_e32 v40, 0xffff, v9
	v_lshrrev_b32_e32 v35, 16, v8
	v_lshrrev_b32_e32 v36, 16, v9
	v_pk_mul_f16 v8, v23, v45
	v_pk_mul_f16 v9, v22, v46
	;; [unrolled: 1-line block ×4, first 2 shown]
	s_cbranch_vccnz .LBB0_22
; %bb.14:                               ;   in Loop: Header=BB0_8 Depth=1
	v_mov_b32_e32 v0, s19
	ds_read_b128 v[49:52], v0 offset:32
	ds_read_b128 v[0:3], v0 offset:48
	v_mov_b32_e32 v55, s17
	v_pk_mul_f16 v45, v23, v45
	s_waitcnt lgkmcnt(1)
	v_mul_lo_u32 v49, v49, s9
	v_mul_lo_u32 v50, v50, s9
	;; [unrolled: 1-line block ×3, first 2 shown]
	s_waitcnt lgkmcnt(0)
	v_mul_lo_u32 v0, v0, s9
	v_add_u32_e32 v49, v49, v12
	v_add_u32_e32 v53, v50, v12
	v_ashrrev_i32_e32 v50, 31, v49
	v_lshlrev_b64 v[49:50], 1, v[49:50]
	v_ashrrev_i32_e32 v54, 31, v53
	v_add_co_u32_e32 v49, vcc, s16, v49
	v_addc_co_u32_e32 v50, vcc, v55, v50, vcc
	global_store_dwordx2 v[49:50], v[6:7], off
	v_lshlrev_b64 v[49:50], 1, v[53:54]
	v_add_u32_e32 v53, v51, v12
	v_mul_lo_u32 v51, v52, s9
	v_ashrrev_i32_e32 v54, 31, v53
	v_add_co_u32_e32 v49, vcc, s16, v49
	v_lshlrev_b64 v[53:54], 1, v[53:54]
	v_add_u32_e32 v51, v51, v12
	v_addc_co_u32_e32 v50, vcc, v55, v50, vcc
	v_ashrrev_i32_e32 v52, 31, v51
	v_add_co_u32_e32 v53, vcc, s16, v53
	v_lshlrev_b64 v[51:52], 1, v[51:52]
	v_addc_co_u32_e32 v54, vcc, v55, v54, vcc
	global_store_dwordx2 v[49:50], v[4:5], off
	v_lshl_or_b32 v49, v37, 16, v43
	v_lshl_or_b32 v50, v38, 16, v44
	v_add_co_u32_e32 v51, vcc, s16, v51
	global_store_dwordx2 v[53:54], v[49:50], off
	v_and_or_b32 v49, v37, s53, v41
	v_and_or_b32 v50, v38, s53, v42
	v_addc_co_u32_e32 v52, vcc, v55, v52, vcc
	global_store_dwordx2 v[51:52], v[49:50], off
	v_add_u32_e32 v51, v0, v12
	v_ashrrev_i32_e32 v52, 31, v51
	v_lshlrev_b64 v[51:52], 1, v[51:52]
	v_mul_lo_u32 v53, v1, s9
	v_add_co_u32_e32 v51, vcc, s16, v51
	v_lshl_or_b32 v49, v33, 16, v39
	v_lshl_or_b32 v50, v34, 16, v40
	v_addc_co_u32_e32 v52, vcc, v55, v52, vcc
	global_store_dwordx2 v[51:52], v[49:50], off
	v_add_u32_e32 v49, v53, v12
	v_ashrrev_i32_e32 v50, 31, v49
	v_lshlrev_b64 v[49:50], 1, v[49:50]
	v_mul_lo_u32 v2, v2, s9
	v_add_co_u32_e32 v49, vcc, s16, v49
	v_and_or_b32 v0, v33, s53, v35
	v_and_or_b32 v1, v34, s53, v36
	v_addc_co_u32_e32 v50, vcc, v55, v50, vcc
	global_store_dwordx2 v[49:50], v[0:1], off
	v_add_u32_e32 v49, v2, v12
	v_ashrrev_i32_e32 v50, 31, v49
	v_lshlrev_b64 v[49:50], 1, v[49:50]
	v_pk_mul_f16 v0, v22, v46
	v_pk_mul_f16 v46, v21, v47
	v_pk_mul_f16 v1, v24, v48
	v_and_b32_e32 v47, 0xffff, v45
	v_and_b32_e32 v48, 0xffff, v46
	v_add_co_u32_e32 v49, vcc, s16, v49
	v_lshl_or_b32 v47, v0, 16, v47
	v_lshl_or_b32 v48, v1, 16, v48
	v_addc_co_u32_e32 v50, vcc, v55, v50, vcc
	global_store_dwordx2 v[49:50], v[47:48], off
	s_cbranch_execnz .LBB0_16
.LBB0_15:                               ;   in Loop: Header=BB0_8 Depth=1
	v_add_u32_e32 v0, s45, v17
	v_ashrrev_i32_e32 v1, 31, v0
	v_lshlrev_b64 v[0:1], 1, v[0:1]
	v_mov_b32_e32 v45, s17
	v_add_co_u32_e32 v0, vcc, s16, v0
	v_addc_co_u32_e32 v1, vcc, v45, v1, vcc
	global_store_dwordx2 v[0:1], v[6:7], off
	v_add_u32_e32 v0, s44, v17
	v_ashrrev_i32_e32 v1, 31, v0
	v_lshlrev_b64 v[0:1], 1, v[0:1]
	v_add_u32_e32 v2, s42, v17
	v_ashrrev_i32_e32 v3, 31, v2
	v_add_co_u32_e32 v0, vcc, s16, v0
	v_lshlrev_b64 v[2:3], 1, v[2:3]
	v_addc_co_u32_e32 v1, vcc, v45, v1, vcc
	v_add_co_u32_e32 v2, vcc, s16, v2
	global_store_dwordx2 v[0:1], v[4:5], off
	v_lshl_or_b32 v0, v37, 16, v43
	v_lshl_or_b32 v1, v38, 16, v44
	v_addc_co_u32_e32 v3, vcc, v45, v3, vcc
	global_store_dwordx2 v[2:3], v[0:1], off
	v_add_u32_e32 v2, s43, v17
	v_ashrrev_i32_e32 v3, 31, v2
	v_lshlrev_b64 v[2:3], 1, v[2:3]
	v_and_or_b32 v0, v37, s53, v41
	v_add_co_u32_e32 v2, vcc, s16, v2
	v_and_or_b32 v1, v38, s53, v42
	v_addc_co_u32_e32 v3, vcc, v45, v3, vcc
	global_store_dwordx2 v[2:3], v[0:1], off
	v_add_u32_e32 v2, s40, v17
	v_ashrrev_i32_e32 v3, 31, v2
	v_lshlrev_b64 v[2:3], 1, v[2:3]
	v_lshl_or_b32 v0, v33, 16, v39
	v_add_co_u32_e32 v2, vcc, s16, v2
	v_lshl_or_b32 v1, v34, 16, v40
	v_addc_co_u32_e32 v3, vcc, v45, v3, vcc
	global_store_dwordx2 v[2:3], v[0:1], off
	v_add_u32_e32 v2, s41, v17
	v_ashrrev_i32_e32 v3, 31, v2
	v_lshlrev_b64 v[2:3], 1, v[2:3]
	v_and_or_b32 v0, v33, s53, v35
	v_add_co_u32_e32 v2, vcc, s16, v2
	v_and_or_b32 v1, v34, s53, v36
	v_addc_co_u32_e32 v3, vcc, v45, v3, vcc
	global_store_dwordx2 v[2:3], v[0:1], off
	v_add_u32_e32 v2, s39, v17
	v_ashrrev_i32_e32 v3, 31, v2
	v_lshlrev_b64 v[2:3], 1, v[2:3]
	v_and_b32_e32 v0, 0xffff, v8
	v_and_b32_e32 v1, 0xffff, v10
	v_add_co_u32_e32 v2, vcc, s16, v2
	v_lshl_or_b32 v0, v9, 16, v0
	v_lshl_or_b32 v1, v11, 16, v1
	v_addc_co_u32_e32 v3, vcc, v45, v3, vcc
	s_add_i32 s10, s18, 15
	global_store_dwordx2 v[2:3], v[0:1], off
	v_mov_b32_e32 v3, s10
	v_mov_b32_e32 v45, v8
	;; [unrolled: 1-line block ×5, first 2 shown]
.LBB0_16:                               ;   in Loop: Header=BB0_8 Depth=1
	v_mov_b32_e32 v2, s7
	v_add_co_u32_e32 v4, vcc, s6, v15
	v_addc_co_u32_e32 v5, vcc, v16, v2, vcc
	v_add_co_u32_e32 v15, vcc, s6, v4
	v_addc_co_u32_e32 v16, vcc, v5, v2, vcc
	global_load_dwordx4 v[8:11], v[4:5], off
	v_mul_lo_u32 v3, v3, s9
	global_load_dwordx4 v[4:7], v[15:16], off
	v_lshrrev_b32_e32 v2, 16, v45
	v_and_or_b32 v0, v0, s53, v2
	v_add_u32_e32 v2, v3, v12
	v_ashrrev_i32_e32 v3, 31, v2
	v_lshlrev_b64 v[2:3], 1, v[2:3]
	v_lshrrev_b32_e32 v33, 16, v46
	v_mov_b32_e32 v34, s17
	v_add_co_u32_e32 v2, vcc, s16, v2
	v_and_or_b32 v1, v1, s53, v33
	v_addc_co_u32_e32 v3, vcc, v34, v3, vcc
	global_store_dwordx2 v[2:3], v[0:1], off
	s_and_b64 vcc, exec, s[0:1]
	s_waitcnt vmcnt(2)
	v_sub_u32_sdwa v0, v8, v32 dst_sel:DWORD dst_unused:UNUSED_PAD src0_sel:BYTE_0 src1_sel:DWORD
	v_sub_u32_sdwa v1, v8, v32 dst_sel:DWORD dst_unused:UNUSED_PAD src0_sel:BYTE_1 src1_sel:DWORD
	v_sub_u32_sdwa v2, v8, v32 dst_sel:DWORD dst_unused:UNUSED_PAD src0_sel:BYTE_2 src1_sel:DWORD
	v_sub_u32_sdwa v3, v8, v32 dst_sel:DWORD dst_unused:UNUSED_PAD src0_sel:BYTE_3 src1_sel:DWORD
	v_sub_u32_sdwa v8, v9, v31 dst_sel:DWORD dst_unused:UNUSED_PAD src0_sel:BYTE_0 src1_sel:DWORD
	v_sub_u32_sdwa v33, v9, v31 dst_sel:DWORD dst_unused:UNUSED_PAD src0_sel:BYTE_1 src1_sel:DWORD
	v_sub_u32_sdwa v34, v9, v31 dst_sel:DWORD dst_unused:UNUSED_PAD src0_sel:BYTE_2 src1_sel:DWORD
	v_sub_u32_sdwa v9, v9, v31 dst_sel:DWORD dst_unused:UNUSED_PAD src0_sel:BYTE_3 src1_sel:DWORD
	s_waitcnt vmcnt(1)
	v_sub_u32_sdwa v41, v5, v31 dst_sel:DWORD dst_unused:UNUSED_PAD src0_sel:BYTE_0 src1_sel:DWORD
	v_sub_u32_sdwa v42, v5, v31 dst_sel:DWORD dst_unused:UNUSED_PAD src0_sel:BYTE_1 src1_sel:DWORD
	v_sub_u32_sdwa v43, v5, v31 dst_sel:DWORD dst_unused:UNUSED_PAD src0_sel:BYTE_2 src1_sel:DWORD
	v_sub_u32_sdwa v5, v5, v31 dst_sel:DWORD dst_unused:UNUSED_PAD src0_sel:BYTE_3 src1_sel:DWORD
	v_cvt_f32_i32_e32 v0, v0
	v_cvt_f32_i32_e32 v1, v1
	;; [unrolled: 1-line block ×10, first 2 shown]
	v_cvt_f16_f32_e32 v0, v0
	v_cvt_f16_f32_e32 v1, v1
	;; [unrolled: 1-line block ×10, first 2 shown]
	v_sub_u32_sdwa v35, v10, v30 dst_sel:DWORD dst_unused:UNUSED_PAD src0_sel:BYTE_0 src1_sel:DWORD
	v_sub_u32_sdwa v36, v10, v30 dst_sel:DWORD dst_unused:UNUSED_PAD src0_sel:BYTE_1 src1_sel:DWORD
	v_sub_u32_sdwa v37, v10, v30 dst_sel:DWORD dst_unused:UNUSED_PAD src0_sel:BYTE_2 src1_sel:DWORD
	v_sub_u32_sdwa v10, v10, v30 dst_sel:DWORD dst_unused:UNUSED_PAD src0_sel:BYTE_3 src1_sel:DWORD
	v_pack_b32_f16 v0, v0, v1
	v_pack_b32_f16 v1, v2, v3
	;; [unrolled: 1-line block ×5, first 2 shown]
	v_sub_u32_sdwa v5, v6, v30 dst_sel:DWORD dst_unused:UNUSED_PAD src0_sel:BYTE_0 src1_sel:DWORD
	v_sub_u32_sdwa v9, v6, v30 dst_sel:DWORD dst_unused:UNUSED_PAD src0_sel:BYTE_1 src1_sel:DWORD
	v_sub_u32_sdwa v33, v6, v30 dst_sel:DWORD dst_unused:UNUSED_PAD src0_sel:BYTE_2 src1_sel:DWORD
	v_sub_u32_sdwa v6, v6, v30 dst_sel:DWORD dst_unused:UNUSED_PAD src0_sel:BYTE_3 src1_sel:DWORD
	v_cvt_f32_i32_e32 v35, v35
	v_cvt_f32_i32_e32 v36, v36
	;; [unrolled: 1-line block ×8, first 2 shown]
	v_cvt_f16_f32_e32 v35, v35
	v_cvt_f16_f32_e32 v36, v36
	;; [unrolled: 1-line block ×8, first 2 shown]
	v_sub_u32_sdwa v38, v4, v32 dst_sel:DWORD dst_unused:UNUSED_PAD src0_sel:BYTE_0 src1_sel:DWORD
	v_sub_u32_sdwa v39, v4, v32 dst_sel:DWORD dst_unused:UNUSED_PAD src0_sel:BYTE_1 src1_sel:DWORD
	v_pack_b32_f16 v34, v35, v36
	v_pack_b32_f16 v10, v37, v10
	;; [unrolled: 1-line block ×4, first 2 shown]
	v_sub_u32_sdwa v6, v11, v29 dst_sel:DWORD dst_unused:UNUSED_PAD src0_sel:BYTE_0 src1_sel:DWORD
	v_sub_u32_sdwa v9, v11, v29 dst_sel:DWORD dst_unused:UNUSED_PAD src0_sel:BYTE_1 src1_sel:DWORD
	v_sub_u32_sdwa v33, v11, v29 dst_sel:DWORD dst_unused:UNUSED_PAD src0_sel:BYTE_2 src1_sel:DWORD
	v_sub_u32_sdwa v11, v11, v29 dst_sel:DWORD dst_unused:UNUSED_PAD src0_sel:BYTE_3 src1_sel:DWORD
	v_sub_u32_sdwa v35, v7, v29 dst_sel:DWORD dst_unused:UNUSED_PAD src0_sel:BYTE_0 src1_sel:DWORD
	v_sub_u32_sdwa v36, v7, v29 dst_sel:DWORD dst_unused:UNUSED_PAD src0_sel:BYTE_1 src1_sel:DWORD
	v_sub_u32_sdwa v37, v7, v29 dst_sel:DWORD dst_unused:UNUSED_PAD src0_sel:BYTE_2 src1_sel:DWORD
	v_sub_u32_sdwa v7, v7, v29 dst_sel:DWORD dst_unused:UNUSED_PAD src0_sel:BYTE_3 src1_sel:DWORD
	v_sub_u32_sdwa v40, v4, v32 dst_sel:DWORD dst_unused:UNUSED_PAD src0_sel:BYTE_2 src1_sel:DWORD
	v_sub_u32_sdwa v4, v4, v32 dst_sel:DWORD dst_unused:UNUSED_PAD src0_sel:BYTE_3 src1_sel:DWORD
	v_cvt_f32_i32_e32 v38, v38
	v_cvt_f32_i32_e32 v39, v39
	;; [unrolled: 1-line block ×14, first 2 shown]
	v_cvt_f16_f32_e32 v38, v38
	v_cvt_f16_f32_e32 v39, v39
	;; [unrolled: 1-line block ×14, first 2 shown]
	v_pack_b32_f16 v8, v38, v39
	v_pack_b32_f16 v6, v6, v9
	;; [unrolled: 1-line block ×4, first 2 shown]
	v_pk_mul_f16 v0, v23, v0
	v_pk_mul_f16 v7, v21, v34
	v_pack_b32_f16 v45, v40, v4
	v_pack_b32_f16 v4, v41, v42
	;; [unrolled: 1-line block ×3, first 2 shown]
	v_pk_mul_f16 v2, v22, v2
	v_pk_mul_f16 v35, v24, v6
	v_and_b32_e32 v6, 0xffff, v0
	v_and_b32_e32 v36, 0xffff, v7
	v_lshrrev_b32_e32 v0, 16, v0
	v_lshrrev_b32_e32 v39, 16, v7
	v_pk_mul_f16 v1, v23, v1
	v_pk_mul_f16 v37, v22, v3
	;; [unrolled: 1-line block ×8, first 2 shown]
	v_lshl_or_b32 v6, v2, 16, v6
	v_lshl_or_b32 v7, v35, 16, v36
	v_and_or_b32 v4, v2, s53, v0
	v_and_or_b32 v5, v35, s53, v39
	v_and_b32_e32 v43, 0xffff, v1
	v_and_b32_e32 v44, 0xffff, v3
	v_lshrrev_b32_e32 v41, 16, v1
	v_lshrrev_b32_e32 v42, 16, v3
	v_and_b32_e32 v39, 0xffff, v8
	v_and_b32_e32 v40, 0xffff, v9
	v_lshrrev_b32_e32 v35, 16, v8
	v_lshrrev_b32_e32 v36, 16, v9
	v_pk_mul_f16 v8, v23, v45
	v_pk_mul_f16 v9, v22, v46
	;; [unrolled: 1-line block ×4, first 2 shown]
	s_cbranch_vccnz .LBB0_23
; %bb.17:                               ;   in Loop: Header=BB0_8 Depth=1
	v_mov_b32_e32 v0, s19
	ds_read_b128 v[49:52], v0 offset:64
	ds_read_b128 v[0:3], v0 offset:80
	v_mov_b32_e32 v55, s17
	v_pk_mul_f16 v45, v23, v45
	s_waitcnt lgkmcnt(1)
	v_mul_lo_u32 v49, v49, s9
	v_mul_lo_u32 v50, v50, s9
	;; [unrolled: 1-line block ×3, first 2 shown]
	s_waitcnt lgkmcnt(0)
	v_mul_lo_u32 v0, v0, s9
	v_add_u32_e32 v49, v49, v12
	v_add_u32_e32 v53, v50, v12
	v_ashrrev_i32_e32 v50, 31, v49
	v_lshlrev_b64 v[49:50], 1, v[49:50]
	v_ashrrev_i32_e32 v54, 31, v53
	v_add_co_u32_e32 v49, vcc, s16, v49
	v_addc_co_u32_e32 v50, vcc, v55, v50, vcc
	global_store_dwordx2 v[49:50], v[6:7], off
	v_lshlrev_b64 v[49:50], 1, v[53:54]
	v_add_u32_e32 v53, v51, v12
	v_mul_lo_u32 v51, v52, s9
	v_ashrrev_i32_e32 v54, 31, v53
	v_add_co_u32_e32 v49, vcc, s16, v49
	v_lshlrev_b64 v[53:54], 1, v[53:54]
	v_add_u32_e32 v51, v51, v12
	v_addc_co_u32_e32 v50, vcc, v55, v50, vcc
	v_ashrrev_i32_e32 v52, 31, v51
	v_add_co_u32_e32 v53, vcc, s16, v53
	v_lshlrev_b64 v[51:52], 1, v[51:52]
	v_addc_co_u32_e32 v54, vcc, v55, v54, vcc
	global_store_dwordx2 v[49:50], v[4:5], off
	v_lshl_or_b32 v49, v37, 16, v43
	v_lshl_or_b32 v50, v38, 16, v44
	v_add_co_u32_e32 v51, vcc, s16, v51
	global_store_dwordx2 v[53:54], v[49:50], off
	v_and_or_b32 v49, v37, s53, v41
	v_and_or_b32 v50, v38, s53, v42
	v_addc_co_u32_e32 v52, vcc, v55, v52, vcc
	global_store_dwordx2 v[51:52], v[49:50], off
	v_add_u32_e32 v51, v0, v12
	v_ashrrev_i32_e32 v52, 31, v51
	v_lshlrev_b64 v[51:52], 1, v[51:52]
	v_mul_lo_u32 v53, v1, s9
	v_add_co_u32_e32 v51, vcc, s16, v51
	v_lshl_or_b32 v49, v33, 16, v39
	v_lshl_or_b32 v50, v34, 16, v40
	v_addc_co_u32_e32 v52, vcc, v55, v52, vcc
	global_store_dwordx2 v[51:52], v[49:50], off
	v_add_u32_e32 v49, v53, v12
	v_ashrrev_i32_e32 v50, 31, v49
	v_lshlrev_b64 v[49:50], 1, v[49:50]
	v_mul_lo_u32 v2, v2, s9
	v_add_co_u32_e32 v49, vcc, s16, v49
	v_and_or_b32 v0, v33, s53, v35
	v_and_or_b32 v1, v34, s53, v36
	v_addc_co_u32_e32 v50, vcc, v55, v50, vcc
	global_store_dwordx2 v[49:50], v[0:1], off
	v_add_u32_e32 v49, v2, v12
	v_ashrrev_i32_e32 v50, 31, v49
	v_lshlrev_b64 v[49:50], 1, v[49:50]
	v_pk_mul_f16 v0, v22, v46
	v_pk_mul_f16 v46, v21, v47
	;; [unrolled: 1-line block ×3, first 2 shown]
	v_and_b32_e32 v47, 0xffff, v45
	v_and_b32_e32 v48, 0xffff, v46
	v_add_co_u32_e32 v49, vcc, s16, v49
	v_lshl_or_b32 v47, v0, 16, v47
	v_lshl_or_b32 v48, v1, 16, v48
	v_addc_co_u32_e32 v50, vcc, v55, v50, vcc
	global_store_dwordx2 v[49:50], v[47:48], off
	s_cbranch_execnz .LBB0_19
.LBB0_18:                               ;   in Loop: Header=BB0_8 Depth=1
	v_add_u32_e32 v0, s38, v17
	v_ashrrev_i32_e32 v1, 31, v0
	v_lshlrev_b64 v[0:1], 1, v[0:1]
	v_mov_b32_e32 v45, s17
	v_add_co_u32_e32 v0, vcc, s16, v0
	v_addc_co_u32_e32 v1, vcc, v45, v1, vcc
	global_store_dwordx2 v[0:1], v[6:7], off
	v_add_u32_e32 v0, s37, v17
	v_ashrrev_i32_e32 v1, 31, v0
	v_lshlrev_b64 v[0:1], 1, v[0:1]
	v_add_u32_e32 v2, s35, v17
	v_ashrrev_i32_e32 v3, 31, v2
	v_add_co_u32_e32 v0, vcc, s16, v0
	v_lshlrev_b64 v[2:3], 1, v[2:3]
	v_addc_co_u32_e32 v1, vcc, v45, v1, vcc
	v_add_co_u32_e32 v2, vcc, s16, v2
	global_store_dwordx2 v[0:1], v[4:5], off
	v_lshl_or_b32 v0, v37, 16, v43
	v_lshl_or_b32 v1, v38, 16, v44
	v_addc_co_u32_e32 v3, vcc, v45, v3, vcc
	global_store_dwordx2 v[2:3], v[0:1], off
	v_add_u32_e32 v2, s36, v17
	v_ashrrev_i32_e32 v3, 31, v2
	v_lshlrev_b64 v[2:3], 1, v[2:3]
	v_and_or_b32 v0, v37, s53, v41
	v_add_co_u32_e32 v2, vcc, s16, v2
	v_and_or_b32 v1, v38, s53, v42
	v_addc_co_u32_e32 v3, vcc, v45, v3, vcc
	global_store_dwordx2 v[2:3], v[0:1], off
	v_add_u32_e32 v2, s33, v17
	v_ashrrev_i32_e32 v3, 31, v2
	v_lshlrev_b64 v[2:3], 1, v[2:3]
	v_lshl_or_b32 v0, v33, 16, v39
	v_add_co_u32_e32 v2, vcc, s16, v2
	v_lshl_or_b32 v1, v34, 16, v40
	v_addc_co_u32_e32 v3, vcc, v45, v3, vcc
	global_store_dwordx2 v[2:3], v[0:1], off
	v_add_u32_e32 v2, s34, v17
	v_ashrrev_i32_e32 v3, 31, v2
	v_lshlrev_b64 v[2:3], 1, v[2:3]
	v_and_or_b32 v0, v33, s53, v35
	v_add_co_u32_e32 v2, vcc, s16, v2
	v_and_or_b32 v1, v34, s53, v36
	v_addc_co_u32_e32 v3, vcc, v45, v3, vcc
	global_store_dwordx2 v[2:3], v[0:1], off
	v_add_u32_e32 v2, s31, v17
	v_ashrrev_i32_e32 v3, 31, v2
	v_lshlrev_b64 v[2:3], 1, v[2:3]
	v_and_b32_e32 v0, 0xffff, v8
	v_and_b32_e32 v1, 0xffff, v10
	v_add_co_u32_e32 v2, vcc, s16, v2
	v_lshl_or_b32 v0, v9, 16, v0
	v_lshl_or_b32 v1, v11, 16, v1
	v_addc_co_u32_e32 v3, vcc, v45, v3, vcc
	s_add_i32 s10, s18, 23
	global_store_dwordx2 v[2:3], v[0:1], off
	v_mov_b32_e32 v3, s10
	v_mov_b32_e32 v45, v8
	;; [unrolled: 1-line block ×5, first 2 shown]
.LBB0_19:                               ;   in Loop: Header=BB0_8 Depth=1
	v_mov_b32_e32 v2, s7
	v_add_co_u32_e32 v4, vcc, s6, v15
	v_addc_co_u32_e32 v5, vcc, v16, v2, vcc
	global_load_dwordx4 v[8:11], v[4:5], off
	v_add_co_u32_e32 v4, vcc, s6, v4
	v_addc_co_u32_e32 v5, vcc, v5, v2, vcc
	global_load_dwordx4 v[4:7], v[4:5], off
	v_mul_lo_u32 v3, v3, s9
	v_lshrrev_b32_e32 v2, 16, v45
	v_and_or_b32 v0, v0, s53, v2
	v_lshrrev_b32_e32 v15, 16, v46
	v_add_u32_e32 v2, v3, v12
	v_ashrrev_i32_e32 v3, 31, v2
	v_lshlrev_b64 v[2:3], 1, v[2:3]
	v_mov_b32_e32 v16, s17
	v_add_co_u32_e32 v2, vcc, s16, v2
	v_and_or_b32 v1, v1, s53, v15
	v_addc_co_u32_e32 v3, vcc, v16, v3, vcc
	global_store_dwordx2 v[2:3], v[0:1], off
	s_and_b64 vcc, exec, s[0:1]
	s_waitcnt vmcnt(2)
	v_sub_u32_sdwa v0, v8, v32 dst_sel:DWORD dst_unused:UNUSED_PAD src0_sel:BYTE_0 src1_sel:DWORD
	v_sub_u32_sdwa v1, v8, v32 dst_sel:DWORD dst_unused:UNUSED_PAD src0_sel:BYTE_1 src1_sel:DWORD
	v_sub_u32_sdwa v2, v8, v32 dst_sel:DWORD dst_unused:UNUSED_PAD src0_sel:BYTE_2 src1_sel:DWORD
	v_sub_u32_sdwa v3, v8, v32 dst_sel:DWORD dst_unused:UNUSED_PAD src0_sel:BYTE_3 src1_sel:DWORD
	v_sub_u32_sdwa v8, v9, v31 dst_sel:DWORD dst_unused:UNUSED_PAD src0_sel:BYTE_0 src1_sel:DWORD
	v_sub_u32_sdwa v15, v9, v31 dst_sel:DWORD dst_unused:UNUSED_PAD src0_sel:BYTE_1 src1_sel:DWORD
	v_sub_u32_sdwa v16, v9, v31 dst_sel:DWORD dst_unused:UNUSED_PAD src0_sel:BYTE_2 src1_sel:DWORD
	v_sub_u32_sdwa v9, v9, v31 dst_sel:DWORD dst_unused:UNUSED_PAD src0_sel:BYTE_3 src1_sel:DWORD
	v_sub_u32_sdwa v33, v10, v30 dst_sel:DWORD dst_unused:UNUSED_PAD src0_sel:BYTE_0 src1_sel:DWORD
	v_sub_u32_sdwa v34, v10, v30 dst_sel:DWORD dst_unused:UNUSED_PAD src0_sel:BYTE_1 src1_sel:DWORD
	v_sub_u32_sdwa v35, v10, v30 dst_sel:DWORD dst_unused:UNUSED_PAD src0_sel:BYTE_2 src1_sel:DWORD
	s_waitcnt vmcnt(1)
	v_sub_u32_sdwa v36, v4, v32 dst_sel:DWORD dst_unused:UNUSED_PAD src0_sel:BYTE_0 src1_sel:DWORD
	v_sub_u32_sdwa v37, v4, v32 dst_sel:DWORD dst_unused:UNUSED_PAD src0_sel:BYTE_1 src1_sel:DWORD
	v_sub_u32_sdwa v38, v4, v32 dst_sel:DWORD dst_unused:UNUSED_PAD src0_sel:BYTE_2 src1_sel:DWORD
	v_sub_u32_sdwa v4, v4, v32 dst_sel:DWORD dst_unused:UNUSED_PAD src0_sel:BYTE_3 src1_sel:DWORD
	v_sub_u32_sdwa v32, v5, v31 dst_sel:DWORD dst_unused:UNUSED_PAD src0_sel:BYTE_0 src1_sel:DWORD
	v_sub_u32_sdwa v39, v5, v31 dst_sel:DWORD dst_unused:UNUSED_PAD src0_sel:BYTE_1 src1_sel:DWORD
	v_sub_u32_sdwa v40, v5, v31 dst_sel:DWORD dst_unused:UNUSED_PAD src0_sel:BYTE_2 src1_sel:DWORD
	v_sub_u32_sdwa v5, v5, v31 dst_sel:DWORD dst_unused:UNUSED_PAD src0_sel:BYTE_3 src1_sel:DWORD
	v_cvt_f32_i32_e32 v0, v0
	v_cvt_f32_i32_e32 v1, v1
	;; [unrolled: 1-line block ×17, first 2 shown]
	v_cvt_f16_f32_e32 v0, v0
	v_cvt_f16_f32_e32 v1, v1
	;; [unrolled: 1-line block ×10, first 2 shown]
	v_pack_b32_f16 v0, v0, v1
	v_pack_b32_f16 v1, v2, v3
	;; [unrolled: 1-line block ×5, first 2 shown]
	v_sub_u32_sdwa v5, v6, v30 dst_sel:DWORD dst_unused:UNUSED_PAD src0_sel:BYTE_0 src1_sel:DWORD
	v_sub_u32_sdwa v9, v6, v30 dst_sel:DWORD dst_unused:UNUSED_PAD src0_sel:BYTE_1 src1_sel:DWORD
	v_sub_u32_sdwa v15, v6, v30 dst_sel:DWORD dst_unused:UNUSED_PAD src0_sel:BYTE_2 src1_sel:DWORD
	v_sub_u32_sdwa v6, v6, v30 dst_sel:DWORD dst_unused:UNUSED_PAD src0_sel:BYTE_3 src1_sel:DWORD
	v_cvt_f32_i32_e32 v4, v4
	v_cvt_f32_i32_e32 v32, v32
	;; [unrolled: 1-line block ×6, first 2 shown]
	v_cvt_f16_f32_e32 v31, v31
	v_cvt_f16_f32_e32 v33, v33
	v_cvt_f16_f32_e32 v37, v37
	v_cvt_f16_f32_e32 v4, v4
	v_cvt_f16_f32_e32 v32, v32
	v_cvt_f16_f32_e32 v38, v38
	v_cvt_f16_f32_e32 v5, v5
	v_cvt_f16_f32_e32 v9, v9
	v_cvt_f16_f32_e32 v15, v15
	v_cvt_f16_f32_e32 v6, v6
	v_sub_u32_sdwa v10, v10, v30 dst_sel:DWORD dst_unused:UNUSED_PAD src0_sel:BYTE_3 src1_sel:DWORD
	v_pack_b32_f16 v39, v37, v4
	v_pack_b32_f16 v4, v32, v38
	;; [unrolled: 1-line block ×5, first 2 shown]
	v_sub_u32_sdwa v6, v11, v29 dst_sel:DWORD dst_unused:UNUSED_PAD src0_sel:BYTE_0 src1_sel:DWORD
	v_sub_u32_sdwa v9, v11, v29 dst_sel:DWORD dst_unused:UNUSED_PAD src0_sel:BYTE_1 src1_sel:DWORD
	v_sub_u32_sdwa v15, v11, v29 dst_sel:DWORD dst_unused:UNUSED_PAD src0_sel:BYTE_2 src1_sel:DWORD
	v_sub_u32_sdwa v11, v11, v29 dst_sel:DWORD dst_unused:UNUSED_PAD src0_sel:BYTE_3 src1_sel:DWORD
	v_sub_u32_sdwa v30, v7, v29 dst_sel:DWORD dst_unused:UNUSED_PAD src0_sel:BYTE_0 src1_sel:DWORD
	v_sub_u32_sdwa v31, v7, v29 dst_sel:DWORD dst_unused:UNUSED_PAD src0_sel:BYTE_1 src1_sel:DWORD
	v_sub_u32_sdwa v32, v7, v29 dst_sel:DWORD dst_unused:UNUSED_PAD src0_sel:BYTE_2 src1_sel:DWORD
	v_sub_u32_sdwa v7, v7, v29 dst_sel:DWORD dst_unused:UNUSED_PAD src0_sel:BYTE_3 src1_sel:DWORD
	v_cvt_f32_i32_e32 v10, v10
	v_cvt_f32_i32_e32 v6, v6
	;; [unrolled: 1-line block ×9, first 2 shown]
	v_cvt_f16_f32_e32 v34, v34
	v_cvt_f16_f32_e32 v10, v10
	;; [unrolled: 1-line block ×12, first 2 shown]
	v_pack_b32_f16 v8, v35, v36
	v_pack_b32_f16 v10, v34, v10
	;; [unrolled: 1-line block ×5, first 2 shown]
	v_pk_mul_f16 v0, v23, v0
	v_pk_mul_f16 v7, v21, v16
	v_pack_b32_f16 v11, v29, v30
	v_pk_mul_f16 v2, v22, v2
	v_pk_mul_f16 v29, v24, v6
	v_and_b32_e32 v6, 0xffff, v0
	v_and_b32_e32 v30, 0xffff, v7
	v_lshrrev_b32_e32 v0, 16, v0
	v_lshrrev_b32_e32 v33, 16, v7
	v_pk_mul_f16 v1, v23, v1
	v_pk_mul_f16 v31, v22, v3
	;; [unrolled: 1-line block ×8, first 2 shown]
	v_lshl_or_b32 v6, v2, 16, v6
	v_lshl_or_b32 v7, v29, 16, v30
	v_and_or_b32 v4, v2, s53, v0
	v_and_or_b32 v5, v29, s53, v33
	v_and_b32_e32 v37, 0xffff, v1
	v_and_b32_e32 v38, 0xffff, v3
	v_lshrrev_b32_e32 v35, 16, v1
	v_lshrrev_b32_e32 v36, 16, v3
	v_and_b32_e32 v33, 0xffff, v8
	v_and_b32_e32 v34, 0xffff, v9
	v_lshrrev_b32_e32 v29, 16, v8
	v_lshrrev_b32_e32 v30, 16, v9
	v_pk_mul_f16 v8, v23, v39
	v_pk_mul_f16 v9, v22, v40
	;; [unrolled: 1-line block ×4, first 2 shown]
	s_cbranch_vccnz .LBB0_24
; %bb.20:                               ;   in Loop: Header=BB0_8 Depth=1
	v_mov_b32_e32 v0, s19
	ds_read_b128 v[43:46], v0 offset:96
	ds_read_b128 v[0:3], v0 offset:112
	v_mov_b32_e32 v49, s17
	s_waitcnt lgkmcnt(1)
	v_mul_lo_u32 v43, v43, s9
	v_mul_lo_u32 v44, v44, s9
	;; [unrolled: 1-line block ×3, first 2 shown]
	s_waitcnt lgkmcnt(0)
	v_mul_lo_u32 v0, v0, s9
	v_add_u32_e32 v43, v43, v12
	v_add_u32_e32 v47, v44, v12
	v_ashrrev_i32_e32 v44, 31, v43
	v_lshlrev_b64 v[43:44], 1, v[43:44]
	v_ashrrev_i32_e32 v48, 31, v47
	v_add_co_u32_e32 v43, vcc, s16, v43
	v_addc_co_u32_e32 v44, vcc, v49, v44, vcc
	global_store_dwordx2 v[43:44], v[6:7], off
	v_lshlrev_b64 v[43:44], 1, v[47:48]
	v_add_u32_e32 v47, v45, v12
	v_mul_lo_u32 v45, v46, s9
	v_ashrrev_i32_e32 v48, 31, v47
	v_add_co_u32_e32 v43, vcc, s16, v43
	v_lshlrev_b64 v[47:48], 1, v[47:48]
	v_add_u32_e32 v45, v45, v12
	v_addc_co_u32_e32 v44, vcc, v49, v44, vcc
	v_ashrrev_i32_e32 v46, 31, v45
	v_add_co_u32_e32 v47, vcc, s16, v47
	v_lshlrev_b64 v[45:46], 1, v[45:46]
	v_addc_co_u32_e32 v48, vcc, v49, v48, vcc
	global_store_dwordx2 v[43:44], v[4:5], off
	v_lshl_or_b32 v43, v31, 16, v37
	v_lshl_or_b32 v44, v32, 16, v38
	v_add_co_u32_e32 v45, vcc, s16, v45
	global_store_dwordx2 v[47:48], v[43:44], off
	v_and_or_b32 v43, v31, s53, v35
	v_and_or_b32 v44, v32, s53, v36
	v_addc_co_u32_e32 v46, vcc, v49, v46, vcc
	global_store_dwordx2 v[45:46], v[43:44], off
	v_add_u32_e32 v45, v0, v12
	v_ashrrev_i32_e32 v46, 31, v45
	v_lshlrev_b64 v[45:46], 1, v[45:46]
	v_mul_lo_u32 v47, v1, s9
	v_add_co_u32_e32 v45, vcc, s16, v45
	v_lshl_or_b32 v43, v15, 16, v33
	v_lshl_or_b32 v44, v16, 16, v34
	v_addc_co_u32_e32 v46, vcc, v49, v46, vcc
	global_store_dwordx2 v[45:46], v[43:44], off
	v_add_u32_e32 v43, v47, v12
	v_ashrrev_i32_e32 v44, 31, v43
	v_lshlrev_b64 v[43:44], 1, v[43:44]
	v_mul_lo_u32 v2, v2, s9
	v_add_co_u32_e32 v43, vcc, s16, v43
	v_and_or_b32 v0, v15, s53, v29
	v_and_or_b32 v1, v16, s53, v30
	v_addc_co_u32_e32 v44, vcc, v49, v44, vcc
	global_store_dwordx2 v[43:44], v[0:1], off
	v_add_u32_e32 v44, v2, v12
	v_ashrrev_i32_e32 v45, 31, v44
	v_lshlrev_b64 v[44:45], 1, v[44:45]
	v_pk_mul_f16 v43, v23, v39
	v_pk_mul_f16 v39, v21, v41
	;; [unrolled: 1-line block ×4, first 2 shown]
	v_and_b32_e32 v40, 0xffff, v43
	v_and_b32_e32 v41, 0xffff, v39
	v_add_co_u32_e32 v44, vcc, s16, v44
	v_lshl_or_b32 v40, v0, 16, v40
	v_lshl_or_b32 v41, v1, 16, v41
	v_addc_co_u32_e32 v45, vcc, v49, v45, vcc
	global_store_dwordx2 v[44:45], v[40:41], off
	s_cbranch_execnz .LBB0_7
	s_branch .LBB0_25
.LBB0_21:                               ;   in Loop: Header=BB0_8 Depth=1
                                        ; implicit-def: $vgpr3
                                        ; implicit-def: $vgpr1
                                        ; implicit-def: $vgpr33
                                        ; implicit-def: $vgpr0
                                        ; implicit-def: $vgpr49
	s_branch .LBB0_12
.LBB0_22:                               ;   in Loop: Header=BB0_8 Depth=1
                                        ; implicit-def: $vgpr3
                                        ; implicit-def: $vgpr1
                                        ; implicit-def: $vgpr46
                                        ; implicit-def: $vgpr0
                                        ; implicit-def: $vgpr45
	s_branch .LBB0_15
.LBB0_23:                               ;   in Loop: Header=BB0_8 Depth=1
                                        ; implicit-def: $vgpr3
                                        ; implicit-def: $vgpr1
                                        ; implicit-def: $vgpr46
                                        ; implicit-def: $vgpr0
                                        ; implicit-def: $vgpr45
	s_branch .LBB0_18
.LBB0_24:                               ;   in Loop: Header=BB0_8 Depth=1
                                        ; implicit-def: $vgpr3
                                        ; implicit-def: $vgpr1
                                        ; implicit-def: $vgpr39
                                        ; implicit-def: $vgpr0
                                        ; implicit-def: $vgpr43
.LBB0_25:                               ;   in Loop: Header=BB0_8 Depth=1
	v_add_u32_e32 v0, s30, v17
	v_ashrrev_i32_e32 v1, 31, v0
	v_lshlrev_b64 v[0:1], 1, v[0:1]
	v_mov_b32_e32 v39, s17
	v_add_co_u32_e32 v0, vcc, s16, v0
	v_addc_co_u32_e32 v1, vcc, v39, v1, vcc
	global_store_dwordx2 v[0:1], v[6:7], off
	v_add_u32_e32 v0, s29, v17
	v_ashrrev_i32_e32 v1, 31, v0
	v_lshlrev_b64 v[0:1], 1, v[0:1]
	v_add_u32_e32 v2, s27, v17
	v_ashrrev_i32_e32 v3, 31, v2
	v_add_co_u32_e32 v0, vcc, s16, v0
	v_lshlrev_b64 v[2:3], 1, v[2:3]
	v_addc_co_u32_e32 v1, vcc, v39, v1, vcc
	v_add_co_u32_e32 v2, vcc, s16, v2
	global_store_dwordx2 v[0:1], v[4:5], off
	v_lshl_or_b32 v0, v31, 16, v37
	v_lshl_or_b32 v1, v32, 16, v38
	v_addc_co_u32_e32 v3, vcc, v39, v3, vcc
	global_store_dwordx2 v[2:3], v[0:1], off
	v_add_u32_e32 v2, s28, v17
	v_ashrrev_i32_e32 v3, 31, v2
	v_lshlrev_b64 v[2:3], 1, v[2:3]
	v_and_or_b32 v0, v31, s53, v35
	v_add_co_u32_e32 v2, vcc, s16, v2
	v_and_or_b32 v1, v32, s53, v36
	v_addc_co_u32_e32 v3, vcc, v39, v3, vcc
	global_store_dwordx2 v[2:3], v[0:1], off
	v_add_u32_e32 v2, s25, v17
	v_ashrrev_i32_e32 v3, 31, v2
	v_lshlrev_b64 v[2:3], 1, v[2:3]
	v_lshl_or_b32 v0, v15, 16, v33
	v_add_co_u32_e32 v2, vcc, s16, v2
	v_lshl_or_b32 v1, v16, 16, v34
	v_addc_co_u32_e32 v3, vcc, v39, v3, vcc
	global_store_dwordx2 v[2:3], v[0:1], off
	v_add_u32_e32 v2, s26, v17
	v_ashrrev_i32_e32 v3, 31, v2
	v_lshlrev_b64 v[2:3], 1, v[2:3]
	v_and_or_b32 v0, v15, s53, v29
	v_add_co_u32_e32 v2, vcc, s16, v2
	v_and_or_b32 v1, v16, s53, v30
	v_addc_co_u32_e32 v3, vcc, v39, v3, vcc
	global_store_dwordx2 v[2:3], v[0:1], off
	v_add_u32_e32 v2, s24, v17
	v_ashrrev_i32_e32 v3, 31, v2
	v_lshlrev_b64 v[2:3], 1, v[2:3]
	v_and_b32_e32 v0, 0xffff, v8
	v_and_b32_e32 v1, 0xffff, v10
	v_add_co_u32_e32 v2, vcc, s16, v2
	v_lshl_or_b32 v0, v9, 16, v0
	v_lshl_or_b32 v1, v11, 16, v1
	v_addc_co_u32_e32 v3, vcc, v39, v3, vcc
	s_add_i32 s0, s18, 31
	global_store_dwordx2 v[2:3], v[0:1], off
	v_mov_b32_e32 v3, s0
	v_mov_b32_e32 v43, v8
	;; [unrolled: 1-line block ×5, first 2 shown]
	s_branch .LBB0_7
.LBB0_26:
	s_endpgm
	.section	.rodata,"a",@progbits
	.p2align	6, 0x0
	.amdhsa_kernel _ZN4vllm4gptq31reconstruct_exllama_8bit_kernelEPKjPKiS2_PK6__halfiiibPS5_
		.amdhsa_group_segment_fixed_size 512
		.amdhsa_private_segment_fixed_size 0
		.amdhsa_kernarg_size 56
		.amdhsa_user_sgpr_count 6
		.amdhsa_user_sgpr_private_segment_buffer 1
		.amdhsa_user_sgpr_dispatch_ptr 0
		.amdhsa_user_sgpr_queue_ptr 0
		.amdhsa_user_sgpr_kernarg_segment_ptr 1
		.amdhsa_user_sgpr_dispatch_id 0
		.amdhsa_user_sgpr_flat_scratch_init 0
		.amdhsa_user_sgpr_private_segment_size 0
		.amdhsa_uses_dynamic_stack 0
		.amdhsa_system_sgpr_private_segment_wavefront_offset 0
		.amdhsa_system_sgpr_workgroup_id_x 1
		.amdhsa_system_sgpr_workgroup_id_y 1
		.amdhsa_system_sgpr_workgroup_id_z 0
		.amdhsa_system_sgpr_workgroup_info 0
		.amdhsa_system_vgpr_workitem_id 0
		.amdhsa_next_free_vgpr 56
		.amdhsa_next_free_sgpr 54
		.amdhsa_reserve_vcc 1
		.amdhsa_reserve_flat_scratch 0
		.amdhsa_float_round_mode_32 0
		.amdhsa_float_round_mode_16_64 0
		.amdhsa_float_denorm_mode_32 3
		.amdhsa_float_denorm_mode_16_64 3
		.amdhsa_dx10_clamp 1
		.amdhsa_ieee_mode 1
		.amdhsa_fp16_overflow 0
		.amdhsa_exception_fp_ieee_invalid_op 0
		.amdhsa_exception_fp_denorm_src 0
		.amdhsa_exception_fp_ieee_div_zero 0
		.amdhsa_exception_fp_ieee_overflow 0
		.amdhsa_exception_fp_ieee_underflow 0
		.amdhsa_exception_fp_ieee_inexact 0
		.amdhsa_exception_int_div_zero 0
	.end_amdhsa_kernel
	.text
.Lfunc_end0:
	.size	_ZN4vllm4gptq31reconstruct_exllama_8bit_kernelEPKjPKiS2_PK6__halfiiibPS5_, .Lfunc_end0-_ZN4vllm4gptq31reconstruct_exllama_8bit_kernelEPKjPKiS2_PK6__halfiiibPS5_
                                        ; -- End function
	.set _ZN4vllm4gptq31reconstruct_exllama_8bit_kernelEPKjPKiS2_PK6__halfiiibPS5_.num_vgpr, 56
	.set _ZN4vllm4gptq31reconstruct_exllama_8bit_kernelEPKjPKiS2_PK6__halfiiibPS5_.num_agpr, 0
	.set _ZN4vllm4gptq31reconstruct_exllama_8bit_kernelEPKjPKiS2_PK6__halfiiibPS5_.numbered_sgpr, 54
	.set _ZN4vllm4gptq31reconstruct_exllama_8bit_kernelEPKjPKiS2_PK6__halfiiibPS5_.num_named_barrier, 0
	.set _ZN4vllm4gptq31reconstruct_exllama_8bit_kernelEPKjPKiS2_PK6__halfiiibPS5_.private_seg_size, 0
	.set _ZN4vllm4gptq31reconstruct_exllama_8bit_kernelEPKjPKiS2_PK6__halfiiibPS5_.uses_vcc, 1
	.set _ZN4vllm4gptq31reconstruct_exllama_8bit_kernelEPKjPKiS2_PK6__halfiiibPS5_.uses_flat_scratch, 0
	.set _ZN4vllm4gptq31reconstruct_exllama_8bit_kernelEPKjPKiS2_PK6__halfiiibPS5_.has_dyn_sized_stack, 0
	.set _ZN4vllm4gptq31reconstruct_exllama_8bit_kernelEPKjPKiS2_PK6__halfiiibPS5_.has_recursion, 0
	.set _ZN4vllm4gptq31reconstruct_exllama_8bit_kernelEPKjPKiS2_PK6__halfiiibPS5_.has_indirect_call, 0
	.section	.AMDGPU.csdata,"",@progbits
; Kernel info:
; codeLenInByte = 8544
; TotalNumSgprs: 58
; NumVgprs: 56
; ScratchSize: 0
; MemoryBound: 0
; FloatMode: 240
; IeeeMode: 1
; LDSByteSize: 512 bytes/workgroup (compile time only)
; SGPRBlocks: 7
; VGPRBlocks: 13
; NumSGPRsForWavesPerEU: 58
; NumVGPRsForWavesPerEU: 56
; Occupancy: 4
; WaveLimiterHint : 0
; COMPUTE_PGM_RSRC2:SCRATCH_EN: 0
; COMPUTE_PGM_RSRC2:USER_SGPR: 6
; COMPUTE_PGM_RSRC2:TRAP_HANDLER: 0
; COMPUTE_PGM_RSRC2:TGID_X_EN: 1
; COMPUTE_PGM_RSRC2:TGID_Y_EN: 1
; COMPUTE_PGM_RSRC2:TGID_Z_EN: 0
; COMPUTE_PGM_RSRC2:TIDIG_COMP_CNT: 0
	.text
	.protected	_ZN4vllm4gptq31reconstruct_exllama_4bit_kernelEPKjPKiS2_PK6__halfiiibPS5_ ; -- Begin function _ZN4vllm4gptq31reconstruct_exllama_4bit_kernelEPKjPKiS2_PK6__halfiiibPS5_
	.globl	_ZN4vllm4gptq31reconstruct_exllama_4bit_kernelEPKjPKiS2_PK6__halfiiibPS5_
	.p2align	8
	.type	_ZN4vllm4gptq31reconstruct_exllama_4bit_kernelEPKjPKiS2_PK6__halfiiibPS5_,@function
_ZN4vllm4gptq31reconstruct_exllama_4bit_kernelEPKjPKiS2_PK6__halfiiibPS5_: ; @_ZN4vllm4gptq31reconstruct_exllama_4bit_kernelEPKjPKiS2_PK6__halfiiibPS5_
; %bb.0:
	s_load_dwordx2 s[0:1], s[4:5], 0x8
	s_load_dwordx4 s[8:11], s[4:5], 0x20
	s_lshl_b32 s18, s7, 7
	s_waitcnt lgkmcnt(0)
	s_cmp_lg_u64 s[0:1], 0
	s_cselect_b64 s[16:17], -1, 0
	s_cmp_eq_u64 s[0:1], 0
	s_cbranch_scc1 .LBB1_4
; %bb.1:
	v_add_u32_e32 v1, s18, v0
	v_cmp_gt_u32_e32 vcc, s8, v1
	s_and_saveexec_b64 s[2:3], vcc
	s_cbranch_execz .LBB1_3
; %bb.2:
	v_mov_b32_e32 v2, 0
	v_lshlrev_b64 v[1:2], 2, v[1:2]
	v_mov_b32_e32 v3, s1
	v_add_co_u32_e32 v1, vcc, s0, v1
	v_addc_co_u32_e32 v2, vcc, v3, v2, vcc
	global_load_dword v1, v[1:2], off
	v_lshlrev_b32_e32 v2, 2, v0
	s_waitcnt vmcnt(0)
	ds_write_b32 v2, v1
.LBB1_3:
	s_or_b64 exec, exec, s[2:3]
.LBB1_4:
	s_lshl_b32 s2, s6, 9
	v_lshlrev_b32_e32 v13, 2, v0
	v_add_u32_e32 v4, s2, v13
	v_cmp_gt_i32_e32 vcc, s9, v4
	s_and_saveexec_b64 s[0:1], vcc
	s_cbranch_execz .LBB1_26
; %bb.5:
	s_abs_i32 s0, s10
	v_cvt_f32_u32_e32 v3, s0
	s_add_i32 s1, s18, 0x80
	s_xor_b32 s3, s8, s10
	v_cvt_f64_i32_e32 v[1:2], s8
	v_rcp_iflag_f32_e32 v3, v3
	s_abs_i32 s6, s8
	v_cvt_f64_u32_e32 v[5:6], s1
	s_ashr_i32 s1, s3, 31
	v_mul_f32_e32 v3, 0x4f7ffffe, v3
	v_cvt_u32_f32_e32 v3, v3
	s_sub_i32 s3, 0, s0
	v_min_f64 v[1:2], v[5:6], v[1:2]
	s_mov_b32 s19, 0
	v_readfirstlane_b32 s8, v3
	s_mul_i32 s3, s3, s8
	s_mul_hi_u32 s3, s8, s3
	s_add_i32 s8, s8, s3
	s_mul_hi_u32 s3, s6, s8
	s_mul_i32 s8, s3, s0
	s_sub_i32 s6, s6, s8
	s_add_i32 s10, s3, 1
	s_sub_i32 s8, s6, s0
	s_cmp_ge_u32 s6, s0
	s_cselect_b32 s3, s10, s3
	s_cselect_b32 s6, s8, s6
	s_add_i32 s8, s3, 1
	s_cmp_ge_u32 s6, s0
	s_cselect_b32 s0, s8, s3
	s_xor_b32 s0, s0, s1
	s_sub_i32 s8, s0, s1
	v_cvt_f32_u32_e32 v3, s8
	v_cvt_i32_f64_e32 v14, v[1:2]
	s_waitcnt lgkmcnt(0)
	s_barrier
	v_rcp_iflag_f32_e32 v3, v3
	v_cmp_ge_i32_e32 vcc, s18, v14
	v_mul_f32_e32 v1, 0x4f7ffffe, v3
	v_cvt_u32_f32_e32 v1, v1
	v_readfirstlane_b32 s0, v1
	s_cbranch_vccnz .LBB1_26
; %bb.6:
	s_sub_i32 s1, 0, s8
	s_mul_i32 s1, s1, s0
	s_mul_hi_u32 s1, s0, s1
	s_add_i32 s0, s0, s1
	s_mul_hi_u32 s0, s18, s0
	s_mul_i32 s1, s0, s8
	s_sub_i32 s1, s18, s1
	s_add_i32 s3, s0, 1
	s_sub_i32 s6, s1, s8
	s_cmp_ge_u32 s1, s8
	s_cselect_b32 s0, s3, s0
	s_cselect_b32 s1, s6, s1
	s_add_i32 s3, s0, 1
	s_cmp_ge_u32 s1, s8
	s_cselect_b32 s20, s3, s0
	s_mul_i32 s0, s20, s9
	s_ashr_i32 s1, s0, 31
	v_ashrrev_i32_e32 v5, 31, v4
	s_load_dwordx4 s[12:15], s[4:5], 0x10
	s_load_dwordx2 s[22:23], s[4:5], 0x0
	s_lshr_b32 s1, s1, 29
	v_lshrrev_b32_e32 v1, 29, v5
	s_add_i32 s1, s0, s1
	v_add_u32_e32 v1, v4, v1
	v_add_u32_e32 v6, s0, v4
	s_ashr_i32 s1, s1, 3
	v_ashrrev_i32_e32 v15, 3, v1
	v_ashrrev_i32_e32 v7, 31, v6
	v_add_u32_e32 v1, s1, v15
	v_lshlrev_b64 v[6:7], 1, v[6:7]
	v_ashrrev_i32_e32 v2, 31, v1
	v_lshlrev_b64 v[1:2], 2, v[1:2]
	s_waitcnt lgkmcnt(0)
	v_mov_b32_e32 v8, s15
	v_add_co_u32_e32 v6, vcc, s14, v6
	v_addc_co_u32_e32 v7, vcc, v8, v7, vcc
	v_mov_b32_e32 v3, s13
	v_add_co_u32_e32 v1, vcc, s12, v1
	v_addc_co_u32_e32 v2, vcc, v3, v2, vcc
	global_load_dword v2, v[1:2], off
	s_bitcmp1_b32 s11, 0
	global_load_dwordx2 v[7:8], v[6:7], off
	s_cselect_b64 s[10:11], -1, 0
	s_lshr_b32 s1, s18, 3
	s_xor_b64 s[10:11], s[10:11], -1
	v_cndmask_b32_e64 v18, 0, 1, s[10:11]
	s_mul_i32 s10, s9, s1
	s_ashr_i32 s11, s10, 31
	s_lshl_b64 s[10:11], s[10:11], 2
	v_lshlrev_b32_e32 v3, 4, v0
	v_lshlrev_b64 v[0:1], 2, v[4:5]
	s_add_u32 s3, s22, s10
	s_addc_u32 s6, s23, s11
	s_add_i32 s27, s18, 26
	v_add_co_u32_e32 v5, vcc, s3, v0
	s_mul_i32 s3, s9, s27
	s_add_i32 s27, s3, s2
	s_add_i32 s3, s18, 27
	s_mul_i32 s3, s9, s3
	s_add_i32 s28, s3, s2
	s_add_i32 s3, s18, 25
	;; [unrolled: 3-line block ×19, first 2 shown]
	s_mul_i32 s3, s9, s3
	v_and_b32_e32 v17, 16, v3
	v_mov_b32_e32 v6, s6
	s_add_i32 s47, s3, s2
	s_add_i32 s3, s18, 5
	v_addc_co_u32_e32 v6, vcc, v6, v1, vcc
	s_waitcnt vmcnt(1)
	v_lshrrev_b32_e32 v0, v3, v2
	v_bfe_u32 v1, v2, v17, 4
	v_bfe_u32 v2, v0, 12, 4
	;; [unrolled: 1-line block ×4, first 2 shown]
	s_mul_i32 s3, s9, s3
	s_mov_b32 s21, 0x10001
	v_mov_b32_e32 v16, 0xe400e400
	v_add_u32_e32 v1, v1, v18
	v_add_u32_e32 v2, v2, v18
	;; [unrolled: 1-line block ×4, first 2 shown]
	s_add_i32 s48, s3, s2
	s_add_i32 s3, s18, 2
	s_waitcnt vmcnt(0)
	v_mul_u32_u24_sdwa v21, v7, s21 dst_sel:DWORD dst_unused:UNUSED_PAD src0_sel:WORD_1 src1_sel:DWORD
	v_mul_u32_u24_sdwa v22, v7, s21 dst_sel:DWORD dst_unused:UNUSED_PAD src0_sel:WORD_0 src1_sel:DWORD
	v_cvt_f32_ubyte0_e32 v7, v1
	v_mad_u32_u24 v23, v1, s21, v16
	v_cvt_f32_ubyte0_e32 v1, v2
	v_mad_u32_u24 v26, v2, s21, v16
	;; [unrolled: 2-line block ×3, first 2 shown]
	v_cvt_f32_ubyte0_e32 v3, v0
	s_mul_i32 s3, s9, s3
	v_mad_u32_u24 v24, v0, s21, v16
	v_cvt_f16_f32_e32 v0, v7
	v_cvt_f16_f32_e32 v1, v1
	;; [unrolled: 1-line block ×4, first 2 shown]
	s_add_i32 s49, s3, s2
	s_add_i32 s3, s18, 3
	s_load_dwordx2 s[4:5], s[4:5], 0x30
	s_mul_i32 s3, s9, s3
	s_mul_i32 s7, s7, s9
	s_add_i32 s50, s3, s2
	s_lshl_b32 s3, s7, 7
	s_add_i32 s24, s18, 30
	s_add_i32 s25, s18, 28
	;; [unrolled: 1-line block ×5, first 2 shown]
	s_mov_b32 s0, s9
	s_ashr_i32 s1, s9, 31
	s_mul_i32 s6, s9, s24
	s_mul_i32 s25, s9, s25
	;; [unrolled: 1-line block ×3, first 2 shown]
	v_sub_f16_e32 v0, 0xd400, v0
	v_sub_f16_e32 v1, 0xd400, v1
	v_sub_f16_e32 v2, 0xd400, v2
	v_sub_f16_e32 v3, 0xd400, v3
	s_mul_i32 s3, s9, s3
	s_add_i32 s22, s8, s18
	s_lshl_b32 s23, s9, 5
	s_lshl_b64 s[10:11], s[0:1], 4
	s_add_i32 s24, s6, s2
	s_add_i32 s25, s25, s2
	;; [unrolled: 1-line block ×3, first 2 shown]
	v_mul_u32_u24_sdwa v19, v8, s21 dst_sel:DWORD dst_unused:UNUSED_PAD src0_sel:WORD_1 src1_sel:DWORD
	v_mul_u32_u24_sdwa v20, v8, s21 dst_sel:DWORD dst_unused:UNUSED_PAD src0_sel:WORD_0 src1_sel:DWORD
	v_mul_u32_u24_e32 v27, 0x10001, v0
	v_mul_u32_u24_e32 v30, 0x10001, v1
	;; [unrolled: 1-line block ×4, first 2 shown]
	s_add_i32 s52, s3, s2
	s_lshl_b64 s[6:7], s[0:1], 2
	s_movk_i32 s53, 0x2c00
	s_mov_b32 s54, 0xffff0000
	s_branch .LBB1_8
.LBB1_7:                                ;   in Loop: Header=BB1_8 Depth=1
	v_mul_lo_u32 v3, v3, s9
	v_lshrrev_b32_e32 v2, 16, v49
	v_and_or_b32 v0, v0, s54, v2
	v_lshrrev_b32_e32 v7, 16, v45
	v_add_u32_e32 v2, v3, v4
	v_ashrrev_i32_e32 v3, 31, v2
	v_lshlrev_b64 v[2:3], 1, v[2:3]
	v_and_or_b32 v1, v1, s54, v7
	v_mov_b32_e32 v7, s5
	v_add_co_u32_e32 v2, vcc, s4, v2
	v_addc_co_u32_e32 v3, vcc, v7, v3, vcc
	global_store_dwordx2 v[2:3], v[0:1], off
	v_mov_b32_e32 v0, s11
	v_add_co_u32_e32 v5, vcc, s10, v5
	s_add_i32 s18, s18, 32
	v_addc_co_u32_e32 v6, vcc, v6, v0, vcc
	v_cmp_lt_i32_e32 vcc, s18, v14
	s_addk_i32 s19, 0x80
	s_add_i32 s24, s24, s23
	s_add_i32 s25, s25, s23
	;; [unrolled: 1-line block ×28, first 2 shown]
	s_cbranch_vccz .LBB1_26
.LBB1_8:                                ; =>This Inner Loop Header: Depth=1
	s_cmp_lg_u32 s18, s22
	s_cbranch_scc1 .LBB1_10
; %bb.9:                                ;   in Loop: Header=BB1_8 Depth=1
	s_add_i32 s20, s20, 1
	s_mul_i32 s0, s20, s9
	s_ashr_i32 s1, s0, 31
	s_lshr_b32 s1, s1, 29
	s_add_i32 s1, s0, s1
	v_add_u32_e32 v2, s0, v4
	s_ashr_i32 s1, s1, 3
	v_ashrrev_i32_e32 v3, 31, v2
	v_add_u32_e32 v0, s1, v15
	v_lshlrev_b64 v[2:3], 1, v[2:3]
	v_ashrrev_i32_e32 v1, 31, v0
	v_lshlrev_b64 v[0:1], 2, v[0:1]
	v_mov_b32_e32 v8, s15
	v_add_co_u32_e32 v2, vcc, s14, v2
	v_addc_co_u32_e32 v3, vcc, v8, v3, vcc
	v_mov_b32_e32 v7, s13
	v_add_co_u32_e32 v0, vcc, s12, v0
	v_addc_co_u32_e32 v1, vcc, v7, v1, vcc
	global_load_dword v0, v[0:1], off
	s_add_i32 s22, s22, s8
	global_load_dwordx2 v[2:3], v[2:3], off
	s_waitcnt vmcnt(1)
	v_lshrrev_b32_e32 v1, v17, v0
	v_bfe_u32 v0, v0, v17, 4
	s_waitcnt vmcnt(0)
	v_mul_u32_u24_sdwa v22, v2, s21 dst_sel:DWORD dst_unused:UNUSED_PAD src0_sel:WORD_0 src1_sel:DWORD
	v_mul_u32_u24_sdwa v21, v2, s21 dst_sel:DWORD dst_unused:UNUSED_PAD src0_sel:WORD_1 src1_sel:DWORD
	v_mul_u32_u24_sdwa v20, v3, s21 dst_sel:DWORD dst_unused:UNUSED_PAD src0_sel:WORD_0 src1_sel:DWORD
	v_mul_u32_u24_sdwa v19, v3, s21 dst_sel:DWORD dst_unused:UNUSED_PAD src0_sel:WORD_1 src1_sel:DWORD
	v_bfe_u32 v2, v1, 4, 4
	v_bfe_u32 v3, v1, 8, 4
	;; [unrolled: 1-line block ×3, first 2 shown]
	v_add_u32_e32 v0, v0, v18
	v_cvt_f32_ubyte0_e32 v7, v0
	v_mad_u32_u24 v23, v0, s21, v16
	v_add_u32_e32 v0, v2, v18
	v_add_u32_e32 v2, v3, v18
	v_add_u32_e32 v1, v1, v18
	v_cvt_f16_f32_e32 v3, v7
	v_cvt_f32_ubyte0_e32 v7, v0
	v_mad_u32_u24 v24, v0, s21, v16
	v_cvt_f32_ubyte0_e32 v0, v2
	v_mad_u32_u24 v25, v2, s21, v16
	;; [unrolled: 2-line block ×3, first 2 shown]
	v_cvt_f16_f32_e32 v1, v7
	v_cvt_f16_f32_e32 v0, v0
	;; [unrolled: 1-line block ×3, first 2 shown]
	v_sub_f16_e32 v3, 0xd400, v3
	v_sub_f16_e32 v1, 0xd400, v1
	;; [unrolled: 1-line block ×4, first 2 shown]
	v_mul_u32_u24_e32 v27, 0x10001, v3
	v_mul_u32_u24_e32 v28, 0x10001, v1
	;; [unrolled: 1-line block ×4, first 2 shown]
.LBB1_10:                               ;   in Loop: Header=BB1_8 Depth=1
	global_load_dwordx4 v[0:3], v[5:6], off
	v_cndmask_b32_e64 v7, 0, 1, s[16:17]
	v_cmp_ne_u32_e64 s[0:1], 1, v7
	s_andn2_b64 vcc, exec, s[16:17]
	s_waitcnt vmcnt(0)
	v_and_b32_e32 v7, 0xf000f, v0
	v_and_b32_e32 v8, 0xf000f0, v0
	v_lshrrev_b32_e32 v0, 8, v0
	v_and_b32_e32 v9, 0xf000f, v1
	v_and_b32_e32 v10, 0xf000f0, v1
	v_lshrrev_b32_e32 v1, 8, v1
	;; [unrolled: 3-line block ×4, first 2 shown]
	v_or_b32_e32 v7, 0x64006400, v7
	v_or_b32_e32 v9, 0x64006400, v9
	;; [unrolled: 1-line block ×3, first 2 shown]
	v_and_b32_e32 v33, 0xf000f, v0
	v_and_b32_e32 v0, 0xf000f0, v0
	v_and_b32_e32 v34, 0xf000f, v1
	v_and_b32_e32 v1, 0xf000f0, v1
	v_and_b32_e32 v35, 0xf000f, v2
	v_or_b32_e32 v31, 0x64006400, v31
	v_or_b32_e32 v8, 0x64006400, v8
	;; [unrolled: 1-line block ×4, first 2 shown]
	v_and_b32_e32 v2, 0xf000f0, v2
	v_or_b32_e32 v32, 0x64006400, v32
	v_and_b32_e32 v36, 0xf000f, v3
	v_and_b32_e32 v3, 0xf000f0, v3
	v_pk_add_f16 v7, v23, v7
	v_pk_add_f16 v9, v24, v9
	;; [unrolled: 1-line block ×3, first 2 shown]
	v_or_b32_e32 v33, 0x64006400, v33
	v_or_b32_e32 v0, 0x64006400, v0
	;; [unrolled: 1-line block ×5, first 2 shown]
	v_pk_add_f16 v31, v26, v31
	v_pk_fma_f16 v8, v8, s53, v27 op_sel_hi:[1,0,1]
	v_pk_fma_f16 v10, v10, s53, v28 op_sel_hi:[1,0,1]
	v_or_b32_e32 v2, 0x64006400, v2
	v_pk_fma_f16 v12, v12, s53, v29 op_sel_hi:[1,0,1]
	v_or_b32_e32 v36, 0x64006400, v36
	v_or_b32_e32 v3, 0x64006400, v3
	v_pk_fma_f16 v32, v32, s53, v30 op_sel_hi:[1,0,1]
	v_pk_mul_f16 v7, v22, v7
	v_pk_mul_f16 v39, v21, v9
	;; [unrolled: 1-line block ×3, first 2 shown]
	v_pk_add_f16 v11, v23, v33
	v_pk_fma_f16 v45, v0, s53, v27 op_sel_hi:[1,0,1]
	v_pk_add_f16 v0, v24, v34
	v_pk_fma_f16 v46, v1, s53, v28 op_sel_hi:[1,0,1]
	v_pk_add_f16 v1, v25, v35
	v_pk_mul_f16 v31, v19, v31
	v_pk_fma_f16 v47, v2, s53, v29 op_sel_hi:[1,0,1]
	v_pk_add_f16 v2, v26, v36
	v_pk_fma_f16 v48, v3, s53, v30 op_sel_hi:[1,0,1]
	v_pk_mul_f16 v3, v22, v8
	v_pk_mul_f16 v37, v21, v10
	;; [unrolled: 1-line block ×4, first 2 shown]
	v_and_b32_e32 v10, 0xffff, v7
	v_and_b32_e32 v32, 0xffff, v9
	v_lshrrev_b32_e32 v7, 16, v7
	v_lshrrev_b32_e32 v35, 16, v9
	v_pk_mul_f16 v36, v22, v11
	v_pk_mul_f16 v33, v21, v0
	;; [unrolled: 1-line block ×4, first 2 shown]
	v_and_b32_e32 v43, 0xffff, v3
	v_lshrrev_b32_e32 v41, 16, v3
	v_and_b32_e32 v44, 0xffff, v8
	v_lshrrev_b32_e32 v42, 16, v8
	v_pk_mul_f16 v11, v22, v45
	v_pk_mul_f16 v12, v21, v46
	v_lshl_or_b32 v9, v39, 16, v10
	v_lshl_or_b32 v10, v31, 16, v32
	v_and_or_b32 v7, v39, s54, v7
	v_and_or_b32 v8, v31, s54, v35
	v_and_b32_e32 v39, 0xffff, v36
	v_lshrrev_b32_e32 v35, 16, v36
	v_and_b32_e32 v40, 0xffff, v0
	v_lshrrev_b32_e32 v36, 16, v0
	v_pk_mul_f16 v31, v20, v47
	v_pk_mul_f16 v32, v19, v48
	s_cbranch_vccnz .LBB1_21
; %bb.11:                               ;   in Loop: Header=BB1_8 Depth=1
	v_mov_b32_e32 v0, s19
	ds_read_b128 v[49:52], v0
	ds_read_b128 v[0:3], v0 offset:16
	s_waitcnt lgkmcnt(0)
	v_mov_b32_e32 v54, s5
	v_mov_b32_e32 v55, s5
	v_pk_mul_f16 v45, v22, v45
	v_mul_lo_u32 v49, v49, s9
	v_mul_lo_u32 v50, v50, s9
	v_mul_lo_u32 v51, v51, s9
	v_mul_lo_u32 v0, v0, s9
	v_add_u32_e32 v49, v49, v4
	v_add_u32_e32 v53, v50, v4
	v_ashrrev_i32_e32 v50, 31, v49
	v_lshlrev_b64 v[49:50], 1, v[49:50]
	v_mul_lo_u32 v2, v2, s9
	v_add_co_u32_e32 v49, vcc, s4, v49
	v_addc_co_u32_e32 v50, vcc, v54, v50, vcc
	v_ashrrev_i32_e32 v54, 31, v53
	v_lshlrev_b64 v[53:54], 1, v[53:54]
	global_store_dwordx2 v[49:50], v[9:10], off
	v_add_co_u32_e32 v49, vcc, s4, v53
	v_addc_co_u32_e32 v50, vcc, v55, v54, vcc
	global_store_dwordx2 v[49:50], v[7:8], off
	v_add_u32_e32 v49, v51, v4
	v_ashrrev_i32_e32 v50, 31, v49
	v_lshlrev_b64 v[49:50], 1, v[49:50]
	v_mul_lo_u32 v53, v52, s9
	v_mov_b32_e32 v51, s5
	v_add_co_u32_e32 v49, vcc, s4, v49
	v_addc_co_u32_e32 v50, vcc, v51, v50, vcc
	v_lshl_or_b32 v51, v37, 16, v43
	v_lshl_or_b32 v52, v38, 16, v44
	global_store_dwordx2 v[49:50], v[51:52], off
	v_add_u32_e32 v51, v53, v4
	v_ashrrev_i32_e32 v52, 31, v51
	v_lshlrev_b64 v[51:52], 1, v[51:52]
	v_mov_b32_e32 v53, s5
	v_add_co_u32_e32 v51, vcc, s4, v51
	v_and_or_b32 v49, v37, s54, v41
	v_and_or_b32 v50, v38, s54, v42
	v_addc_co_u32_e32 v52, vcc, v53, v52, vcc
	global_store_dwordx2 v[51:52], v[49:50], off
	v_add_u32_e32 v51, v0, v4
	v_ashrrev_i32_e32 v52, 31, v51
	v_lshlrev_b64 v[51:52], 1, v[51:52]
	v_mul_lo_u32 v53, v1, s9
	v_mov_b32_e32 v0, s5
	v_add_co_u32_e32 v51, vcc, s4, v51
	v_lshl_or_b32 v49, v33, 16, v39
	v_lshl_or_b32 v50, v34, 16, v40
	v_addc_co_u32_e32 v52, vcc, v0, v52, vcc
	global_store_dwordx2 v[51:52], v[49:50], off
	v_add_u32_e32 v49, v53, v4
	v_ashrrev_i32_e32 v50, 31, v49
	v_lshlrev_b64 v[49:50], 1, v[49:50]
	v_mov_b32_e32 v51, s5
	v_add_co_u32_e32 v49, vcc, s4, v49
	v_and_or_b32 v0, v33, s54, v35
	v_and_or_b32 v1, v34, s54, v36
	v_addc_co_u32_e32 v50, vcc, v51, v50, vcc
	global_store_dwordx2 v[49:50], v[0:1], off
	v_add_u32_e32 v49, v2, v4
	v_ashrrev_i32_e32 v50, 31, v49
	v_lshlrev_b64 v[49:50], 1, v[49:50]
	v_pk_mul_f16 v0, v21, v46
	v_pk_mul_f16 v46, v20, v47
	;; [unrolled: 1-line block ×3, first 2 shown]
	v_and_b32_e32 v47, 0xffff, v45
	v_and_b32_e32 v48, 0xffff, v46
	v_mov_b32_e32 v2, s5
	v_add_co_u32_e32 v49, vcc, s4, v49
	v_lshl_or_b32 v47, v0, 16, v47
	v_lshl_or_b32 v48, v1, 16, v48
	v_addc_co_u32_e32 v50, vcc, v2, v50, vcc
	global_store_dwordx2 v[49:50], v[47:48], off
	s_cbranch_execnz .LBB1_13
.LBB1_12:                               ;   in Loop: Header=BB1_8 Depth=1
	v_add_u32_e32 v0, s51, v13
	v_ashrrev_i32_e32 v1, 31, v0
	v_lshlrev_b64 v[0:1], 1, v[0:1]
	s_waitcnt lgkmcnt(0)
	v_mov_b32_e32 v2, s5
	v_add_co_u32_e32 v0, vcc, s4, v0
	v_addc_co_u32_e32 v1, vcc, v2, v1, vcc
	global_store_dwordx2 v[0:1], v[9:10], off
	v_add_u32_e32 v0, s52, v13
	v_ashrrev_i32_e32 v1, 31, v0
	v_lshlrev_b64 v[0:1], 1, v[0:1]
	s_add_i32 s2, s18, 7
	v_add_co_u32_e32 v0, vcc, s4, v0
	v_addc_co_u32_e32 v1, vcc, v2, v1, vcc
	v_add_u32_e32 v2, s49, v13
	v_ashrrev_i32_e32 v3, 31, v2
	v_lshlrev_b64 v[2:3], 1, v[2:3]
	global_store_dwordx2 v[0:1], v[7:8], off
	v_mov_b32_e32 v7, s5
	v_add_co_u32_e32 v2, vcc, s4, v2
	v_lshl_or_b32 v0, v37, 16, v43
	v_lshl_or_b32 v1, v38, 16, v44
	v_addc_co_u32_e32 v3, vcc, v7, v3, vcc
	global_store_dwordx2 v[2:3], v[0:1], off
	v_add_u32_e32 v2, s50, v13
	v_ashrrev_i32_e32 v3, 31, v2
	v_lshlrev_b64 v[2:3], 1, v[2:3]
	v_and_or_b32 v0, v37, s54, v41
	v_add_co_u32_e32 v2, vcc, s4, v2
	v_and_or_b32 v1, v38, s54, v42
	v_addc_co_u32_e32 v3, vcc, v7, v3, vcc
	global_store_dwordx2 v[2:3], v[0:1], off
	v_add_u32_e32 v2, s47, v13
	v_ashrrev_i32_e32 v3, 31, v2
	v_lshlrev_b64 v[2:3], 1, v[2:3]
	v_lshl_or_b32 v0, v33, 16, v39
	v_add_co_u32_e32 v2, vcc, s4, v2
	v_lshl_or_b32 v1, v34, 16, v40
	v_addc_co_u32_e32 v3, vcc, v7, v3, vcc
	global_store_dwordx2 v[2:3], v[0:1], off
	v_add_u32_e32 v2, s48, v13
	v_ashrrev_i32_e32 v3, 31, v2
	v_lshlrev_b64 v[2:3], 1, v[2:3]
	v_and_or_b32 v0, v33, s54, v35
	v_add_co_u32_e32 v2, vcc, s4, v2
	v_and_or_b32 v1, v34, s54, v36
	v_addc_co_u32_e32 v3, vcc, v7, v3, vcc
	global_store_dwordx2 v[2:3], v[0:1], off
	v_add_u32_e32 v2, s46, v13
	v_ashrrev_i32_e32 v3, 31, v2
	v_lshlrev_b64 v[2:3], 1, v[2:3]
	v_and_b32_e32 v0, 0xffff, v11
	v_and_b32_e32 v1, 0xffff, v31
	v_add_co_u32_e32 v2, vcc, s4, v2
	v_lshl_or_b32 v0, v12, 16, v0
	v_lshl_or_b32 v1, v32, 16, v1
	v_addc_co_u32_e32 v3, vcc, v7, v3, vcc
	global_store_dwordx2 v[2:3], v[0:1], off
	v_mov_b32_e32 v3, s2
	v_mov_b32_e32 v45, v11
	;; [unrolled: 1-line block ×5, first 2 shown]
.LBB1_13:                               ;   in Loop: Header=BB1_8 Depth=1
	v_mov_b32_e32 v2, s7
	v_add_co_u32_e32 v7, vcc, s6, v5
	v_addc_co_u32_e32 v8, vcc, v6, v2, vcc
	global_load_dwordx4 v[9:12], v[7:8], off
	v_mul_lo_u32 v3, v3, s9
	v_lshrrev_b32_e32 v2, 16, v45
	v_and_or_b32 v0, v0, s54, v2
	v_lshrrev_b32_e32 v31, 16, v46
	v_add_u32_e32 v2, v3, v4
	v_ashrrev_i32_e32 v3, 31, v2
	v_lshlrev_b64 v[2:3], 1, v[2:3]
	s_waitcnt lgkmcnt(0)
	v_mov_b32_e32 v32, s5
	v_add_co_u32_e64 v2, s[2:3], s4, v2
	v_and_or_b32 v1, v1, s54, v31
	v_addc_co_u32_e64 v3, s[2:3], v32, v3, s[2:3]
	global_store_dwordx2 v[2:3], v[0:1], off
	s_and_b64 vcc, exec, s[0:1]
	s_waitcnt vmcnt(1)
	v_and_b32_e32 v0, 0xf000f, v9
	v_and_b32_e32 v1, 0xf000f0, v9
	v_lshrrev_b32_e32 v2, 8, v9
	v_and_b32_e32 v3, 0xf000f, v10
	v_and_b32_e32 v9, 0xf000f0, v10
	v_lshrrev_b32_e32 v10, 8, v10
	v_and_b32_e32 v31, 0xf000f, v11
	v_and_b32_e32 v32, 0xf000f0, v11
	v_lshrrev_b32_e32 v11, 8, v11
	v_and_b32_e32 v33, 0xf000f, v12
	v_and_b32_e32 v34, 0xf000f0, v12
	v_lshrrev_b32_e32 v12, 8, v12
	v_or_b32_e32 v0, 0x64006400, v0
	v_and_b32_e32 v35, 0xf000f, v2
	v_and_b32_e32 v2, 0xf000f0, v2
	;; [unrolled: 1-line block ×4, first 2 shown]
	v_or_b32_e32 v31, 0x64006400, v31
	v_and_b32_e32 v37, 0xf000f, v11
	v_and_b32_e32 v38, 0xf000f, v12
	v_and_b32_e32 v12, 0xf000f0, v12
	v_or_b32_e32 v1, 0x64006400, v1
	v_or_b32_e32 v3, 0x64006400, v3
	;; [unrolled: 1-line block ×4, first 2 shown]
	v_and_b32_e32 v11, 0xf000f0, v11
	v_or_b32_e32 v33, 0x64006400, v33
	v_or_b32_e32 v34, 0x64006400, v34
	;; [unrolled: 1-line block ×4, first 2 shown]
	v_pk_add_f16 v0, v23, v0
	v_or_b32_e32 v36, 0x64006400, v36
	v_or_b32_e32 v10, 0x64006400, v10
	;; [unrolled: 1-line block ×3, first 2 shown]
	v_pk_add_f16 v31, v25, v31
	v_or_b32_e32 v12, 0x64006400, v12
	v_pk_fma_f16 v1, v1, s53, v27 op_sel_hi:[1,0,1]
	v_pk_add_f16 v3, v24, v3
	v_pk_fma_f16 v9, v9, s53, v28 op_sel_hi:[1,0,1]
	v_or_b32_e32 v11, 0x64006400, v11
	v_pk_fma_f16 v32, v32, s53, v29 op_sel_hi:[1,0,1]
	v_or_b32_e32 v38, 0x64006400, v38
	v_pk_add_f16 v33, v26, v33
	v_pk_fma_f16 v34, v34, s53, v30 op_sel_hi:[1,0,1]
	v_pk_add_f16 v35, v23, v35
	v_pk_fma_f16 v47, v2, s53, v27 op_sel_hi:[1,0,1]
	;; [unrolled: 2-line block ×4, first 2 shown]
	v_pk_mul_f16 v0, v22, v0
	v_pk_mul_f16 v12, v20, v31
	v_pk_fma_f16 v49, v11, s53, v29 op_sel_hi:[1,0,1]
	v_pk_add_f16 v11, v26, v38
	v_pk_mul_f16 v3, v21, v3
	v_pk_mul_f16 v31, v19, v33
	v_pk_mul_f16 v1, v22, v1
	v_pk_mul_f16 v39, v21, v9
	v_pk_mul_f16 v32, v20, v32
	v_pk_mul_f16 v40, v19, v34
	v_and_b32_e32 v9, 0xffff, v0
	v_and_b32_e32 v33, 0xffff, v12
	v_lshrrev_b32_e32 v0, 16, v0
	v_lshrrev_b32_e32 v34, 16, v12
	v_pk_mul_f16 v37, v22, v35
	v_pk_mul_f16 v35, v21, v2
	;; [unrolled: 1-line block ×4, first 2 shown]
	v_lshl_or_b32 v11, v3, 16, v9
	v_lshl_or_b32 v12, v31, 16, v33
	v_and_or_b32 v9, v3, s54, v0
	v_and_or_b32 v10, v31, s54, v34
	v_and_b32_e32 v45, 0xffff, v1
	v_and_b32_e32 v46, 0xffff, v32
	v_lshrrev_b32_e32 v43, 16, v1
	v_lshrrev_b32_e32 v44, 16, v32
	v_and_b32_e32 v41, 0xffff, v37
	v_and_b32_e32 v42, 0xffff, v2
	v_lshrrev_b32_e32 v37, 16, v37
	v_lshrrev_b32_e32 v38, 16, v2
	v_pk_mul_f16 v31, v22, v47
	v_pk_mul_f16 v32, v21, v48
	;; [unrolled: 1-line block ×4, first 2 shown]
	s_cbranch_vccnz .LBB1_22
; %bb.14:                               ;   in Loop: Header=BB1_8 Depth=1
	v_mov_b32_e32 v0, s19
	ds_read_b128 v[51:54], v0 offset:32
	ds_read_b128 v[0:3], v0 offset:48
	v_mov_b32_e32 v57, s5
	v_pk_mul_f16 v47, v22, v47
	s_waitcnt lgkmcnt(1)
	v_mul_lo_u32 v51, v51, s9
	v_mul_lo_u32 v52, v52, s9
	;; [unrolled: 1-line block ×3, first 2 shown]
	s_waitcnt lgkmcnt(0)
	v_mul_lo_u32 v0, v0, s9
	v_add_u32_e32 v51, v51, v4
	v_add_u32_e32 v55, v52, v4
	v_ashrrev_i32_e32 v52, 31, v51
	v_lshlrev_b64 v[51:52], 1, v[51:52]
	v_ashrrev_i32_e32 v56, 31, v55
	v_add_co_u32_e32 v51, vcc, s4, v51
	v_addc_co_u32_e32 v52, vcc, v57, v52, vcc
	global_store_dwordx2 v[51:52], v[11:12], off
	v_lshlrev_b64 v[51:52], 1, v[55:56]
	v_add_u32_e32 v55, v53, v4
	v_mul_lo_u32 v53, v54, s9
	v_ashrrev_i32_e32 v56, 31, v55
	v_add_co_u32_e32 v51, vcc, s4, v51
	v_lshlrev_b64 v[55:56], 1, v[55:56]
	v_add_u32_e32 v53, v53, v4
	v_addc_co_u32_e32 v52, vcc, v57, v52, vcc
	v_ashrrev_i32_e32 v54, 31, v53
	v_add_co_u32_e32 v55, vcc, s4, v55
	v_lshlrev_b64 v[53:54], 1, v[53:54]
	v_addc_co_u32_e32 v56, vcc, v57, v56, vcc
	global_store_dwordx2 v[51:52], v[9:10], off
	v_lshl_or_b32 v51, v39, 16, v45
	v_lshl_or_b32 v52, v40, 16, v46
	v_add_co_u32_e32 v53, vcc, s4, v53
	global_store_dwordx2 v[55:56], v[51:52], off
	v_and_or_b32 v51, v39, s54, v43
	v_and_or_b32 v52, v40, s54, v44
	v_addc_co_u32_e32 v54, vcc, v57, v54, vcc
	global_store_dwordx2 v[53:54], v[51:52], off
	v_add_u32_e32 v53, v0, v4
	v_ashrrev_i32_e32 v54, 31, v53
	v_lshlrev_b64 v[53:54], 1, v[53:54]
	v_mul_lo_u32 v55, v1, s9
	v_add_co_u32_e32 v53, vcc, s4, v53
	v_lshl_or_b32 v51, v35, 16, v41
	v_lshl_or_b32 v52, v36, 16, v42
	v_addc_co_u32_e32 v54, vcc, v57, v54, vcc
	global_store_dwordx2 v[53:54], v[51:52], off
	v_add_u32_e32 v51, v55, v4
	v_ashrrev_i32_e32 v52, 31, v51
	v_lshlrev_b64 v[51:52], 1, v[51:52]
	v_mul_lo_u32 v2, v2, s9
	v_add_co_u32_e32 v51, vcc, s4, v51
	v_and_or_b32 v0, v35, s54, v37
	v_and_or_b32 v1, v36, s54, v38
	v_addc_co_u32_e32 v52, vcc, v57, v52, vcc
	global_store_dwordx2 v[51:52], v[0:1], off
	v_add_u32_e32 v51, v2, v4
	v_ashrrev_i32_e32 v52, 31, v51
	v_lshlrev_b64 v[51:52], 1, v[51:52]
	v_pk_mul_f16 v0, v21, v48
	v_pk_mul_f16 v48, v20, v49
	;; [unrolled: 1-line block ×3, first 2 shown]
	v_and_b32_e32 v49, 0xffff, v47
	v_and_b32_e32 v50, 0xffff, v48
	v_add_co_u32_e32 v51, vcc, s4, v51
	v_lshl_or_b32 v49, v0, 16, v49
	v_lshl_or_b32 v50, v1, 16, v50
	v_addc_co_u32_e32 v52, vcc, v57, v52, vcc
	global_store_dwordx2 v[51:52], v[49:50], off
	s_cbranch_execnz .LBB1_16
.LBB1_15:                               ;   in Loop: Header=BB1_8 Depth=1
	v_add_u32_e32 v0, s45, v13
	v_ashrrev_i32_e32 v1, 31, v0
	v_lshlrev_b64 v[0:1], 1, v[0:1]
	v_mov_b32_e32 v47, s5
	v_add_co_u32_e32 v0, vcc, s4, v0
	v_addc_co_u32_e32 v1, vcc, v47, v1, vcc
	global_store_dwordx2 v[0:1], v[11:12], off
	v_add_u32_e32 v0, s44, v13
	v_ashrrev_i32_e32 v1, 31, v0
	v_lshlrev_b64 v[0:1], 1, v[0:1]
	v_add_u32_e32 v2, s42, v13
	v_ashrrev_i32_e32 v3, 31, v2
	v_add_co_u32_e32 v0, vcc, s4, v0
	v_lshlrev_b64 v[2:3], 1, v[2:3]
	v_addc_co_u32_e32 v1, vcc, v47, v1, vcc
	v_add_co_u32_e32 v2, vcc, s4, v2
	global_store_dwordx2 v[0:1], v[9:10], off
	v_lshl_or_b32 v0, v39, 16, v45
	v_lshl_or_b32 v1, v40, 16, v46
	v_addc_co_u32_e32 v3, vcc, v47, v3, vcc
	global_store_dwordx2 v[2:3], v[0:1], off
	v_add_u32_e32 v2, s43, v13
	v_ashrrev_i32_e32 v3, 31, v2
	v_lshlrev_b64 v[2:3], 1, v[2:3]
	v_and_or_b32 v0, v39, s54, v43
	v_add_co_u32_e32 v2, vcc, s4, v2
	v_and_or_b32 v1, v40, s54, v44
	v_addc_co_u32_e32 v3, vcc, v47, v3, vcc
	global_store_dwordx2 v[2:3], v[0:1], off
	v_add_u32_e32 v2, s40, v13
	v_ashrrev_i32_e32 v3, 31, v2
	v_lshlrev_b64 v[2:3], 1, v[2:3]
	v_lshl_or_b32 v0, v35, 16, v41
	v_add_co_u32_e32 v2, vcc, s4, v2
	v_lshl_or_b32 v1, v36, 16, v42
	v_addc_co_u32_e32 v3, vcc, v47, v3, vcc
	global_store_dwordx2 v[2:3], v[0:1], off
	v_add_u32_e32 v2, s41, v13
	v_ashrrev_i32_e32 v3, 31, v2
	v_lshlrev_b64 v[2:3], 1, v[2:3]
	v_and_or_b32 v0, v35, s54, v37
	v_add_co_u32_e32 v2, vcc, s4, v2
	v_and_or_b32 v1, v36, s54, v38
	v_addc_co_u32_e32 v3, vcc, v47, v3, vcc
	global_store_dwordx2 v[2:3], v[0:1], off
	v_add_u32_e32 v2, s39, v13
	v_ashrrev_i32_e32 v3, 31, v2
	v_lshlrev_b64 v[2:3], 1, v[2:3]
	v_and_b32_e32 v0, 0xffff, v31
	v_and_b32_e32 v1, 0xffff, v33
	v_add_co_u32_e32 v2, vcc, s4, v2
	v_lshl_or_b32 v0, v32, 16, v0
	v_lshl_or_b32 v1, v34, 16, v1
	v_addc_co_u32_e32 v3, vcc, v47, v3, vcc
	s_add_i32 s2, s18, 15
	global_store_dwordx2 v[2:3], v[0:1], off
	v_mov_b32_e32 v3, s2
	v_mov_b32_e32 v47, v31
	;; [unrolled: 1-line block ×5, first 2 shown]
.LBB1_16:                               ;   in Loop: Header=BB1_8 Depth=1
	v_mov_b32_e32 v2, s7
	v_add_co_u32_e32 v7, vcc, s6, v7
	v_addc_co_u32_e32 v8, vcc, v8, v2, vcc
	global_load_dwordx4 v[9:12], v[7:8], off
	v_mul_lo_u32 v3, v3, s9
	v_lshrrev_b32_e32 v2, 16, v47
	v_and_or_b32 v0, v0, s54, v2
	v_lshrrev_b32_e32 v31, 16, v48
	v_add_u32_e32 v2, v3, v4
	v_ashrrev_i32_e32 v3, 31, v2
	v_lshlrev_b64 v[2:3], 1, v[2:3]
	v_mov_b32_e32 v32, s5
	v_add_co_u32_e64 v2, s[2:3], s4, v2
	v_and_or_b32 v1, v1, s54, v31
	v_addc_co_u32_e64 v3, s[2:3], v32, v3, s[2:3]
	global_store_dwordx2 v[2:3], v[0:1], off
	s_and_b64 vcc, exec, s[0:1]
	s_waitcnt vmcnt(1)
	v_and_b32_e32 v0, 0xf000f, v9
	v_and_b32_e32 v1, 0xf000f0, v9
	v_lshrrev_b32_e32 v2, 8, v9
	v_and_b32_e32 v3, 0xf000f, v10
	v_and_b32_e32 v9, 0xf000f0, v10
	v_lshrrev_b32_e32 v10, 8, v10
	;; [unrolled: 3-line block ×4, first 2 shown]
	v_or_b32_e32 v0, 0x64006400, v0
	v_and_b32_e32 v35, 0xf000f, v2
	v_and_b32_e32 v2, 0xf000f0, v2
	v_and_b32_e32 v36, 0xf000f, v10
	v_and_b32_e32 v10, 0xf000f0, v10
	v_or_b32_e32 v31, 0x64006400, v31
	v_and_b32_e32 v37, 0xf000f, v11
	v_and_b32_e32 v38, 0xf000f, v12
	;; [unrolled: 1-line block ×3, first 2 shown]
	v_or_b32_e32 v1, 0x64006400, v1
	v_or_b32_e32 v3, 0x64006400, v3
	;; [unrolled: 1-line block ×4, first 2 shown]
	v_and_b32_e32 v11, 0xf000f0, v11
	v_or_b32_e32 v33, 0x64006400, v33
	v_or_b32_e32 v34, 0x64006400, v34
	;; [unrolled: 1-line block ×4, first 2 shown]
	v_pk_add_f16 v0, v23, v0
	v_or_b32_e32 v36, 0x64006400, v36
	v_or_b32_e32 v10, 0x64006400, v10
	;; [unrolled: 1-line block ×3, first 2 shown]
	v_pk_add_f16 v31, v25, v31
	v_or_b32_e32 v12, 0x64006400, v12
	v_pk_fma_f16 v1, v1, s53, v27 op_sel_hi:[1,0,1]
	v_pk_add_f16 v3, v24, v3
	v_pk_fma_f16 v9, v9, s53, v28 op_sel_hi:[1,0,1]
	v_or_b32_e32 v11, 0x64006400, v11
	v_pk_fma_f16 v32, v32, s53, v29 op_sel_hi:[1,0,1]
	v_or_b32_e32 v38, 0x64006400, v38
	v_pk_add_f16 v33, v26, v33
	v_pk_fma_f16 v34, v34, s53, v30 op_sel_hi:[1,0,1]
	v_pk_add_f16 v35, v23, v35
	v_pk_fma_f16 v47, v2, s53, v27 op_sel_hi:[1,0,1]
	v_pk_add_f16 v2, v24, v36
	v_pk_fma_f16 v48, v10, s53, v28 op_sel_hi:[1,0,1]
	v_pk_add_f16 v10, v25, v37
	v_pk_fma_f16 v50, v12, s53, v30 op_sel_hi:[1,0,1]
	v_pk_mul_f16 v0, v22, v0
	v_pk_mul_f16 v12, v20, v31
	v_pk_fma_f16 v49, v11, s53, v29 op_sel_hi:[1,0,1]
	v_pk_add_f16 v11, v26, v38
	v_pk_mul_f16 v3, v21, v3
	v_pk_mul_f16 v31, v19, v33
	v_pk_mul_f16 v1, v22, v1
	v_pk_mul_f16 v39, v21, v9
	v_pk_mul_f16 v32, v20, v32
	v_pk_mul_f16 v40, v19, v34
	v_and_b32_e32 v9, 0xffff, v0
	v_and_b32_e32 v33, 0xffff, v12
	v_lshrrev_b32_e32 v0, 16, v0
	v_lshrrev_b32_e32 v34, 16, v12
	v_pk_mul_f16 v37, v22, v35
	v_pk_mul_f16 v35, v21, v2
	;; [unrolled: 1-line block ×4, first 2 shown]
	v_lshl_or_b32 v11, v3, 16, v9
	v_lshl_or_b32 v12, v31, 16, v33
	v_and_or_b32 v9, v3, s54, v0
	v_and_or_b32 v10, v31, s54, v34
	v_and_b32_e32 v45, 0xffff, v1
	v_and_b32_e32 v46, 0xffff, v32
	v_lshrrev_b32_e32 v43, 16, v1
	v_lshrrev_b32_e32 v44, 16, v32
	v_and_b32_e32 v41, 0xffff, v37
	v_and_b32_e32 v42, 0xffff, v2
	v_lshrrev_b32_e32 v37, 16, v37
	v_lshrrev_b32_e32 v38, 16, v2
	v_pk_mul_f16 v31, v22, v47
	v_pk_mul_f16 v32, v21, v48
	;; [unrolled: 1-line block ×4, first 2 shown]
	s_cbranch_vccnz .LBB1_23
; %bb.17:                               ;   in Loop: Header=BB1_8 Depth=1
	v_mov_b32_e32 v0, s19
	ds_read_b128 v[51:54], v0 offset:64
	ds_read_b128 v[0:3], v0 offset:80
	v_mov_b32_e32 v57, s5
	v_pk_mul_f16 v47, v22, v47
	s_waitcnt lgkmcnt(1)
	v_mul_lo_u32 v51, v51, s9
	v_mul_lo_u32 v52, v52, s9
	;; [unrolled: 1-line block ×3, first 2 shown]
	s_waitcnt lgkmcnt(0)
	v_mul_lo_u32 v0, v0, s9
	v_add_u32_e32 v51, v51, v4
	v_add_u32_e32 v55, v52, v4
	v_ashrrev_i32_e32 v52, 31, v51
	v_lshlrev_b64 v[51:52], 1, v[51:52]
	v_ashrrev_i32_e32 v56, 31, v55
	v_add_co_u32_e32 v51, vcc, s4, v51
	v_addc_co_u32_e32 v52, vcc, v57, v52, vcc
	global_store_dwordx2 v[51:52], v[11:12], off
	v_lshlrev_b64 v[51:52], 1, v[55:56]
	v_add_u32_e32 v55, v53, v4
	v_mul_lo_u32 v53, v54, s9
	v_ashrrev_i32_e32 v56, 31, v55
	v_add_co_u32_e32 v51, vcc, s4, v51
	v_lshlrev_b64 v[55:56], 1, v[55:56]
	v_add_u32_e32 v53, v53, v4
	v_addc_co_u32_e32 v52, vcc, v57, v52, vcc
	v_ashrrev_i32_e32 v54, 31, v53
	v_add_co_u32_e32 v55, vcc, s4, v55
	v_lshlrev_b64 v[53:54], 1, v[53:54]
	v_addc_co_u32_e32 v56, vcc, v57, v56, vcc
	global_store_dwordx2 v[51:52], v[9:10], off
	v_lshl_or_b32 v51, v39, 16, v45
	v_lshl_or_b32 v52, v40, 16, v46
	v_add_co_u32_e32 v53, vcc, s4, v53
	global_store_dwordx2 v[55:56], v[51:52], off
	v_and_or_b32 v51, v39, s54, v43
	v_and_or_b32 v52, v40, s54, v44
	v_addc_co_u32_e32 v54, vcc, v57, v54, vcc
	global_store_dwordx2 v[53:54], v[51:52], off
	v_add_u32_e32 v53, v0, v4
	v_ashrrev_i32_e32 v54, 31, v53
	v_lshlrev_b64 v[53:54], 1, v[53:54]
	v_mul_lo_u32 v55, v1, s9
	v_add_co_u32_e32 v53, vcc, s4, v53
	v_lshl_or_b32 v51, v35, 16, v41
	v_lshl_or_b32 v52, v36, 16, v42
	v_addc_co_u32_e32 v54, vcc, v57, v54, vcc
	global_store_dwordx2 v[53:54], v[51:52], off
	v_add_u32_e32 v51, v55, v4
	v_ashrrev_i32_e32 v52, 31, v51
	v_lshlrev_b64 v[51:52], 1, v[51:52]
	v_mul_lo_u32 v2, v2, s9
	v_add_co_u32_e32 v51, vcc, s4, v51
	v_and_or_b32 v0, v35, s54, v37
	v_and_or_b32 v1, v36, s54, v38
	v_addc_co_u32_e32 v52, vcc, v57, v52, vcc
	global_store_dwordx2 v[51:52], v[0:1], off
	v_add_u32_e32 v51, v2, v4
	v_ashrrev_i32_e32 v52, 31, v51
	v_lshlrev_b64 v[51:52], 1, v[51:52]
	v_pk_mul_f16 v0, v21, v48
	v_pk_mul_f16 v48, v20, v49
	;; [unrolled: 1-line block ×3, first 2 shown]
	v_and_b32_e32 v49, 0xffff, v47
	v_and_b32_e32 v50, 0xffff, v48
	v_add_co_u32_e32 v51, vcc, s4, v51
	v_lshl_or_b32 v49, v0, 16, v49
	v_lshl_or_b32 v50, v1, 16, v50
	v_addc_co_u32_e32 v52, vcc, v57, v52, vcc
	global_store_dwordx2 v[51:52], v[49:50], off
	s_cbranch_execnz .LBB1_19
.LBB1_18:                               ;   in Loop: Header=BB1_8 Depth=1
	v_add_u32_e32 v0, s38, v13
	v_ashrrev_i32_e32 v1, 31, v0
	v_lshlrev_b64 v[0:1], 1, v[0:1]
	v_mov_b32_e32 v47, s5
	v_add_co_u32_e32 v0, vcc, s4, v0
	v_addc_co_u32_e32 v1, vcc, v47, v1, vcc
	global_store_dwordx2 v[0:1], v[11:12], off
	v_add_u32_e32 v0, s37, v13
	v_ashrrev_i32_e32 v1, 31, v0
	v_lshlrev_b64 v[0:1], 1, v[0:1]
	v_add_u32_e32 v2, s35, v13
	v_ashrrev_i32_e32 v3, 31, v2
	v_add_co_u32_e32 v0, vcc, s4, v0
	v_lshlrev_b64 v[2:3], 1, v[2:3]
	v_addc_co_u32_e32 v1, vcc, v47, v1, vcc
	v_add_co_u32_e32 v2, vcc, s4, v2
	global_store_dwordx2 v[0:1], v[9:10], off
	v_lshl_or_b32 v0, v39, 16, v45
	v_lshl_or_b32 v1, v40, 16, v46
	v_addc_co_u32_e32 v3, vcc, v47, v3, vcc
	global_store_dwordx2 v[2:3], v[0:1], off
	v_add_u32_e32 v2, s36, v13
	v_ashrrev_i32_e32 v3, 31, v2
	v_lshlrev_b64 v[2:3], 1, v[2:3]
	v_and_or_b32 v0, v39, s54, v43
	v_add_co_u32_e32 v2, vcc, s4, v2
	v_and_or_b32 v1, v40, s54, v44
	v_addc_co_u32_e32 v3, vcc, v47, v3, vcc
	global_store_dwordx2 v[2:3], v[0:1], off
	v_add_u32_e32 v2, s33, v13
	v_ashrrev_i32_e32 v3, 31, v2
	v_lshlrev_b64 v[2:3], 1, v[2:3]
	v_lshl_or_b32 v0, v35, 16, v41
	v_add_co_u32_e32 v2, vcc, s4, v2
	v_lshl_or_b32 v1, v36, 16, v42
	v_addc_co_u32_e32 v3, vcc, v47, v3, vcc
	global_store_dwordx2 v[2:3], v[0:1], off
	v_add_u32_e32 v2, s34, v13
	v_ashrrev_i32_e32 v3, 31, v2
	v_lshlrev_b64 v[2:3], 1, v[2:3]
	v_and_or_b32 v0, v35, s54, v37
	v_add_co_u32_e32 v2, vcc, s4, v2
	v_and_or_b32 v1, v36, s54, v38
	v_addc_co_u32_e32 v3, vcc, v47, v3, vcc
	global_store_dwordx2 v[2:3], v[0:1], off
	v_add_u32_e32 v2, s31, v13
	v_ashrrev_i32_e32 v3, 31, v2
	v_lshlrev_b64 v[2:3], 1, v[2:3]
	v_and_b32_e32 v0, 0xffff, v31
	v_and_b32_e32 v1, 0xffff, v33
	v_add_co_u32_e32 v2, vcc, s4, v2
	v_lshl_or_b32 v0, v32, 16, v0
	v_lshl_or_b32 v1, v34, 16, v1
	v_addc_co_u32_e32 v3, vcc, v47, v3, vcc
	s_add_i32 s2, s18, 23
	global_store_dwordx2 v[2:3], v[0:1], off
	v_mov_b32_e32 v3, s2
	v_mov_b32_e32 v47, v31
	;; [unrolled: 1-line block ×5, first 2 shown]
.LBB1_19:                               ;   in Loop: Header=BB1_8 Depth=1
	v_mov_b32_e32 v2, s7
	v_add_co_u32_e32 v7, vcc, s6, v7
	v_addc_co_u32_e32 v8, vcc, v8, v2, vcc
	global_load_dwordx4 v[7:10], v[7:8], off
	v_mul_lo_u32 v3, v3, s9
	v_lshrrev_b32_e32 v2, 16, v47
	v_and_or_b32 v0, v0, s54, v2
	v_lshrrev_b32_e32 v11, 16, v48
	v_add_u32_e32 v2, v3, v4
	v_ashrrev_i32_e32 v3, 31, v2
	v_lshlrev_b64 v[2:3], 1, v[2:3]
	v_mov_b32_e32 v12, s5
	s_and_b64 vcc, exec, s[0:1]
	v_add_co_u32_e64 v2, s[0:1], s4, v2
	v_and_or_b32 v1, v1, s54, v11
	v_addc_co_u32_e64 v3, s[0:1], v12, v3, s[0:1]
	global_store_dwordx2 v[2:3], v[0:1], off
	s_waitcnt vmcnt(1)
	v_and_b32_e32 v0, 0xf000f, v7
	v_and_b32_e32 v1, 0xf000f0, v7
	v_lshrrev_b32_e32 v2, 8, v7
	v_and_b32_e32 v3, 0xf000f, v8
	v_and_b32_e32 v7, 0xf000f0, v8
	v_lshrrev_b32_e32 v8, 8, v8
	;; [unrolled: 3-line block ×4, first 2 shown]
	v_or_b32_e32 v0, 0x64006400, v0
	v_and_b32_e32 v33, 0xf000f, v2
	v_and_b32_e32 v2, 0xf000f0, v2
	v_and_b32_e32 v34, 0xf000f, v8
	v_and_b32_e32 v8, 0xf000f0, v8
	v_or_b32_e32 v11, 0x64006400, v11
	v_and_b32_e32 v35, 0xf000f, v9
	v_and_b32_e32 v36, 0xf000f, v10
	;; [unrolled: 1-line block ×3, first 2 shown]
	v_or_b32_e32 v1, 0x64006400, v1
	v_or_b32_e32 v3, 0x64006400, v3
	;; [unrolled: 1-line block ×4, first 2 shown]
	v_and_b32_e32 v9, 0xf000f0, v9
	v_or_b32_e32 v31, 0x64006400, v31
	v_or_b32_e32 v32, 0x64006400, v32
	;; [unrolled: 1-line block ×4, first 2 shown]
	v_pk_add_f16 v0, v23, v0
	v_or_b32_e32 v34, 0x64006400, v34
	v_or_b32_e32 v8, 0x64006400, v8
	;; [unrolled: 1-line block ×3, first 2 shown]
	v_pk_add_f16 v11, v25, v11
	v_or_b32_e32 v10, 0x64006400, v10
	v_pk_fma_f16 v1, v1, s53, v27 op_sel_hi:[1,0,1]
	v_pk_add_f16 v3, v24, v3
	v_pk_fma_f16 v7, v7, s53, v28 op_sel_hi:[1,0,1]
	v_or_b32_e32 v9, 0x64006400, v9
	v_pk_fma_f16 v12, v12, s53, v29 op_sel_hi:[1,0,1]
	v_or_b32_e32 v36, 0x64006400, v36
	v_pk_add_f16 v31, v26, v31
	v_pk_fma_f16 v32, v32, s53, v30 op_sel_hi:[1,0,1]
	v_pk_add_f16 v33, v23, v33
	v_pk_fma_f16 v45, v2, s53, v27 op_sel_hi:[1,0,1]
	;; [unrolled: 2-line block ×4, first 2 shown]
	v_pk_mul_f16 v0, v22, v0
	v_pk_mul_f16 v10, v20, v11
	v_pk_fma_f16 v47, v9, s53, v29 op_sel_hi:[1,0,1]
	v_pk_add_f16 v9, v26, v36
	v_pk_mul_f16 v3, v21, v3
	v_pk_mul_f16 v11, v19, v31
	;; [unrolled: 1-line block ×6, first 2 shown]
	v_and_b32_e32 v7, 0xffff, v0
	v_and_b32_e32 v31, 0xffff, v10
	v_lshrrev_b32_e32 v0, 16, v0
	v_lshrrev_b32_e32 v32, 16, v10
	v_pk_mul_f16 v35, v22, v33
	v_pk_mul_f16 v33, v21, v2
	;; [unrolled: 1-line block ×4, first 2 shown]
	v_lshl_or_b32 v9, v3, 16, v7
	v_lshl_or_b32 v10, v11, 16, v31
	v_and_or_b32 v7, v3, s54, v0
	v_and_or_b32 v8, v11, s54, v32
	v_and_b32_e32 v43, 0xffff, v1
	v_and_b32_e32 v44, 0xffff, v12
	v_lshrrev_b32_e32 v41, 16, v1
	v_lshrrev_b32_e32 v42, 16, v12
	v_and_b32_e32 v39, 0xffff, v35
	v_and_b32_e32 v40, 0xffff, v2
	v_lshrrev_b32_e32 v35, 16, v35
	v_lshrrev_b32_e32 v36, 16, v2
	v_pk_mul_f16 v11, v22, v45
	v_pk_mul_f16 v12, v21, v46
	;; [unrolled: 1-line block ×4, first 2 shown]
	s_cbranch_vccnz .LBB1_24
; %bb.20:                               ;   in Loop: Header=BB1_8 Depth=1
	v_mov_b32_e32 v0, s19
	ds_read_b128 v[49:52], v0 offset:96
	ds_read_b128 v[0:3], v0 offset:112
	v_mov_b32_e32 v55, s5
	s_waitcnt lgkmcnt(1)
	v_mul_lo_u32 v49, v49, s9
	v_mul_lo_u32 v50, v50, s9
	v_mul_lo_u32 v51, v51, s9
	s_waitcnt lgkmcnt(0)
	v_mul_lo_u32 v0, v0, s9
	v_add_u32_e32 v49, v49, v4
	v_add_u32_e32 v53, v50, v4
	v_ashrrev_i32_e32 v50, 31, v49
	v_lshlrev_b64 v[49:50], 1, v[49:50]
	v_ashrrev_i32_e32 v54, 31, v53
	v_add_co_u32_e32 v49, vcc, s4, v49
	v_addc_co_u32_e32 v50, vcc, v55, v50, vcc
	global_store_dwordx2 v[49:50], v[9:10], off
	v_lshlrev_b64 v[49:50], 1, v[53:54]
	v_add_u32_e32 v53, v51, v4
	v_mul_lo_u32 v51, v52, s9
	v_ashrrev_i32_e32 v54, 31, v53
	v_add_co_u32_e32 v49, vcc, s4, v49
	v_lshlrev_b64 v[53:54], 1, v[53:54]
	v_add_u32_e32 v51, v51, v4
	v_addc_co_u32_e32 v50, vcc, v55, v50, vcc
	v_ashrrev_i32_e32 v52, 31, v51
	v_add_co_u32_e32 v53, vcc, s4, v53
	v_lshlrev_b64 v[51:52], 1, v[51:52]
	v_addc_co_u32_e32 v54, vcc, v55, v54, vcc
	global_store_dwordx2 v[49:50], v[7:8], off
	v_lshl_or_b32 v49, v37, 16, v43
	v_lshl_or_b32 v50, v38, 16, v44
	v_add_co_u32_e32 v51, vcc, s4, v51
	global_store_dwordx2 v[53:54], v[49:50], off
	v_and_or_b32 v49, v37, s54, v41
	v_and_or_b32 v50, v38, s54, v42
	v_addc_co_u32_e32 v52, vcc, v55, v52, vcc
	global_store_dwordx2 v[51:52], v[49:50], off
	v_add_u32_e32 v51, v0, v4
	v_ashrrev_i32_e32 v52, 31, v51
	v_lshlrev_b64 v[51:52], 1, v[51:52]
	v_mul_lo_u32 v53, v1, s9
	v_add_co_u32_e32 v51, vcc, s4, v51
	v_lshl_or_b32 v49, v33, 16, v39
	v_lshl_or_b32 v50, v34, 16, v40
	v_addc_co_u32_e32 v52, vcc, v55, v52, vcc
	global_store_dwordx2 v[51:52], v[49:50], off
	v_add_u32_e32 v49, v53, v4
	v_ashrrev_i32_e32 v50, 31, v49
	v_lshlrev_b64 v[49:50], 1, v[49:50]
	v_mul_lo_u32 v2, v2, s9
	v_add_co_u32_e32 v49, vcc, s4, v49
	v_and_or_b32 v0, v33, s54, v35
	v_and_or_b32 v1, v34, s54, v36
	v_addc_co_u32_e32 v50, vcc, v55, v50, vcc
	global_store_dwordx2 v[49:50], v[0:1], off
	v_add_u32_e32 v50, v2, v4
	v_ashrrev_i32_e32 v51, 31, v50
	v_lshlrev_b64 v[50:51], 1, v[50:51]
	v_pk_mul_f16 v49, v22, v45
	v_pk_mul_f16 v45, v20, v47
	;; [unrolled: 1-line block ×4, first 2 shown]
	v_and_b32_e32 v46, 0xffff, v49
	v_and_b32_e32 v47, 0xffff, v45
	v_add_co_u32_e32 v50, vcc, s4, v50
	v_lshl_or_b32 v46, v0, 16, v46
	v_lshl_or_b32 v47, v1, 16, v47
	v_addc_co_u32_e32 v51, vcc, v55, v51, vcc
	global_store_dwordx2 v[50:51], v[46:47], off
	s_cbranch_execnz .LBB1_7
	s_branch .LBB1_25
.LBB1_21:                               ;   in Loop: Header=BB1_8 Depth=1
                                        ; implicit-def: $vgpr3
                                        ; implicit-def: $vgpr1
                                        ; implicit-def: $vgpr46
                                        ; implicit-def: $vgpr0
                                        ; implicit-def: $vgpr45
	s_branch .LBB1_12
.LBB1_22:                               ;   in Loop: Header=BB1_8 Depth=1
                                        ; implicit-def: $vgpr3
                                        ; implicit-def: $vgpr1
                                        ; implicit-def: $vgpr48
                                        ; implicit-def: $vgpr0
                                        ; implicit-def: $vgpr47
	s_branch .LBB1_15
.LBB1_23:                               ;   in Loop: Header=BB1_8 Depth=1
                                        ; implicit-def: $vgpr3
                                        ; implicit-def: $vgpr1
                                        ; implicit-def: $vgpr48
                                        ; implicit-def: $vgpr0
                                        ; implicit-def: $vgpr47
	s_branch .LBB1_18
.LBB1_24:                               ;   in Loop: Header=BB1_8 Depth=1
                                        ; implicit-def: $vgpr3
                                        ; implicit-def: $vgpr1
                                        ; implicit-def: $vgpr45
                                        ; implicit-def: $vgpr0
                                        ; implicit-def: $vgpr49
.LBB1_25:                               ;   in Loop: Header=BB1_8 Depth=1
	v_add_u32_e32 v0, s30, v13
	v_ashrrev_i32_e32 v1, 31, v0
	v_lshlrev_b64 v[0:1], 1, v[0:1]
	v_mov_b32_e32 v45, s5
	v_add_co_u32_e32 v0, vcc, s4, v0
	v_addc_co_u32_e32 v1, vcc, v45, v1, vcc
	global_store_dwordx2 v[0:1], v[9:10], off
	v_add_u32_e32 v0, s29, v13
	v_ashrrev_i32_e32 v1, 31, v0
	v_lshlrev_b64 v[0:1], 1, v[0:1]
	v_add_u32_e32 v2, s27, v13
	v_ashrrev_i32_e32 v3, 31, v2
	v_add_co_u32_e32 v0, vcc, s4, v0
	v_lshlrev_b64 v[2:3], 1, v[2:3]
	v_addc_co_u32_e32 v1, vcc, v45, v1, vcc
	v_add_co_u32_e32 v2, vcc, s4, v2
	global_store_dwordx2 v[0:1], v[7:8], off
	v_lshl_or_b32 v0, v37, 16, v43
	v_lshl_or_b32 v1, v38, 16, v44
	v_addc_co_u32_e32 v3, vcc, v45, v3, vcc
	global_store_dwordx2 v[2:3], v[0:1], off
	v_add_u32_e32 v2, s28, v13
	v_ashrrev_i32_e32 v3, 31, v2
	v_lshlrev_b64 v[2:3], 1, v[2:3]
	v_and_or_b32 v0, v37, s54, v41
	v_add_co_u32_e32 v2, vcc, s4, v2
	v_and_or_b32 v1, v38, s54, v42
	v_addc_co_u32_e32 v3, vcc, v45, v3, vcc
	global_store_dwordx2 v[2:3], v[0:1], off
	v_add_u32_e32 v2, s25, v13
	v_ashrrev_i32_e32 v3, 31, v2
	v_lshlrev_b64 v[2:3], 1, v[2:3]
	v_lshl_or_b32 v0, v33, 16, v39
	v_add_co_u32_e32 v2, vcc, s4, v2
	v_lshl_or_b32 v1, v34, 16, v40
	v_addc_co_u32_e32 v3, vcc, v45, v3, vcc
	global_store_dwordx2 v[2:3], v[0:1], off
	v_add_u32_e32 v2, s26, v13
	v_ashrrev_i32_e32 v3, 31, v2
	v_lshlrev_b64 v[2:3], 1, v[2:3]
	v_and_or_b32 v0, v33, s54, v35
	v_add_co_u32_e32 v2, vcc, s4, v2
	v_and_or_b32 v1, v34, s54, v36
	v_addc_co_u32_e32 v3, vcc, v45, v3, vcc
	global_store_dwordx2 v[2:3], v[0:1], off
	v_add_u32_e32 v2, s24, v13
	v_ashrrev_i32_e32 v3, 31, v2
	v_lshlrev_b64 v[2:3], 1, v[2:3]
	v_and_b32_e32 v0, 0xffff, v11
	v_and_b32_e32 v1, 0xffff, v31
	v_add_co_u32_e32 v2, vcc, s4, v2
	v_lshl_or_b32 v0, v12, 16, v0
	v_lshl_or_b32 v1, v32, 16, v1
	v_addc_co_u32_e32 v3, vcc, v45, v3, vcc
	s_add_i32 s0, s18, 31
	global_store_dwordx2 v[2:3], v[0:1], off
	v_mov_b32_e32 v3, s0
	v_mov_b32_e32 v49, v11
	;; [unrolled: 1-line block ×5, first 2 shown]
	s_branch .LBB1_7
.LBB1_26:
	s_endpgm
	.section	.rodata,"a",@progbits
	.p2align	6, 0x0
	.amdhsa_kernel _ZN4vllm4gptq31reconstruct_exllama_4bit_kernelEPKjPKiS2_PK6__halfiiibPS5_
		.amdhsa_group_segment_fixed_size 512
		.amdhsa_private_segment_fixed_size 0
		.amdhsa_kernarg_size 56
		.amdhsa_user_sgpr_count 6
		.amdhsa_user_sgpr_private_segment_buffer 1
		.amdhsa_user_sgpr_dispatch_ptr 0
		.amdhsa_user_sgpr_queue_ptr 0
		.amdhsa_user_sgpr_kernarg_segment_ptr 1
		.amdhsa_user_sgpr_dispatch_id 0
		.amdhsa_user_sgpr_flat_scratch_init 0
		.amdhsa_user_sgpr_private_segment_size 0
		.amdhsa_uses_dynamic_stack 0
		.amdhsa_system_sgpr_private_segment_wavefront_offset 0
		.amdhsa_system_sgpr_workgroup_id_x 1
		.amdhsa_system_sgpr_workgroup_id_y 1
		.amdhsa_system_sgpr_workgroup_id_z 0
		.amdhsa_system_sgpr_workgroup_info 0
		.amdhsa_system_vgpr_workitem_id 0
		.amdhsa_next_free_vgpr 58
		.amdhsa_next_free_sgpr 55
		.amdhsa_reserve_vcc 1
		.amdhsa_reserve_flat_scratch 0
		.amdhsa_float_round_mode_32 0
		.amdhsa_float_round_mode_16_64 0
		.amdhsa_float_denorm_mode_32 3
		.amdhsa_float_denorm_mode_16_64 3
		.amdhsa_dx10_clamp 1
		.amdhsa_ieee_mode 1
		.amdhsa_fp16_overflow 0
		.amdhsa_exception_fp_ieee_invalid_op 0
		.amdhsa_exception_fp_denorm_src 0
		.amdhsa_exception_fp_ieee_div_zero 0
		.amdhsa_exception_fp_ieee_overflow 0
		.amdhsa_exception_fp_ieee_underflow 0
		.amdhsa_exception_fp_ieee_inexact 0
		.amdhsa_exception_int_div_zero 0
	.end_amdhsa_kernel
	.text
.Lfunc_end1:
	.size	_ZN4vllm4gptq31reconstruct_exllama_4bit_kernelEPKjPKiS2_PK6__halfiiibPS5_, .Lfunc_end1-_ZN4vllm4gptq31reconstruct_exllama_4bit_kernelEPKjPKiS2_PK6__halfiiibPS5_
                                        ; -- End function
	.set _ZN4vllm4gptq31reconstruct_exllama_4bit_kernelEPKjPKiS2_PK6__halfiiibPS5_.num_vgpr, 58
	.set _ZN4vllm4gptq31reconstruct_exllama_4bit_kernelEPKjPKiS2_PK6__halfiiibPS5_.num_agpr, 0
	.set _ZN4vllm4gptq31reconstruct_exllama_4bit_kernelEPKjPKiS2_PK6__halfiiibPS5_.numbered_sgpr, 55
	.set _ZN4vllm4gptq31reconstruct_exllama_4bit_kernelEPKjPKiS2_PK6__halfiiibPS5_.num_named_barrier, 0
	.set _ZN4vllm4gptq31reconstruct_exllama_4bit_kernelEPKjPKiS2_PK6__halfiiibPS5_.private_seg_size, 0
	.set _ZN4vllm4gptq31reconstruct_exllama_4bit_kernelEPKjPKiS2_PK6__halfiiibPS5_.uses_vcc, 1
	.set _ZN4vllm4gptq31reconstruct_exllama_4bit_kernelEPKjPKiS2_PK6__halfiiibPS5_.uses_flat_scratch, 0
	.set _ZN4vllm4gptq31reconstruct_exllama_4bit_kernelEPKjPKiS2_PK6__halfiiibPS5_.has_dyn_sized_stack, 0
	.set _ZN4vllm4gptq31reconstruct_exllama_4bit_kernelEPKjPKiS2_PK6__halfiiibPS5_.has_recursion, 0
	.set _ZN4vllm4gptq31reconstruct_exllama_4bit_kernelEPKjPKiS2_PK6__halfiiibPS5_.has_indirect_call, 0
	.section	.AMDGPU.csdata,"",@progbits
; Kernel info:
; codeLenInByte = 7840
; TotalNumSgprs: 59
; NumVgprs: 58
; ScratchSize: 0
; MemoryBound: 0
; FloatMode: 240
; IeeeMode: 1
; LDSByteSize: 512 bytes/workgroup (compile time only)
; SGPRBlocks: 7
; VGPRBlocks: 14
; NumSGPRsForWavesPerEU: 59
; NumVGPRsForWavesPerEU: 58
; Occupancy: 4
; WaveLimiterHint : 0
; COMPUTE_PGM_RSRC2:SCRATCH_EN: 0
; COMPUTE_PGM_RSRC2:USER_SGPR: 6
; COMPUTE_PGM_RSRC2:TRAP_HANDLER: 0
; COMPUTE_PGM_RSRC2:TGID_X_EN: 1
; COMPUTE_PGM_RSRC2:TGID_Y_EN: 1
; COMPUTE_PGM_RSRC2:TGID_Z_EN: 0
; COMPUTE_PGM_RSRC2:TIDIG_COMP_CNT: 0
	.text
	.protected	_ZN4vllm4gptq31reconstruct_exllama_3bit_kernelEPKjPKiS2_PK6__halfiiibPS5_ ; -- Begin function _ZN4vllm4gptq31reconstruct_exllama_3bit_kernelEPKjPKiS2_PK6__halfiiibPS5_
	.globl	_ZN4vllm4gptq31reconstruct_exllama_3bit_kernelEPKjPKiS2_PK6__halfiiibPS5_
	.p2align	8
	.type	_ZN4vllm4gptq31reconstruct_exllama_3bit_kernelEPKjPKiS2_PK6__halfiiibPS5_,@function
_ZN4vllm4gptq31reconstruct_exllama_3bit_kernelEPKjPKiS2_PK6__halfiiibPS5_: ; @_ZN4vllm4gptq31reconstruct_exllama_3bit_kernelEPKjPKiS2_PK6__halfiiibPS5_
; %bb.0:
	s_mov_b64 s[78:79], s[2:3]
	s_mov_b64 s[76:77], s[0:1]
	s_load_dwordx2 s[0:1], s[4:5], 0x8
	s_load_dwordx4 s[12:15], s[4:5], 0x20
	s_add_u32 s76, s76, s8
	s_addc_u32 s77, s77, 0
	s_lshl_b32 s28, s7, 7
	s_waitcnt lgkmcnt(0)
	s_cmp_lg_u64 s[0:1], 0
	s_cselect_b64 s[10:11], -1, 0
	s_cmp_eq_u64 s[0:1], 0
	s_cbranch_scc1 .LBB2_4
; %bb.1:
	v_add_u32_e32 v1, s28, v0
	v_cmp_gt_u32_e32 vcc, s12, v1
	s_and_saveexec_b64 s[2:3], vcc
	s_cbranch_execz .LBB2_3
; %bb.2:
	v_mov_b32_e32 v2, 0
	v_lshlrev_b64 v[1:2], 2, v[1:2]
	v_mov_b32_e32 v3, s1
	v_add_co_u32_e32 v1, vcc, s0, v1
	v_addc_co_u32_e32 v2, vcc, v3, v2, vcc
	global_load_dword v1, v[1:2], off
	v_lshlrev_b32_e32 v2, 2, v0
	s_waitcnt vmcnt(0)
	ds_write_b32 v2, v1
.LBB2_3:
	s_or_b64 exec, exec, s[2:3]
.LBB2_4:
	s_lshl_b32 s6, s6, 9
	v_lshlrev_b32_e32 v0, 2, v0
	buffer_store_dword v0, off, s[76:79], 0 offset:344 ; 4-byte Folded Spill
	v_add_u32_e32 v0, s6, v0
	v_mov_b32_e32 v4, v0
	v_cmp_gt_i32_e32 vcc, s13, v0
	s_and_saveexec_b64 s[0:1], vcc
	s_cbranch_execz .LBB2_46
; %bb.5:
	buffer_load_dword v1, off, s[76:79], 0 offset:344 ; 4-byte Folded Reload
	s_abs_i32 s0, s14
	v_cvt_f32_u32_e32 v0, s0
	s_sub_i32 s3, 0, s0
	s_abs_i32 s2, s12
	s_xor_b32 s1, s12, s14
	v_rcp_iflag_f32_e32 v0, v0
	s_ashr_i32 s1, s1, 31
	s_load_dwordx2 s[16:17], s[4:5], 0x10
                                        ; implicit-def: $vgpr3
                                        ; implicit-def: $vgpr5
	v_mul_f32_e32 v0, 0x4f7ffffe, v0
	v_cvt_u32_f32_e32 v0, v0
	v_readfirstlane_b32 s8, v0
	s_mul_i32 s3, s3, s8
	s_mul_hi_u32 s3, s8, s3
	s_add_i32 s8, s8, s3
	s_mul_hi_u32 s3, s2, s8
	s_mul_i32 s8, s3, s0
	s_sub_i32 s2, s2, s8
	s_add_i32 s9, s3, 1
	s_sub_i32 s8, s2, s0
	s_cmp_ge_u32 s2, s0
	s_cselect_b32 s3, s9, s3
	s_cselect_b32 s2, s8, s2
	s_add_i32 s8, s3, 1
	s_cmp_ge_u32 s2, s0
	s_cselect_b32 s0, s8, s3
	s_xor_b32 s0, s0, s1
	s_sub_i32 s29, s0, s1
	v_cvt_f32_u32_e32 v0, s29
	s_sub_i32 s0, 0, s29
	v_rcp_iflag_f32_e32 v0, v0
	v_mul_f32_e32 v0, 0x4f7ffffe, v0
	v_cvt_u32_f32_e32 v0, v0
	v_readfirstlane_b32 s1, v0
	s_mul_i32 s0, s0, s1
	s_mul_hi_u32 s0, s1, s0
	s_add_i32 s1, s1, s0
	s_mul_hi_u32 s0, s28, s1
	s_mul_i32 s1, s0, s29
	s_sub_i32 s1, s28, s1
	s_add_i32 s2, s0, 1
	s_sub_i32 s3, s1, s29
	s_cmp_ge_u32 s1, s29
	s_cselect_b32 s0, s2, s0
	s_cselect_b32 s1, s3, s1
	s_add_i32 s2, s0, 1
	s_cmp_ge_u32 s1, s29
	s_cselect_b32 s30, s2, s0
	s_waitcnt vmcnt(0)
	v_and_b32_e32 v2, 28, v1
	v_cmp_lt_u32_e64 s[0:1], 4, v2
	s_and_saveexec_b64 s[2:3], s[0:1]
	s_xor_b64 s[2:3], exec, s[2:3]
	s_cbranch_execz .LBB2_19
; %bb.6:
	v_cmp_ne_u32_e32 vcc, 8, v2
                                        ; implicit-def: $vgpr3
                                        ; implicit-def: $vgpr5
	s_and_saveexec_b64 s[8:9], vcc
	s_xor_b64 s[8:9], exec, s[8:9]
	s_cbranch_execz .LBB2_16
; %bb.7:
	v_cmp_lt_u32_e32 vcc, 16, v2
                                        ; implicit-def: $vgpr3
                                        ; implicit-def: $vgpr5
	s_and_saveexec_b64 s[18:19], vcc
	s_xor_b64 s[18:19], exec, s[18:19]
	s_cbranch_execz .LBB2_13
; %bb.8:
	s_mul_i32 s14, s30, s13
	v_lshl_add_u32 v0, v4, 1, v4
	s_ashr_i32 s20, s14, 31
	v_ashrrev_i32_e32 v1, 31, v0
	s_lshr_b32 s20, s20, 27
	v_lshrrev_b32_e32 v1, 27, v1
	s_add_i32 s20, s14, s20
	v_add_u32_e32 v0, v0, v1
	s_ashr_i32 s20, s20, 5
	v_ashrrev_i32_e32 v0, 5, v0
	v_mad_u64_u32 v[0:1], s[20:21], s20, 3, v[0:1]
	s_waitcnt lgkmcnt(0)
	v_mov_b32_e32 v3, s17
	v_ashrrev_i32_e32 v1, 31, v0
	v_lshlrev_b64 v[0:1], 2, v[0:1]
	v_add_co_u32_e32 v0, vcc, s16, v0
	v_addc_co_u32_e32 v1, vcc, v3, v1, vcc
	global_load_dword v5, v[0:1], off
	v_cmp_ne_u32_e32 vcc, 20, v2
                                        ; implicit-def: $vgpr3
	s_and_saveexec_b64 s[20:21], vcc
	s_xor_b64 s[20:21], exec, s[20:21]
	s_cbranch_execz .LBB2_10
; %bb.9:
	v_not_b32_e32 v0, 63
	v_mad_u32_u24 v0, v2, 3, v0
	s_waitcnt vmcnt(0)
	v_lshrrev_b32_e32 v3, v0, v5
                                        ; implicit-def: $vgpr0_vgpr1
                                        ; implicit-def: $vgpr5
.LBB2_10:
	s_andn2_saveexec_b64 s[20:21], s[20:21]
	s_cbranch_execz .LBB2_12
; %bb.11:
	global_load_dword v0, v[0:1], off offset:4
	s_waitcnt vmcnt(0)
	v_alignbit_b32 v0, v0, v5, 28
	v_and_b32_e32 v3, 0xfff, v0
.LBB2_12:
	s_or_b64 exec, exec, s[20:21]
	s_waitcnt vmcnt(0)
	v_mov_b32_e32 v5, s14
.LBB2_13:
	s_andn2_saveexec_b64 s[18:19], s[18:19]
	s_cbranch_execz .LBB2_15
; %bb.14:
	s_mul_i32 s14, s30, s13
	v_lshl_add_u32 v0, v4, 1, v4
	s_ashr_i32 s20, s14, 31
	v_ashrrev_i32_e32 v1, 31, v0
	s_lshr_b32 s20, s20, 27
	v_lshrrev_b32_e32 v1, 27, v1
	s_add_i32 s20, s14, s20
	v_add_u32_e32 v0, v0, v1
	s_ashr_i32 s20, s20, 5
	v_ashrrev_i32_e32 v0, 5, v0
	v_mad_u64_u32 v[0:1], s[20:21], s20, 3, v[0:1]
	s_waitcnt lgkmcnt(0)
	v_mov_b32_e32 v3, s17
	v_mov_b32_e32 v5, s14
	v_ashrrev_i32_e32 v1, 31, v0
	v_lshlrev_b64 v[0:1], 2, v[0:1]
	v_add_co_u32_e32 v0, vcc, s16, v0
	v_addc_co_u32_e32 v1, vcc, v3, v1, vcc
	global_load_dword v0, v[0:1], off
	v_not_b32_e32 v1, 31
	v_mad_u32_u24 v1, v2, 3, v1
	s_waitcnt vmcnt(0)
	v_lshrrev_b32_e32 v3, v1, v0
.LBB2_15:
	s_or_b64 exec, exec, s[18:19]
.LBB2_16:
	s_andn2_saveexec_b64 s[8:9], s[8:9]
	s_cbranch_execz .LBB2_18
; %bb.17:
	s_mul_i32 s14, s30, s13
	v_lshl_add_u32 v0, v4, 1, v4
	s_ashr_i32 s18, s14, 31
	v_ashrrev_i32_e32 v1, 31, v0
	s_lshr_b32 s18, s18, 27
	v_lshrrev_b32_e32 v1, 27, v1
	s_add_i32 s18, s14, s18
	v_add_u32_e32 v0, v0, v1
	s_ashr_i32 s18, s18, 5
	v_ashrrev_i32_e32 v0, 5, v0
	v_mad_u64_u32 v[0:1], s[18:19], s18, 3, v[0:1]
	s_waitcnt lgkmcnt(0)
	v_mov_b32_e32 v3, s17
	s_mov_b32 s18, 0x2010007
	v_ashrrev_i32_e32 v1, 31, v0
	v_lshlrev_b64 v[0:1], 2, v[0:1]
	v_mov_b32_e32 v5, s14
	v_add_co_u32_e32 v0, vcc, s16, v0
	v_addc_co_u32_e32 v1, vcc, v3, v1, vcc
	global_load_dwordx2 v[0:1], v[0:1], off
	s_waitcnt vmcnt(0)
	v_perm_b32 v0, v0, v1, s18
	v_and_b32_e32 v3, 0xfff, v0
.LBB2_18:
	s_or_b64 exec, exec, s[8:9]
.LBB2_19:
	s_or_saveexec_b64 s[2:3], s[2:3]
	v_lshl_add_u32 v0, v4, 1, v4
	v_ashrrev_i32_e32 v1, 31, v0
	v_mul_u32_u24_e32 v6, 3, v2
	buffer_store_dword v6, off, s[76:79], 0 offset:356 ; 4-byte Folded Spill
	s_xor_b64 exec, exec, s[2:3]
	s_cbranch_execz .LBB2_21
; %bb.20:
	s_mul_i32 s14, s30, s13
	s_ashr_i32 s8, s14, 31
	s_lshr_b32 s8, s8, 27
	v_lshrrev_b32_e32 v3, 27, v1
	s_add_i32 s8, s14, s8
	v_add_u32_e32 v3, v0, v3
	s_ashr_i32 s8, s8, 5
	v_ashrrev_i32_e32 v3, 5, v3
	v_mad_u64_u32 v[5:6], s[8:9], s8, 3, v[3:4]
	s_waitcnt lgkmcnt(0)
	v_mov_b32_e32 v3, s17
	v_ashrrev_i32_e32 v6, 31, v5
	v_lshlrev_b64 v[5:6], 2, v[5:6]
	v_add_co_u32_e32 v5, vcc, s16, v5
	v_addc_co_u32_e32 v6, vcc, v3, v6, vcc
	global_load_dword v3, v[5:6], off
	v_mul_u32_u24_e32 v5, 3, v2
	s_waitcnt vmcnt(0)
	v_lshrrev_b32_e32 v3, v5, v3
	v_mov_b32_e32 v5, s14
.LBB2_21:
	s_or_b64 exec, exec, s[2:3]
	s_add_i32 s2, s28, 0x80
	v_cvt_f64_u32_e32 v[6:7], s2
	v_cvt_f64_i32_e32 v[8:9], s12
	s_waitcnt vmcnt(0) lgkmcnt(0)
	s_barrier
	v_min_f64 v[6:7], v[6:7], v[8:9]
	v_cvt_i32_f64_e32 v6, v[6:7]
	v_cmp_ge_i32_e32 vcc, s28, v6
	buffer_store_dword v6, off, s[76:79], 0 offset:336 ; 4-byte Folded Spill
	s_cbranch_vccnz .LBB2_46
; %bb.22:
	s_load_dwordx2 s[18:19], s[4:5], 0x18
	v_mov_b32_e32 v11, v4
	v_add_u32_e32 v5, v5, v11
	v_ashrrev_i32_e32 v6, 31, v5
	v_lshlrev_b64 v[5:6], 1, v[5:6]
	s_waitcnt lgkmcnt(0)
	v_mov_b32_e32 v7, s19
	v_add_co_u32_e32 v5, vcc, s18, v5
	v_addc_co_u32_e32 v6, vcc, v7, v6, vcc
	s_load_dwordx2 s[20:21], s[4:5], 0x30
	s_load_dwordx2 s[22:23], s[4:5], 0x0
	global_load_dwordx2 v[6:7], v[5:6], off
	s_lshr_b32 s24, s28, 5
	v_bfe_u32 v8, v3, 9, 3
	s_mul_i32 s24, s24, s13
	buffer_store_dword v8, off, s[76:79], 0 offset:164 ; 4-byte Folded Spill
	v_bfe_u32 v8, v3, 6, 3
	s_mul_i32 s24, s24, 3
	buffer_store_dword v8, off, s[76:79], 0 offset:160 ; 4-byte Folded Spill
	v_bfe_u32 v8, v3, 3, 3
	v_and_b32_e32 v3, 7, v3
	s_ashr_i32 s25, s24, 31
	s_add_i32 s12, s29, s28
	buffer_store_dword v3, off, s[76:79], 0 offset:152 ; 4-byte Folded Spill
	v_lshrrev_b32_e32 v1, 27, v1
	v_not_b32_e32 v3, 63
	s_lshl_b64 s[24:25], s[24:25], 2
	v_ashrrev_i32_e32 v12, 31, v11
	v_not_b32_e32 v10, 31
	v_add_u32_e32 v0, v0, v1
	v_mad_u32_u24 v1, v2, 3, v3
	s_waitcnt lgkmcnt(0)
	s_add_u32 s22, s22, s24
	buffer_store_dword v8, off, s[76:79], 0 offset:156 ; 4-byte Folded Spill
	buffer_store_dword v4, off, s[76:79], 0 ; 4-byte Folded Spill
	s_nop 0
	buffer_store_dword v5, off, s[76:79], 0 offset:4 ; 4-byte Folded Spill
	v_lshlrev_b64 v[8:9], 2, v[11:12]
	buffer_store_dword v1, off, s[76:79], 0 offset:364 ; 4-byte Folded Spill
	v_mad_u32_u24 v1, v2, 3, v10
	v_ashrrev_i32_e32 v0, 5, v0
	s_addc_u32 s23, s23, s25
	buffer_store_dword v1, off, s[76:79], 0 offset:360 ; 4-byte Folded Spill
	buffer_store_dword v0, off, s[76:79], 0 offset:348 ; 4-byte Folded Spill
	s_nop 0
	buffer_store_dword v1, off, s[76:79], 0 offset:352 ; 4-byte Folded Spill
	s_bitcmp1_b32 s15, 0
	v_mov_b32_e32 v0, s23
	v_add_co_u32_e32 v12, vcc, s22, v8
	s_cselect_b64 s[22:23], -1, 0
	s_add_i32 s24, s28, 30
	s_xor_b64 s[22:23], s[22:23], -1
	v_addc_co_u32_e32 v13, vcc, v0, v9, vcc
	s_add_i32 s26, s28, 29
	s_add_i32 s36, s28, 27
	v_cndmask_b32_e64 v0, 0, 1, s[22:23]
	s_mul_i32 s22, s13, s24
	s_add_i32 s38, s28, 25
	s_add_i32 s39, s28, 22
	;; [unrolled: 1-line block ×5, first 2 shown]
	s_mul_i32 s24, s13, s26
	s_mul_i32 s26, s13, s36
	s_add_i32 s36, s22, s6
	s_add_i32 s22, s28, 18
	s_mul_i32 s43, s13, s38
	s_mul_i32 s44, s13, s39
	;; [unrolled: 1-line block ×6, first 2 shown]
	s_add_i32 s42, s43, s6
	s_add_i32 s43, s44, s6
	;; [unrolled: 1-line block ×7, first 2 shown]
	s_mul_i32 s22, s13, s22
	s_add_i32 s48, s22, s6
	s_add_i32 s22, s28, 16
	s_mul_i32 s22, s13, s22
	s_add_i32 s49, s22, s6
	s_add_i32 s22, s28, 17
	;; [unrolled: 3-line block ×16, first 2 shown]
	s_mov_b32 s31, 0x10001
	s_mul_i32 s22, s13, s22
	s_add_i32 s25, s28, 28
	s_add_i32 s27, s28, 26
	;; [unrolled: 1-line block ×3, first 2 shown]
	buffer_store_dword v0, off, s[76:79], 0 offset:340 ; 4-byte Folded Spill
	s_waitcnt vmcnt(11)
	v_mul_u32_u24_sdwa v0, v7, s31 dst_sel:DWORD dst_unused:UNUSED_PAD src0_sel:WORD_1 src1_sel:DWORD
	s_add_i32 s64, s22, s6
	s_add_i32 s22, s28, 1
	s_mul_i32 s7, s7, s13
	s_mov_b32 s14, s13
	s_ashr_i32 s15, s13, 31
	s_mul_i32 s23, s13, s25
	s_mul_i32 s25, s13, s27
	;; [unrolled: 1-line block ×3, first 2 shown]
	buffer_store_dword v0, off, s[76:79], 0 offset:176 ; 4-byte Folded Spill
	v_mul_u32_u24_sdwa v0, v6, s31 dst_sel:DWORD dst_unused:UNUSED_PAD src0_sel:WORD_1 src1_sel:DWORD
	s_mul_i32 s22, s13, s22
	s_lshl_b32 s7, s7, 7
	v_cmp_ne_u32_e64 s[2:3], 8, v2
	v_cmp_lt_u32_e64 s[4:5], 16, v2
	v_cmp_ne_u32_e64 s[8:9], 20, v2
	s_mul_hi_i32 s33, s13, 12
	s_mul_i32 s34, s13, 12
	s_lshl_b32 s35, s13, 5
	s_add_i32 s37, s23, s6
	s_add_i32 s38, s24, s6
	;; [unrolled: 1-line block ×5, first 2 shown]
	v_mul_u32_u24_sdwa v63, v7, s31 dst_sel:DWORD dst_unused:UNUSED_PAD src0_sel:WORD_0 src1_sel:DWORD
	buffer_store_dword v0, off, s[76:79], 0 offset:172 ; 4-byte Folded Spill
	v_mul_u32_u24_sdwa v0, v6, s31 dst_sel:DWORD dst_unused:UNUSED_PAD src0_sel:WORD_0 src1_sel:DWORD
	s_add_i32 s65, s22, s6
	s_add_i32 s66, s7, s6
	s_lshl_b64 s[6:7], s[14:15], 2
	s_mov_b32 s67, 0
	s_mov_b32 s68, 0x2010007
	s_mov_b32 s69, 0x64006400
	s_movk_i32 s70, 0x3000
	s_movk_i32 s71, 0x2400
	s_mov_b32 s72, 0xffff0000
	buffer_store_dword v0, off, s[76:79], 0 offset:168 ; 4-byte Folded Spill
	s_branch .LBB2_24
.LBB2_23:                               ;   in Loop: Header=BB2_24 Depth=1
	s_waitcnt vmcnt(0)
	v_lshrrev_b32_e32 v5, 16, v9
	v_and_or_b32 v0, v0, s72, v5
	buffer_load_dword v5, off, s[76:79], 0  ; 4-byte Folded Reload
	buffer_load_dword v6, off, s[76:79], 0 offset:4 ; 4-byte Folded Reload
	v_mul_lo_u32 v3, v3, s13
	v_lshrrev_b32_e32 v2, 16, v2
	v_and_or_b32 v1, v1, s72, v2
	s_add_i32 s28, s28, 32
	s_add_i32 s36, s36, s35
	;; [unrolled: 1-line block ×32, first 2 shown]
	s_addk_i32 s67, 0x80
	s_waitcnt vmcnt(1)
	v_add_u32_e32 v2, v3, v5
	v_ashrrev_i32_e32 v3, 31, v2
	v_lshlrev_b64 v[2:3], 1, v[2:3]
	v_mov_b32_e32 v5, s21
	v_add_co_u32_e32 v2, vcc, s20, v2
	v_addc_co_u32_e32 v3, vcc, v5, v3, vcc
	global_store_dwordx2 v[2:3], v[0:1], off
	buffer_load_dword v12, off, s[76:79], 0 offset:12 ; 4-byte Folded Reload
	buffer_load_dword v13, off, s[76:79], 0 offset:16 ; 4-byte Folded Reload
	v_mov_b32_e32 v0, s33
	s_waitcnt vmcnt(1)
	v_add_co_u32_e32 v12, vcc, s34, v12
	s_waitcnt vmcnt(0)
	v_addc_co_u32_e32 v13, vcc, v13, v0, vcc
	buffer_load_dword v0, off, s[76:79], 0 offset:336 ; 4-byte Folded Reload
	s_waitcnt vmcnt(0)
	v_cmp_lt_i32_e32 vcc, s28, v0
	s_cbranch_vccz .LBB2_46
.LBB2_24:                               ; =>This Inner Loop Header: Depth=1
	s_cmp_lg_u32 s28, s12
	s_cbranch_scc1 .LBB2_42
; %bb.25:                               ;   in Loop: Header=BB2_24 Depth=1
	buffer_load_dword v0, off, s[76:79], 0 offset:348 ; 4-byte Folded Reload
	buffer_load_dword v1, off, s[76:79], 0 offset:352 ; 4-byte Folded Reload
	s_add_i32 s30, s30, 1
	s_mul_i32 s73, s30, s13
	s_ashr_i32 s14, s73, 31
	s_lshr_b32 s14, s14, 27
	s_add_i32 s14, s73, s14
	s_ashr_i32 s14, s14, 5
	v_mov_b32_e32 v2, s17
	s_waitcnt vmcnt(0)
	v_mad_u64_u32 v[0:1], s[14:15], s14, 3, v[0:1]
	v_ashrrev_i32_e32 v1, 31, v0
	v_lshlrev_b64 v[0:1], 2, v[0:1]
	v_add_co_u32_e32 v0, vcc, s16, v0
	v_addc_co_u32_e32 v1, vcc, v2, v1, vcc
	global_load_dword v3, v[0:1], off
                                        ; implicit-def: $vgpr2
	s_and_saveexec_b64 s[14:15], s[0:1]
	s_xor_b64 s[14:15], exec, s[14:15]
	s_cbranch_execz .LBB2_39
; %bb.26:                               ;   in Loop: Header=BB2_24 Depth=1
                                        ; implicit-def: $vgpr2
	s_and_saveexec_b64 s[22:23], s[2:3]
	s_xor_b64 s[22:23], exec, s[22:23]
	s_cbranch_execz .LBB2_36
; %bb.27:                               ;   in Loop: Header=BB2_24 Depth=1
	;; [unrolled: 5-line block ×4, first 2 shown]
	buffer_load_dword v0, off, s[76:79], 0 offset:364 ; 4-byte Folded Reload
	s_waitcnt vmcnt(0)
	v_lshrrev_b32_e32 v2, v0, v3
                                        ; implicit-def: $vgpr0_vgpr1
                                        ; implicit-def: $vgpr3
.LBB2_30:                               ;   in Loop: Header=BB2_24 Depth=1
	s_andn2_saveexec_b64 s[26:27], s[26:27]
	s_cbranch_execz .LBB2_32
; %bb.31:                               ;   in Loop: Header=BB2_24 Depth=1
	global_load_dword v0, v[0:1], off offset:4
	s_waitcnt vmcnt(0)
	v_alignbit_b32 v0, v0, v3, 28
	v_and_b32_e32 v2, 0xfff, v0
.LBB2_32:                               ;   in Loop: Header=BB2_24 Depth=1
	s_or_b64 exec, exec, s[26:27]
                                        ; implicit-def: $vgpr3
.LBB2_33:                               ;   in Loop: Header=BB2_24 Depth=1
	s_andn2_saveexec_b64 s[24:25], s[24:25]
	s_cbranch_execz .LBB2_35
; %bb.34:                               ;   in Loop: Header=BB2_24 Depth=1
	buffer_load_dword v0, off, s[76:79], 0 offset:360 ; 4-byte Folded Reload
	s_waitcnt vmcnt(0)
	v_lshrrev_b32_e32 v2, v0, v3
.LBB2_35:                               ;   in Loop: Header=BB2_24 Depth=1
	s_or_b64 exec, exec, s[24:25]
                                        ; implicit-def: $vgpr0_vgpr1
                                        ; implicit-def: $vgpr3
.LBB2_36:                               ;   in Loop: Header=BB2_24 Depth=1
	s_andn2_saveexec_b64 s[22:23], s[22:23]
	s_cbranch_execz .LBB2_38
; %bb.37:                               ;   in Loop: Header=BB2_24 Depth=1
	global_load_dword v0, v[0:1], off offset:4
	s_waitcnt vmcnt(0)
	v_perm_b32 v0, v3, v0, s68
	v_and_b32_e32 v2, 0xfff, v0
.LBB2_38:                               ;   in Loop: Header=BB2_24 Depth=1
	s_or_b64 exec, exec, s[22:23]
                                        ; implicit-def: $vgpr3
.LBB2_39:                               ;   in Loop: Header=BB2_24 Depth=1
	s_andn2_saveexec_b64 s[14:15], s[14:15]
	s_cbranch_execz .LBB2_41
; %bb.40:                               ;   in Loop: Header=BB2_24 Depth=1
	buffer_load_dword v0, off, s[76:79], 0 offset:356 ; 4-byte Folded Reload
	s_waitcnt vmcnt(0)
	v_lshrrev_b32_e32 v2, v0, v3
.LBB2_41:                               ;   in Loop: Header=BB2_24 Depth=1
	s_or_b64 exec, exec, s[14:15]
	buffer_load_dword v0, off, s[76:79], 0  ; 4-byte Folded Reload
	buffer_load_dword v1, off, s[76:79], 0 offset:4 ; 4-byte Folded Reload
	s_waitcnt vmcnt(2)
	v_mov_b32_e32 v3, s19
	s_add_i32 s12, s12, s29
	s_waitcnt vmcnt(1)
	v_add_u32_e32 v0, s73, v0
	s_waitcnt vmcnt(0)
	v_ashrrev_i32_e32 v1, 31, v0
	v_lshlrev_b64 v[0:1], 1, v[0:1]
	v_add_co_u32_e32 v0, vcc, s18, v0
	v_addc_co_u32_e32 v1, vcc, v3, v1, vcc
	global_load_dwordx2 v[0:1], v[0:1], off
	v_and_b32_e32 v3, 7, v2
	buffer_store_dword v3, off, s[76:79], 0 offset:152 ; 4-byte Folded Spill
	v_bfe_u32 v3, v2, 3, 3
	buffer_store_dword v3, off, s[76:79], 0 offset:156 ; 4-byte Folded Spill
	v_bfe_u32 v3, v2, 6, 3
	v_bfe_u32 v2, v2, 9, 3
	buffer_store_dword v2, off, s[76:79], 0 offset:164 ; 4-byte Folded Spill
	buffer_store_dword v3, off, s[76:79], 0 offset:160 ; 4-byte Folded Spill
	s_waitcnt vmcnt(4)
	v_mul_u32_u24_sdwa v2, v0, s31 dst_sel:DWORD dst_unused:UNUSED_PAD src0_sel:WORD_0 src1_sel:DWORD
	v_mul_u32_u24_sdwa v0, v0, s31 dst_sel:DWORD dst_unused:UNUSED_PAD src0_sel:WORD_1 src1_sel:DWORD
	buffer_store_dword v0, off, s[76:79], 0 offset:172 ; 4-byte Folded Spill
	v_mul_u32_u24_sdwa v63, v1, s31 dst_sel:DWORD dst_unused:UNUSED_PAD src0_sel:WORD_0 src1_sel:DWORD
	v_mul_u32_u24_sdwa v0, v1, s31 dst_sel:DWORD dst_unused:UNUSED_PAD src0_sel:WORD_1 src1_sel:DWORD
	buffer_store_dword v2, off, s[76:79], 0 offset:168 ; 4-byte Folded Spill
	buffer_store_dword v0, off, s[76:79], 0 offset:176 ; 4-byte Folded Spill
.LBB2_42:                               ;   in Loop: Header=BB2_24 Depth=1
	global_load_dwordx4 v[19:22], v[12:13], off
	v_add_co_u32_e32 v6, vcc, s6, v12
	v_mov_b32_e32 v9, s7
	s_waitcnt vmcnt(0)
	v_and_b32_e32 v0, 0x380038, v22
	buffer_store_dword v0, off, s[76:79], 0 offset:8 ; 4-byte Folded Spill
	v_lshrrev_b32_e32 v0, 15, v22
	buffer_store_dword v0, off, s[76:79], 0 offset:20 ; 4-byte Folded Spill
	buffer_store_dword v12, off, s[76:79], 0 offset:12 ; 4-byte Folded Spill
	s_nop 0
	buffer_store_dword v13, off, s[76:79], 0 offset:16 ; 4-byte Folded Spill
	v_and_b32_e32 v42, 0x70007, v19
	v_and_b32_e32 v44, 0x70007, v20
	;; [unrolled: 1-line block ×4, first 2 shown]
	v_lshrrev_b32_e32 v15, 6, v20
	v_lshrrev_b32_e32 v17, 15, v20
	v_and_b32_e32 v2, 0x380038, v21
	v_lshrrev_b32_e32 v3, 6, v21
	v_lshrrev_b32_e32 v14, 15, v21
	v_and_b32_e32 v11, 0x70007, v22
	v_lshrrev_b32_e32 v20, 6, v22
	v_and_b32_e32 v18, 0x380038, v19
	v_lshrrev_b32_e32 v5, 6, v19
	v_lshrrev_b32_e32 v19, 15, v19
	v_or_b32_e32 v11, 0x64006400, v11
	v_addc_co_u32_e32 v7, vcc, v13, v9, vcc
	v_add_co_u32_e32 v8, vcc, s6, v6
	v_addc_co_u32_e32 v9, vcc, v7, v9, vcc
	global_load_dwordx4 v[27:30], v[6:7], off
	s_nop 0
	global_load_dwordx4 v[6:9], v[8:9], off
	v_mov_b32_e32 v13, 0xe400e400
	s_andn2_b64 vcc, exec, s[10:11]
	s_waitcnt vmcnt(1)
	v_and_b32_e32 v0, 0x70007, v30
	buffer_store_dword v0, off, s[76:79], 0 offset:24 ; 4-byte Folded Spill
	v_and_b32_e32 v37, 0x70007, v27
	v_and_b32_e32 v31, 0x380038, v27
	v_lshrrev_b32_e32 v57, 6, v27
	v_lshrrev_b32_e32 v32, 14, v27
	v_and_b32_e32 v45, 0x70007, v28
	v_and_b32_e32 v47, 0x380038, v28
	v_lshrrev_b32_e32 v46, 6, v28
	v_lshrrev_b32_e32 v54, 14, v28
	s_waitcnt vmcnt(1)
	v_and_b32_e32 v27, 0x70007, v9
	v_and_b32_e32 v36, 0x380038, v9
	v_lshrrev_b32_e32 v28, 6, v9
	v_lshrrev_b32_e32 v41, 13, v9
	buffer_load_dword v12, off, s[76:79], 0 offset:340 ; 4-byte Folded Reload
	buffer_load_dword v9, off, s[76:79], 0 offset:152 ; 4-byte Folded Reload
	v_and_b32_e32 v50, 0x70007, v7
	v_and_b32_e32 v58, 0x380038, v7
	v_lshrrev_b32_e32 v51, 6, v7
	v_lshrrev_b32_e32 v0, 13, v7
	v_or_b32_e32 v7, 0x64006400, v42
	v_and_b32_e32 v22, 0x70007, v29
	v_and_b32_e32 v40, 0x380038, v29
	v_lshrrev_b32_e32 v34, 6, v29
	v_lshrrev_b32_e32 v43, 14, v29
	v_and_b32_e32 v29, 0x380038, v30
	v_lshrrev_b32_e32 v21, 6, v30
	v_lshrrev_b32_e32 v35, 14, v30
	v_and_b32_e32 v38, 0x70007, v8
	v_and_b32_e32 v48, 0x380038, v8
	v_lshrrev_b32_e32 v39, 6, v8
	v_lshrrev_b32_e32 v49, 13, v8
	v_or_b32_e32 v8, 0x64006400, v44
	v_or_b32_e32 v30, 0x64006400, v10
	v_and_b32_e32 v1, 0x70007, v6
	v_and_b32_e32 v33, 0x380038, v6
	v_lshrrev_b32_e32 v62, 6, v6
	v_lshrrev_b32_e32 v6, 13, v6
	v_and_b32_e32 v6, 0x40004, v6
	v_or_b32_e32 v47, 0x64006400, v47
	v_or_b32_e32 v40, 0x64006400, v40
	;; [unrolled: 1-line block ×5, first 2 shown]
	buffer_load_dword v42, off, s[76:79], 0 offset:160 ; 4-byte Folded Reload
	buffer_load_dword v4, off, s[76:79], 0 offset:172 ; 4-byte Folded Reload
	;; [unrolled: 1-line block ×3, first 2 shown]
	s_waitcnt vmcnt(3)
	v_add_u32_e32 v53, v9, v12
	buffer_load_dword v9, off, s[76:79], 0 offset:156 ; 4-byte Folded Reload
	v_mad_u32_u24 v10, v53, s31, v13
	v_pk_add_f16 v7, v10, v7
	s_waitcnt vmcnt(3)
	v_add_u32_e32 v52, v42, v12
	v_mad_u32_u24 v44, v52, s31, v13
	v_pk_add_f16 v55, v44, v30
	buffer_load_dword v30, off, s[76:79], 0 offset:164 ; 4-byte Folded Reload
	v_pk_mul_f16 v55, v63, v55
	v_and_b32_e32 v60, 0xffff, v55
	v_lshrrev_b32_e32 v55, 16, v55
	s_waitcnt vmcnt(1)
	v_add_u32_e32 v9, v9, v12
	v_mad_u32_u24 v59, v9, s31, v13
	v_pk_add_f16 v8, v59, v8
	v_pk_mul_f16 v8, v4, v8
	s_waitcnt vmcnt(0)
	v_add_u32_e32 v42, v30, v12
	buffer_load_dword v12, off, s[76:79], 0 offset:168 ; 4-byte Folded Reload
	v_mad_u32_u24 v30, v42, s31, v13
	v_and_b32_e32 v13, 0x40004, v49
	v_pk_add_f16 v11, v30, v11
	v_pk_add_f16 v27, v30, v27
	v_pk_mul_f16 v11, v61, v11
	v_lshl_or_b32 v26, v11, 16, v60
	v_and_or_b32 v24, v11, s72, v55
	v_or_b32_e32 v11, 0x64006400, v18
	v_and_b32_e32 v18, 0x380038, v5
	v_or_b32_e32 v18, 0x64006400, v18
	s_waitcnt vmcnt(0)
	v_pk_mul_f16 v7, v12, v7
	v_and_b32_e32 v56, 0xffff, v7
	v_lshrrev_b32_e32 v7, 16, v7
	v_and_or_b32 v23, v8, s72, v7
	v_and_b32_e32 v7, 0x20002, v32
	v_lshl_or_b32 v25, v8, 16, v56
	v_or_b32_e32 v32, 0x64006400, v33
	v_and_b32_e32 v33, 0x380038, v62
	v_mov_b32_e32 v56, v12
	v_and_or_b32 v7, v19, s31, v7
	v_or_b32_e32 v19, 0x64006400, v31
	v_and_b32_e32 v31, 0x380038, v57
	v_or_b32_e32 v33, 0x64006400, v33
	v_or3_b32 v6, v7, v6, s69
	v_cvt_f32_u32_e32 v7, v53
	v_or_b32_e32 v31, 0x64006400, v31
	v_cvt_f16_f32_e32 v7, v7
	v_sub_f16_e32 v8, 0xd800, v7
	v_sub_f16_e32 v7, 0xcc00, v7
	v_mul_u32_u24_e32 v8, 0x10001, v8
	v_mul_u32_u24_e32 v7, 0x10001, v7
	v_pk_fma_f16 v55, v11, s70, v8 op_sel_hi:[1,0,1]
	v_pk_fma_f16 v11, v19, s70, v8 op_sel_hi:[1,0,1]
	;; [unrolled: 1-line block ×3, first 2 shown]
	buffer_store_dword v11, off, s[76:79], 0 offset:32 ; 4-byte Folded Spill
	v_pk_fma_f16 v11, v31, s70, v8 op_sel_hi:[1,0,1]
	v_pk_add_f16 v31, v10, v6
	v_and_b32_e32 v6, 0x20002, v54
	buffer_store_dword v11, off, s[76:79], 0 offset:52 ; 4-byte Folded Spill
	v_pk_fma_f16 v11, v32, s70, v8 op_sel_hi:[1,0,1]
	v_pk_fma_f16 v8, v33, s70, v8 op_sel_hi:[1,0,1]
	v_and_b32_e32 v33, 0x1c001c0, v62
	v_and_or_b32 v6, v17, s31, v6
	buffer_store_dword v11, off, s[76:79], 0 offset:104 ; 4-byte Folded Spill
	buffer_store_dword v8, off, s[76:79], 0 offset:140 ; 4-byte Folded Spill
	v_and_b32_e32 v8, 0x1c001c0, v5
	v_and_b32_e32 v11, 0x1c001c0, v57
	v_or_b32_e32 v33, 0x64006400, v33
	v_and_b32_e32 v5, 0x70007, v5
	v_or_b32_e32 v8, 0x64006400, v8
	v_or_b32_e32 v11, 0x64006400, v11
	;; [unrolled: 1-line block ×3, first 2 shown]
	v_pk_fma_f16 v60, v8, s71, v7 op_sel_hi:[1,0,1]
	v_pk_fma_f16 v8, v11, s71, v7 op_sel_hi:[1,0,1]
	;; [unrolled: 1-line block ×3, first 2 shown]
	buffer_store_dword v8, off, s[76:79], 0 offset:60 ; 4-byte Folded Spill
	buffer_store_dword v7, off, s[76:79], 0 offset:144 ; 4-byte Folded Spill
	v_or_b32_e32 v7, 0x64006400, v37
	v_and_b32_e32 v8, 0x70007, v57
	v_or_b32_e32 v11, 0x64006400, v8
	v_and_b32_e32 v8, 0x70007, v62
	v_pk_add_f16 v62, v10, v7
	v_and_b32_e32 v7, 0x40004, v0
	buffer_load_dword v0, off, s[76:79], 0 offset:20 ; 4-byte Folded Reload
	v_or3_b32 v6, v6, v7, s69
	v_cvt_f32_u32_e32 v7, v9
	v_or_b32_e32 v37, 0x64006400, v1
	v_pk_add_f16 v32, v10, v37
	v_pk_add_f16 v37, v59, v6
	v_cvt_f16_f32_e32 v7, v7
	v_and_b32_e32 v6, 0x20002, v43
	v_and_or_b32 v6, v14, s31, v6
	v_or_b32_e32 v57, 0x64006400, v8
	v_or3_b32 v6, v6, v13, s69
	v_cvt_f32_u32_e32 v13, v52
	v_pk_add_f16 v8, v10, v5
	v_pk_add_f16 v19, v10, v11
	;; [unrolled: 1-line block ×3, first 2 shown]
	v_sub_f16_e32 v9, 0xd800, v7
	v_and_b32_e32 v10, 0x380038, v15
	v_mul_u32_u24_e32 v11, 0x10001, v9
	v_or_b32_e32 v9, 0x64006400, v16
	v_or_b32_e32 v16, 0x64006400, v10
	v_and_b32_e32 v10, 0x380038, v46
	v_or_b32_e32 v54, 0x64006400, v10
	v_and_b32_e32 v10, 0x380038, v51
	v_or_b32_e32 v57, 0x64006400, v58
	v_or_b32_e32 v58, 0x64006400, v10
	v_cvt_f16_f32_e32 v13, v13
	v_pk_fma_f16 v10, v9, s70, v11 op_sel_hi:[1,0,1]
	v_pk_fma_f16 v17, v16, s70, v11 op_sel_hi:[1,0,1]
	;; [unrolled: 1-line block ×6, first 2 shown]
	v_sub_f16_e32 v7, 0xcc00, v7
	v_and_b32_e32 v11, 0x1c001c0, v15
	v_and_b32_e32 v54, 0x1c001c0, v46
	;; [unrolled: 1-line block ×3, first 2 shown]
	v_mul_u32_u24_e32 v7, 0x10001, v7
	v_or_b32_e32 v11, 0x64006400, v11
	v_or_b32_e32 v54, 0x64006400, v54
	v_or_b32_e32 v58, 0x64006400, v58
	v_pk_fma_f16 v11, v11, s71, v7 op_sel_hi:[1,0,1]
	v_pk_fma_f16 v54, v54, s71, v7 op_sel_hi:[1,0,1]
	;; [unrolled: 1-line block ×3, first 2 shown]
	v_and_b32_e32 v7, 0x70007, v15
	v_or_b32_e32 v15, 0x64006400, v45
	v_and_b32_e32 v45, 0x70007, v46
	v_or_b32_e32 v45, 0x64006400, v45
	v_or_b32_e32 v46, 0x64006400, v50
	v_and_b32_e32 v50, 0x70007, v51
	v_pk_add_f16 v51, v59, v15
	v_sub_f16_e32 v14, 0xd800, v13
	v_and_b32_e32 v15, 0x380038, v3
	buffer_store_dword v1, off, s[76:79], 0 offset:116 ; 4-byte Folded Spill
	v_or_b32_e32 v7, 0x64006400, v7
	v_or_b32_e32 v50, 0x64006400, v50
	v_pk_add_f16 v12, v59, v45
	v_pk_add_f16 v45, v59, v46
	v_mul_u32_u24_e32 v14, 0x10001, v14
	v_or_b32_e32 v1, 0x64006400, v2
	v_or_b32_e32 v15, 0x64006400, v15
	;; [unrolled: 1-line block ×3, first 2 shown]
	v_pk_add_f16 v7, v59, v7
	v_pk_add_f16 v33, v59, v50
	v_and_b32_e32 v43, 0x380038, v34
	v_and_b32_e32 v48, 0x380038, v39
	v_pk_fma_f16 v49, v1, s70, v14 op_sel_hi:[1,0,1]
	v_pk_fma_f16 v50, v15, s70, v14 op_sel_hi:[1,0,1]
	;; [unrolled: 1-line block ×4, first 2 shown]
	v_sub_f16_e32 v1, 0xcc00, v13
	v_and_b32_e32 v13, 0x1c001c0, v3
	v_and_b32_e32 v15, 0x1c001c0, v34
	v_and_b32_e32 v46, 0x1c001c0, v39
	v_or_b32_e32 v43, 0x64006400, v43
	v_or_b32_e32 v48, 0x64006400, v48
	v_mul_u32_u24_e32 v1, 0x10001, v1
	v_or_b32_e32 v13, 0x64006400, v13
	v_or_b32_e32 v15, 0x64006400, v15
	;; [unrolled: 1-line block ×3, first 2 shown]
	v_pk_fma_f16 v43, v43, s70, v14 op_sel_hi:[1,0,1]
	v_pk_fma_f16 v14, v48, s70, v14 op_sel_hi:[1,0,1]
	;; [unrolled: 1-line block ×5, first 2 shown]
	v_and_b32_e32 v1, 0x70007, v3
	v_or_b32_e32 v1, 0x64006400, v1
	v_or_b32_e32 v3, 0x64006400, v22
	v_and_b32_e32 v22, 0x70007, v34
	v_or_b32_e32 v34, 0x64006400, v38
	v_and_b32_e32 v38, 0x70007, v39
	v_pk_add_f16 v39, v44, v1
	v_and_b32_e32 v1, 0x20002, v35
	s_waitcnt vmcnt(1)
	v_and_or_b32 v1, v0, s31, v1
	buffer_load_dword v0, off, s[76:79], 0 offset:8 ; 4-byte Folded Reload
	buffer_load_dword v18, off, s[76:79], 0 offset:24 ; 4-byte Folded Reload
	v_and_b32_e32 v2, 0x40004, v41
	v_or3_b32 v2, v1, v2, s69
	v_cvt_f32_u32_e32 v1, v42
	v_pk_add_f16 v46, v44, v3
	v_pk_add_f16 v3, v44, v6
	v_or_b32_e32 v38, 0x64006400, v38
	v_cvt_f16_f32_e32 v6, v1
	v_and_b32_e32 v41, 0x380038, v20
	v_pk_add_f16 v5, v44, v38
	v_or_b32_e32 v41, 0x64006400, v41
	v_sub_f16_e32 v1, 0xd800, v6
	v_mul_u32_u24_e32 v1, 0x10001, v1
	v_sub_f16_e32 v6, 0xcc00, v6
	v_pk_fma_f16 v41, v41, s70, v1 op_sel_hi:[1,0,1]
	v_mul_u32_u24_e32 v6, 0x10001, v6
	v_pk_mul_f16 v7, v4, v7
	buffer_store_dword v7, off, s[76:79], 0 offset:20 ; 4-byte Folded Spill
	v_pk_mul_f16 v7, v61, v41
	buffer_store_dword v7, off, s[76:79], 0 offset:24 ; 4-byte Folded Spill
	v_or_b32_e32 v22, 0x64006400, v22
	v_pk_add_f16 v22, v44, v22
	v_pk_add_f16 v34, v44, v34
	v_and_b32_e32 v42, 0x380038, v21
	v_and_b32_e32 v44, 0x380038, v28
	v_or_b32_e32 v42, 0x64006400, v42
	v_or_b32_e32 v44, 0x64006400, v44
	v_pk_fma_f16 v42, v42, s70, v1 op_sel_hi:[1,0,1]
	v_pk_fma_f16 v36, v36, s70, v1 op_sel_hi:[1,0,1]
	v_and_b32_e32 v52, 0x1c001c0, v28
	v_and_b32_e32 v28, 0x70007, v28
	v_or_b32_e32 v28, 0x64006400, v28
	v_pk_mul_f16 v41, v56, v60
	v_pk_mul_f16 v60, v56, v62
	v_or_b32_e32 v52, 0x64006400, v52
	v_pk_add_f16 v28, v30, v28
	v_pk_mul_f16 v48, v63, v48
	v_pk_mul_f16 v34, v63, v34
	;; [unrolled: 1-line block ×9, first 2 shown]
	s_waitcnt vmcnt(3)
	v_or_b32_e32 v35, 0x64006400, v0
	v_pk_fma_f16 v38, v35, s70, v1 op_sel_hi:[1,0,1]
	v_pk_fma_f16 v35, v29, s70, v1 op_sel_hi:[1,0,1]
	v_and_b32_e32 v29, 0x1c001c0, v20
	v_or_b32_e32 v29, 0x64006400, v29
	v_pk_fma_f16 v29, v29, s71, v6 op_sel_hi:[1,0,1]
	v_and_b32_e32 v0, 0x70007, v20
	s_waitcnt vmcnt(2)
	v_or_b32_e32 v20, 0x64006400, v18
	v_pk_add_f16 v20, v30, v20
	v_pk_mul_f16 v7, v61, v29
	buffer_store_dword v7, off, s[76:79], 0 offset:28 ; 4-byte Folded Spill
	v_pk_mul_f16 v7, v61, v20
	buffer_store_dword v7, off, s[76:79], 0 offset:40 ; 4-byte Folded Spill
	buffer_load_dword v7, off, s[76:79], 0 offset:32 ; 4-byte Folded Reload
	v_pk_fma_f16 v1, v44, s70, v1 op_sel_hi:[1,0,1]
	v_and_b32_e32 v44, 0x1c001c0, v21
	v_and_b32_e32 v21, 0x70007, v21
	v_or_b32_e32 v21, 0x64006400, v21
	v_pk_add_f16 v21, v30, v21
	v_or_b32_e32 v0, 0x64006400, v0
	v_pk_add_f16 v0, v30, v0
	v_pk_add_f16 v18, v30, v2
	v_pk_mul_f16 v2, v56, v55
	v_pk_mul_f16 v55, v61, v0
	;; [unrolled: 1-line block ×3, first 2 shown]
	v_or_b32_e32 v44, 0x64006400, v44
	v_pk_mul_f16 v30, v63, v39
	v_and_b32_e32 v39, 0xffff, v0
	v_lshrrev_b32_e32 v62, 16, v0
	v_lshrrev_b32_e32 v0, 16, v60
	v_pk_fma_f16 v44, v44, s71, v6 op_sel_hi:[1,0,1]
	v_pk_fma_f16 v6, v52, s71, v6 op_sel_hi:[1,0,1]
	v_pk_mul_f16 v52, v4, v17
	v_pk_mul_f16 v17, v4, v51
	;; [unrolled: 1-line block ×3, first 2 shown]
	buffer_store_dword v0, off, s[76:79], 0 offset:64 ; 4-byte Folded Spill
	v_pk_mul_f16 v38, v61, v38
	v_lshrrev_b32_e32 v59, 16, v49
	v_and_b32_e32 v53, 0xffff, v8
	v_lshrrev_b32_e32 v29, 16, v30
	s_waitcnt vmcnt(1)
	v_pk_mul_f16 v20, v56, v7
	v_pk_mul_f16 v7, v4, v16
	buffer_store_dword v7, off, s[76:79], 0 offset:32 ; 4-byte Folded Spill
	v_pk_mul_f16 v7, v61, v35
	buffer_store_dword v7, off, s[76:79], 0 offset:36 ; 4-byte Folded Spill
	;; [unrolled: 2-line block ×4, first 2 shown]
	buffer_load_dword v7, off, s[76:79], 0 offset:52 ; 4-byte Folded Reload
	v_lshrrev_b32_e32 v0, 16, v20
	v_pk_mul_f16 v35, v56, v19
	buffer_store_dword v0, off, s[76:79], 0 offset:72 ; 4-byte Folded Spill
	v_and_b32_e32 v0, 0xffff, v51
	v_pk_mul_f16 v12, v63, v22
	buffer_store_dword v0, off, s[76:79], 0 offset:76 ; 4-byte Folded Spill
	v_lshrrev_b32_e32 v0, 16, v35
	buffer_store_dword v0, off, s[76:79], 0 offset:88 ; 4-byte Folded Spill
	v_lshrrev_b32_e32 v0, 16, v12
	;; [unrolled: 2-line block ×3, first 2 shown]
	v_and_b32_e32 v19, 0xffff, v49
	v_and_b32_e32 v16, 0xffff, v30
	;; [unrolled: 1-line block ×4, first 2 shown]
	s_waitcnt vmcnt(4)
	v_pk_mul_f16 v21, v56, v7
	v_pk_mul_f16 v7, v4, v9
	buffer_store_dword v7, off, s[76:79], 0 offset:56 ; 4-byte Folded Spill
	v_pk_mul_f16 v7, v61, v42
	buffer_store_dword v7, off, s[76:79], 0 offset:52 ; 4-byte Folded Spill
	buffer_load_dword v7, off, s[76:79], 0 offset:60 ; 4-byte Folded Reload
	v_pk_mul_f16 v9, v63, v43
	v_and_b32_e32 v0, 0xffff, v21
	buffer_store_dword v0, off, s[76:79], 0 offset:96 ; 4-byte Folded Spill
	v_and_b32_e32 v0, 0xffff, v9
	buffer_store_dword v0, off, s[76:79], 0 offset:100 ; 4-byte Folded Spill
	;; [unrolled: 2-line block ×3, first 2 shown]
	v_and_b32_e32 v43, 0xffff, v2
	v_lshrrev_b32_e32 v21, 16, v21
	v_lshrrev_b32_e32 v48, 16, v48
	s_waitcnt vmcnt(3)
	v_pk_mul_f16 v42, v56, v7
	v_pk_mul_f16 v7, v4, v54
	buffer_store_dword v7, off, s[76:79], 0 offset:60 ; 4-byte Folded Spill
	v_pk_mul_f16 v7, v61, v44
	v_pk_mul_f16 v44, v56, v32
	v_lshrrev_b32_e32 v0, 16, v44
	buffer_store_dword v0, off, s[76:79], 0 offset:132 ; 4-byte Folded Spill
	v_lshrrev_b32_e32 v0, 16, v34
	buffer_store_dword v0, off, s[76:79], 0 offset:128 ; 4-byte Folded Spill
	buffer_load_dword v0, off, s[76:79], 0 offset:104 ; 4-byte Folded Reload
	v_and_b32_e32 v2, 0xffff, v44
	v_and_b32_e32 v44, 0xffff, v34
	buffer_store_dword v7, off, s[76:79], 0 offset:68 ; 4-byte Folded Spill
	v_pk_mul_f16 v7, v4, v45
	buffer_store_dword v7, off, s[76:79], 0 offset:80 ; 4-byte Folded Spill
	v_pk_mul_f16 v7, v61, v27
	buffer_store_dword v7, off, s[76:79], 0 offset:84 ; 4-byte Folded Spill
	v_lshrrev_b32_e32 v45, 16, v8
	v_lshrrev_b32_e32 v7, 16, v50
	v_and_b32_e32 v54, 0xffff, v41
	v_lshrrev_b32_e32 v41, 16, v41
	v_lshrrev_b32_e32 v8, 16, v13
	v_and_b32_e32 v50, 0xffff, v60
	v_and_b32_e32 v60, 0xffff, v46
	v_lshrrev_b32_e32 v13, 16, v46
	v_and_b32_e32 v27, 0xffff, v20
	v_lshrrev_b32_e32 v46, 16, v51
	v_and_b32_e32 v20, 0xffff, v35
	v_and_b32_e32 v35, 0xffff, v12
	v_lshrrev_b32_e32 v51, 16, v9
	v_and_b32_e32 v9, 0xffff, v42
	v_lshrrev_b32_e32 v42, 16, v42
	v_pk_mul_f16 v12, v63, v15
	v_pk_mul_f16 v32, v63, v3
	s_waitcnt vmcnt(3)
	v_pk_mul_f16 v34, v56, v0
	v_pk_mul_f16 v0, v4, v47
	buffer_store_dword v0, off, s[76:79], 0 offset:108 ; 4-byte Folded Spill
	v_pk_mul_f16 v0, v63, v40
	buffer_store_dword v0, off, s[76:79], 0 offset:104 ; 4-byte Folded Spill
	;; [unrolled: 2-line block ×3, first 2 shown]
	buffer_load_dword v0, off, s[76:79], 0 offset:116 ; 4-byte Folded Reload
	v_pk_mul_f16 v40, v4, v33
	v_pk_mul_f16 v36, v4, v57
	;; [unrolled: 1-line block ×4, first 2 shown]
	s_waitcnt vmcnt(0)
	v_pk_mul_f16 v0, v56, v0
	buffer_store_dword v0, off, s[76:79], 0 offset:124 ; 4-byte Folded Spill
	v_pk_mul_f16 v0, v63, v5
	buffer_store_dword v0, off, s[76:79], 0 offset:116 ; 4-byte Folded Spill
	;; [unrolled: 2-line block ×3, first 2 shown]
	buffer_load_dword v0, off, s[76:79], 0 offset:140 ; 4-byte Folded Reload
	v_pk_mul_f16 v5, v63, v14
	v_pk_mul_f16 v14, v61, v1
	buffer_store_dword v31, off, s[76:79], 0 offset:140 ; 4-byte Folded Spill
	v_pk_mul_f16 v1, v61, v6
	s_waitcnt vmcnt(1)
	v_pk_mul_f16 v47, v56, v0
	buffer_load_dword v0, off, s[76:79], 0 offset:144 ; 4-byte Folded Reload
	s_waitcnt vmcnt(0)
	v_pk_mul_f16 v28, v56, v0
	v_pk_mul_f16 v0, v56, v31
	v_pk_mul_f16 v31, v4, v37
	buffer_store_dword v0, off, s[76:79], 0 offset:304 ; 4-byte Folded Spill
	buffer_store_dword v37, off, s[76:79], 0 offset:148 ; 4-byte Folded Spill
	;; [unrolled: 1-line block ×5, first 2 shown]
	s_nop 0
	buffer_store_dword v24, off, s[76:79], 0 offset:188 ; 4-byte Folded Spill
	buffer_store_dword v9, off, s[76:79], 0 offset:192 ; 4-byte Folded Spill
	;; [unrolled: 1-line block ×5, first 2 shown]
	s_nop 0
	buffer_store_dword v26, off, s[76:79], 0 offset:208 ; 4-byte Folded Spill
	buffer_store_dword v20, off, s[76:79], 0 offset:212 ; 4-byte Folded Spill
	;; [unrolled: 1-line block ×25, first 2 shown]
	s_cbranch_vccnz .LBB2_44
; %bb.43:                               ;   in Loop: Header=BB2_24 Depth=1
	v_mov_b32_e32 v0, s67
	buffer_store_dword v31, off, s[76:79], 0 offset:308 ; 4-byte Folded Spill
	buffer_store_dword v32, off, s[76:79], 0 offset:312 ; 4-byte Folded Spill
	;; [unrolled: 1-line block ×5, first 2 shown]
	ds_read_b128 v[31:34], v0
	v_mov_b32_e32 v15, v27
	buffer_load_dword v27, off, s[76:79], 0 ; 4-byte Folded Reload
	buffer_load_dword v28, off, s[76:79], 0 offset:4 ; 4-byte Folded Reload
	v_mov_b32_e32 v6, v2
	v_mov_b32_e32 v3, s21
	s_waitcnt lgkmcnt(0)
	v_mul_lo_u32 v1, v31, s13
	buffer_store_dword v57, off, s[76:79], 0 offset:324 ; 4-byte Folded Spill
	v_mov_b32_e32 v37, v48
	s_waitcnt vmcnt(2)
	v_add_u32_e32 v1, v1, v27
	v_ashrrev_i32_e32 v2, 31, v1
	v_lshlrev_b64 v[1:2], 1, v[1:2]
	v_add_co_u32_e32 v1, vcc, s20, v1
	v_addc_co_u32_e32 v2, vcc, v3, v2, vcc
	v_mul_lo_u32 v3, v32, s13
	v_add_u32_e32 v31, v3, v27
	v_ashrrev_i32_e32 v32, 31, v31
	v_lshlrev_b64 v[31:32], 1, v[31:32]
	v_mov_b32_e32 v3, s21
	v_add_co_u32_e32 v31, vcc, s20, v31
	v_addc_co_u32_e32 v32, vcc, v3, v32, vcc
	global_store_dwordx2 v[1:2], v[25:26], off
	global_store_dwordx2 v[31:32], v[23:24], off
	buffer_load_dword v23, off, s[76:79], 0 offset:20 ; 4-byte Folded Reload
	v_mul_lo_u32 v3, v33, s13
	v_lshl_or_b32 v1, v10, 16, v43
	v_lshl_or_b32 v2, v38, 16, v19
	v_and_or_b32 v31, v10, s72, v22
	v_add_u32_e32 v57, v3, v27
	v_ashrrev_i32_e32 v58, 31, v57
	v_lshlrev_b64 v[57:58], 1, v[57:58]
	v_mov_b32_e32 v3, s21
	v_add_co_u32_e32 v57, vcc, s20, v57
	v_addc_co_u32_e32 v58, vcc, v3, v58, vcc
	global_store_dwordx2 v[57:58], v[1:2], off
	v_mul_lo_u32 v1, v34, s13
	v_and_or_b32 v32, v38, s72, v59
	v_lshl_or_b32 v58, v55, 16, v16
	buffer_load_dword v38, off, s[76:79], 0 offset:64 ; 4-byte Folded Reload
	v_add_u32_e32 v1, v1, v27
	v_ashrrev_i32_e32 v2, 31, v1
	v_lshlrev_b64 v[1:2], 1, v[1:2]
	buffer_store_dword v45, off, s[76:79], 0 offset:328 ; 4-byte Folded Spill
	v_add_co_u32_e32 v1, vcc, s20, v1
	v_addc_co_u32_e32 v2, vcc, v3, v2, vcc
	global_store_dwordx2 v[1:2], v[31:32], off
	ds_read_b128 v[31:34], v0 offset:16
	s_waitcnt lgkmcnt(0)
	v_mul_lo_u32 v1, v31, s13
	v_add_u32_e32 v1, v1, v27
	v_ashrrev_i32_e32 v2, 31, v1
	v_lshlrev_b64 v[1:2], 1, v[1:2]
	v_add_co_u32_e32 v1, vcc, s20, v1
	v_addc_co_u32_e32 v2, vcc, v3, v2, vcc
	s_waitcnt vmcnt(4)
	v_lshl_or_b32 v57, v23, 16, v53
	global_store_dwordx2 v[1:2], v[57:58], off
	v_mul_lo_u32 v1, v32, s13
	v_and_or_b32 v32, v55, s72, v29
	buffer_load_dword v55, off, s[76:79], 0 offset:24 ; 4-byte Folded Reload
	buffer_load_dword v29, off, s[76:79], 0 offset:32 ; 4-byte Folded Reload
	v_add_u32_e32 v1, v1, v27
	v_ashrrev_i32_e32 v2, 31, v1
	v_lshlrev_b64 v[1:2], 1, v[1:2]
	v_and_or_b32 v31, v23, s72, v45
	v_add_co_u32_e32 v1, vcc, s20, v1
	v_addc_co_u32_e32 v2, vcc, v3, v2, vcc
	global_store_dwordx2 v[1:2], v[31:32], off
	v_mul_lo_u32 v1, v33, s13
	v_lshl_or_b32 v31, v52, 16, v39
	v_mov_b32_e32 v45, v62
	v_lshl_or_b32 v57, v11, 16, v54
	v_add_u32_e32 v1, v1, v27
	v_ashrrev_i32_e32 v2, 31, v1
	v_lshlrev_b64 v[1:2], 1, v[1:2]
	v_mov_b32_e32 v62, v15
	v_add_co_u32_e32 v1, vcc, s20, v1
	v_addc_co_u32_e32 v2, vcc, v3, v2, vcc
	buffer_load_dword v39, off, s[76:79], 0 offset:40 ; 4-byte Folded Reload
	s_waitcnt vmcnt(3)
	v_lshl_or_b32 v32, v55, 16, v49
	global_store_dwordx2 v[1:2], v[31:32], off
	v_and_or_b32 v32, v55, s72, v7
	buffer_load_dword v7, off, s[76:79], 0 offset:28 ; 4-byte Folded Reload
	v_mul_lo_u32 v1, v34, s13
	v_and_or_b32 v31, v52, s72, v45
	v_mov_b32_e32 v52, v30
	v_mov_b32_e32 v49, v41
	v_add_u32_e32 v1, v1, v27
	v_ashrrev_i32_e32 v2, 31, v1
	v_lshlrev_b64 v[1:2], 1, v[1:2]
	v_mov_b32_e32 v30, v60
	v_add_co_u32_e32 v1, vcc, s20, v1
	v_addc_co_u32_e32 v2, vcc, v3, v2, vcc
	global_store_dwordx2 v[1:2], v[31:32], off
	ds_read_b128 v[31:34], v0 offset:32
	s_waitcnt lgkmcnt(0)
	v_mul_lo_u32 v1, v31, s13
	v_and_or_b32 v31, v11, s72, v49
	v_add_u32_e32 v1, v1, v27
	v_ashrrev_i32_e32 v2, 31, v1
	v_lshlrev_b64 v[1:2], 1, v[1:2]
	v_add_co_u32_e32 v1, vcc, s20, v1
	v_addc_co_u32_e32 v2, vcc, v3, v2, vcc
	s_waitcnt vmcnt(1)
	v_lshl_or_b32 v58, v7, 16, v52
	global_store_dwordx2 v[1:2], v[57:58], off
	v_mul_lo_u32 v1, v32, s13
	v_and_or_b32 v32, v7, s72, v8
	v_lshl_or_b32 v57, v29, 16, v15
	v_lshrrev_b32_e32 v15, 16, v12
	v_add_u32_e32 v1, v1, v27
	v_ashrrev_i32_e32 v2, 31, v1
	v_lshlrev_b64 v[1:2], 1, v[1:2]
	v_add_co_u32_e32 v1, vcc, s20, v1
	v_addc_co_u32_e32 v2, vcc, v3, v2, vcc
	global_store_dwordx2 v[1:2], v[31:32], off
	v_mul_lo_u32 v1, v33, s13
	v_lshl_or_b32 v31, v17, 16, v50
	v_lshl_or_b32 v32, v39, 16, v30
	v_mov_b32_e32 v50, v35
	v_add_u32_e32 v1, v1, v27
	v_ashrrev_i32_e32 v2, 31, v1
	v_lshlrev_b64 v[1:2], 1, v[1:2]
	v_add_co_u32_e32 v1, vcc, s20, v1
	v_addc_co_u32_e32 v2, vcc, v3, v2, vcc
	global_store_dwordx2 v[1:2], v[31:32], off
	v_mul_lo_u32 v1, v34, s13
	v_and_or_b32 v31, v17, s72, v38
	v_and_or_b32 v32, v39, s72, v13
	v_add_u32_e32 v1, v1, v27
	v_ashrrev_i32_e32 v2, 31, v1
	v_lshlrev_b64 v[1:2], 1, v[1:2]
	v_add_co_u32_e32 v1, vcc, s20, v1
	v_addc_co_u32_e32 v2, vcc, v3, v2, vcc
	global_store_dwordx2 v[1:2], v[31:32], off
	ds_read_b128 v[31:34], v0 offset:48
	buffer_load_dword v10, off, s[76:79], 0 offset:36 ; 4-byte Folded Reload
	buffer_load_dword v41, off, s[76:79], 0 offset:76 ; 4-byte Folded Reload
	;; [unrolled: 1-line block ×7, first 2 shown]
	s_waitcnt lgkmcnt(0)
	v_mul_lo_u32 v1, v31, s13
	v_add_u32_e32 v1, v1, v27
	v_ashrrev_i32_e32 v2, 31, v1
	v_lshlrev_b64 v[1:2], 1, v[1:2]
	v_add_co_u32_e32 v1, vcc, s20, v1
	v_addc_co_u32_e32 v2, vcc, v3, v2, vcc
	s_waitcnt vmcnt(5)
	v_lshl_or_b32 v58, v10, 16, v41
	global_store_dwordx2 v[1:2], v[57:58], off
	v_mul_lo_u32 v1, v32, s13
	s_waitcnt vmcnt(5)
	v_and_or_b32 v31, v29, s72, v17
	v_and_or_b32 v32, v10, s72, v46
	v_add_u32_e32 v1, v1, v27
	v_ashrrev_i32_e32 v2, 31, v1
	v_lshlrev_b64 v[1:2], 1, v[1:2]
	v_add_co_u32_e32 v1, vcc, s20, v1
	v_addc_co_u32_e32 v2, vcc, v3, v2, vcc
	global_store_dwordx2 v[1:2], v[31:32], off
	v_mul_lo_u32 v1, v33, s13
	s_waitcnt vmcnt(5)
	v_lshl_or_b32 v31, v53, 16, v20
	s_waitcnt vmcnt(2)
	v_lshl_or_b32 v32, v16, 16, v50
	v_add_u32_e32 v1, v1, v27
	v_ashrrev_i32_e32 v2, 31, v1
	v_lshlrev_b64 v[1:2], 1, v[1:2]
	v_add_co_u32_e32 v1, vcc, s20, v1
	v_addc_co_u32_e32 v2, vcc, v3, v2, vcc
	global_store_dwordx2 v[1:2], v[31:32], off
	v_mul_lo_u32 v1, v34, s13
	v_and_or_b32 v31, v53, s72, v25
	v_and_or_b32 v32, v16, s72, v26
	v_add_u32_e32 v1, v1, v27
	v_ashrrev_i32_e32 v2, 31, v1
	v_lshlrev_b64 v[1:2], 1, v[1:2]
	v_add_co_u32_e32 v1, vcc, s20, v1
	v_addc_co_u32_e32 v2, vcc, v3, v2, vcc
	global_store_dwordx2 v[1:2], v[31:32], off
	ds_read_b128 v[31:34], v0 offset:64
	buffer_load_dword v22, off, s[76:79], 0 offset:56 ; 4-byte Folded Reload
	buffer_load_dword v13, off, s[76:79], 0 offset:96 ; 4-byte Folded Reload
	;; [unrolled: 1-line block ×5, first 2 shown]
	s_waitcnt lgkmcnt(0)
	v_mul_lo_u32 v1, v31, s13
	v_add_u32_e32 v1, v1, v27
	v_ashrrev_i32_e32 v2, 31, v1
	v_lshlrev_b64 v[1:2], 1, v[1:2]
	v_add_co_u32_e32 v1, vcc, s20, v1
	v_addc_co_u32_e32 v2, vcc, v3, v2, vcc
	s_waitcnt vmcnt(4)
	v_and_or_b32 v31, v22, s72, v21
	s_waitcnt vmcnt(3)
	v_lshl_or_b32 v57, v22, 16, v13
	s_waitcnt vmcnt(1)
	v_lshl_or_b32 v58, v59, 16, v20
	global_store_dwordx2 v[1:2], v[57:58], off
	v_mul_lo_u32 v1, v32, s13
	v_and_or_b32 v32, v59, s72, v51
	v_add_u32_e32 v1, v1, v27
	v_ashrrev_i32_e32 v2, 31, v1
	v_lshlrev_b64 v[1:2], 1, v[1:2]
	v_add_co_u32_e32 v1, vcc, s20, v1
	v_addc_co_u32_e32 v2, vcc, v3, v2, vcc
	global_store_dwordx2 v[1:2], v[31:32], off
	buffer_load_dword v43, off, s[76:79], 0 offset:68 ; 4-byte Folded Reload
	buffer_load_dword v24, off, s[76:79], 0 offset:136 ; 4-byte Folded Reload
	;; [unrolled: 1-line block ×8, first 2 shown]
	v_mul_lo_u32 v1, v33, s13
	buffer_load_dword v60, off, s[76:79], 0 offset:132 ; 4-byte Folded Reload
	s_waitcnt vmcnt(11)
	v_lshl_or_b32 v31, v54, 16, v9
	v_add_u32_e32 v1, v1, v27
	v_ashrrev_i32_e32 v2, 31, v1
	v_lshlrev_b64 v[1:2], 1, v[1:2]
	v_add_co_u32_e32 v1, vcc, s20, v1
	v_addc_co_u32_e32 v2, vcc, v3, v2, vcc
	s_waitcnt vmcnt(7)
	v_lshl_or_b32 v32, v43, 16, v24
	global_store_dwordx2 v[1:2], v[31:32], off
	v_and_or_b32 v31, v54, s72, v42
	buffer_load_dword v42, off, s[76:79], 0 offset:120 ; 4-byte Folded Reload
	buffer_load_dword v21, off, s[76:79], 0 offset:104 ; 4-byte Folded Reload
	s_waitcnt vmcnt(9)
	v_lshl_or_b32 v57, v19, 16, v6
	v_mov_b32_e32 v6, v5
	buffer_load_dword v5, off, s[76:79], 0 offset:332 ; 4-byte Folded Reload
	s_waitcnt vmcnt(9)
	v_lshl_or_b32 v58, v11, 16, v44
	buffer_load_dword v44, off, s[76:79], 0 offset:124 ; 4-byte Folded Reload
	v_mul_lo_u32 v1, v34, s13
	v_and_or_b32 v32, v43, s72, v37
	v_add_u32_e32 v1, v1, v27
	v_ashrrev_i32_e32 v2, 31, v1
	v_lshlrev_b64 v[1:2], 1, v[1:2]
	v_add_co_u32_e32 v1, vcc, s20, v1
	v_addc_co_u32_e32 v2, vcc, v3, v2, vcc
	global_store_dwordx2 v[1:2], v[31:32], off
	ds_read_b128 v[31:34], v0 offset:80
	s_waitcnt lgkmcnt(0)
	v_mul_lo_u32 v1, v31, s13
	s_waitcnt vmcnt(6)
	v_and_or_b32 v31, v19, s72, v60
	v_add_u32_e32 v1, v1, v27
	v_ashrrev_i32_e32 v2, 31, v1
	v_lshlrev_b64 v[1:2], 1, v[1:2]
	v_add_co_u32_e32 v1, vcc, s20, v1
	v_addc_co_u32_e32 v2, vcc, v3, v2, vcc
	global_store_dwordx2 v[1:2], v[57:58], off
	v_mul_lo_u32 v1, v32, s13
	v_and_or_b32 v32, v11, s72, v51
	v_add_u32_e32 v1, v1, v27
	v_ashrrev_i32_e32 v2, 31, v1
	v_lshlrev_b64 v[1:2], 1, v[1:2]
	v_add_co_u32_e32 v1, vcc, s20, v1
	v_addc_co_u32_e32 v2, vcc, v3, v2, vcc
	global_store_dwordx2 v[1:2], v[31:32], off
	v_mul_lo_u32 v1, v33, s13
	v_add_u32_e32 v1, v1, v27
	v_ashrrev_i32_e32 v2, 31, v1
	v_lshlrev_b64 v[1:2], 1, v[1:2]
	v_add_co_u32_e32 v1, vcc, s20, v1
	v_addc_co_u32_e32 v2, vcc, v3, v2, vcc
	s_waitcnt vmcnt(5)
	v_lshrrev_b32_e32 v9, 16, v21
	s_waitcnt vmcnt(4)
	v_and_b32_e32 v3, 0xffff, v5
	v_lshl_or_b32 v31, v46, 16, v3
	v_and_b32_e32 v3, 0xffff, v21
	v_lshl_or_b32 v32, v35, 16, v3
	global_store_dwordx2 v[1:2], v[31:32], off
	v_mul_lo_u32 v1, v34, s13
	v_mov_b32_e32 v3, s21
	v_and_or_b32 v32, v35, s72, v9
	v_lshrrev_b32_e32 v9, 16, v48
	v_add_u32_e32 v1, v1, v27
	v_ashrrev_i32_e32 v2, 31, v1
	v_lshlrev_b64 v[1:2], 1, v[1:2]
	v_add_co_u32_e32 v1, vcc, s20, v1
	v_addc_co_u32_e32 v2, vcc, v3, v2, vcc
	v_lshrrev_b32_e32 v3, 16, v5
	v_and_or_b32 v31, v46, s72, v3
	global_store_dwordx2 v[1:2], v[31:32], off
	ds_read_b128 v[31:34], v0 offset:96
	v_mov_b32_e32 v3, s21
	s_waitcnt lgkmcnt(0)
	v_mul_lo_u32 v1, v31, s13
	v_add_u32_e32 v1, v1, v27
	v_ashrrev_i32_e32 v2, 31, v1
	v_lshlrev_b64 v[1:2], 1, v[1:2]
	v_add_co_u32_e32 v1, vcc, s20, v1
	v_addc_co_u32_e32 v2, vcc, v3, v2, vcc
	s_waitcnt vmcnt(5)
	v_and_b32_e32 v3, 0xffff, v44
	v_lshl_or_b32 v57, v40, 16, v3
	v_and_b32_e32 v3, 0xffff, v48
	v_lshl_or_b32 v58, v42, 16, v3
	global_store_dwordx2 v[1:2], v[57:58], off
	buffer_load_dword v57, off, s[76:79], 0 offset:324 ; 4-byte Folded Reload
	s_nop 0
	buffer_load_dword v28, off, s[76:79], 0 offset:320 ; 4-byte Folded Reload
	buffer_load_dword v58, off, s[76:79], 0 offset:8 ; 4-byte Folded Reload
	v_mul_lo_u32 v1, v32, s13
	v_mov_b32_e32 v3, s21
	v_and_or_b32 v32, v42, s72, v9
	v_lshrrev_b32_e32 v9, 16, v6
	v_add_u32_e32 v1, v1, v27
	v_ashrrev_i32_e32 v2, 31, v1
	v_lshlrev_b64 v[1:2], 1, v[1:2]
	v_add_co_u32_e32 v1, vcc, s20, v1
	v_addc_co_u32_e32 v2, vcc, v3, v2, vcc
	v_lshrrev_b32_e32 v3, 16, v44
	v_and_or_b32 v31, v40, s72, v3
	global_store_dwordx2 v[1:2], v[31:32], off
	v_mul_lo_u32 v1, v33, s13
	v_mov_b32_e32 v3, s21
	v_add_u32_e32 v1, v1, v27
	v_ashrrev_i32_e32 v2, 31, v1
	v_lshlrev_b64 v[1:2], 1, v[1:2]
	v_add_co_u32_e32 v1, vcc, s20, v1
	v_addc_co_u32_e32 v2, vcc, v3, v2, vcc
	v_and_b32_e32 v3, 0xffff, v47
	v_lshl_or_b32 v31, v36, 16, v3
	v_and_b32_e32 v3, 0xffff, v6
	v_lshl_or_b32 v32, v14, 16, v3
	global_store_dwordx2 v[1:2], v[31:32], off
	v_mul_lo_u32 v1, v34, s13
	v_mov_b32_e32 v3, s21
	v_and_or_b32 v32, v14, s72, v9
	v_mov_b32_e32 v9, s21
	v_add_u32_e32 v1, v1, v27
	v_ashrrev_i32_e32 v2, 31, v1
	v_lshlrev_b64 v[1:2], 1, v[1:2]
	v_add_co_u32_e32 v1, vcc, s20, v1
	v_addc_co_u32_e32 v2, vcc, v3, v2, vcc
	v_lshrrev_b32_e32 v3, 16, v47
	v_and_or_b32 v31, v36, s72, v3
	global_store_dwordx2 v[1:2], v[31:32], off
	ds_read_b128 v[0:3], v0 offset:112
	s_waitcnt lgkmcnt(0)
	v_mul_lo_u32 v0, v0, s13
	v_add_u32_e32 v31, v0, v27
	v_ashrrev_i32_e32 v32, 31, v31
	v_lshlrev_b64 v[31:32], 1, v[31:32]
	v_mov_b32_e32 v0, s21
	v_add_co_u32_e32 v31, vcc, s20, v31
	v_addc_co_u32_e32 v32, vcc, v0, v32, vcc
	s_waitcnt vmcnt(4)
	v_and_b32_e32 v0, 0xffff, v28
	v_lshl_or_b32 v33, v57, 16, v0
	v_and_b32_e32 v0, 0xffff, v12
	s_waitcnt vmcnt(3)
	v_lshl_or_b32 v34, v58, 16, v0
	v_mul_lo_u32 v0, v1, s13
	global_store_dwordx2 v[31:32], v[33:34], off
	v_and_or_b32 v32, v58, s72, v15
	v_mov_b32_e32 v58, v20
	v_add_u32_e32 v0, v0, v27
	v_ashrrev_i32_e32 v1, 31, v0
	v_lshlrev_b64 v[0:1], 1, v[0:1]
	v_mov_b32_e32 v20, v48
	v_add_co_u32_e32 v0, vcc, s20, v0
	v_addc_co_u32_e32 v1, vcc, v9, v1, vcc
	v_lshrrev_b32_e32 v9, 16, v28
	v_and_or_b32 v31, v57, s72, v9
	global_store_dwordx2 v[0:1], v[31:32], off
	v_mul_lo_u32 v0, v2, s13
	v_mov_b32_e32 v2, s21
	v_mov_b32_e32 v48, v5
	v_mov_b32_e32 v5, v23
	v_add_u32_e32 v0, v0, v27
	v_ashrrev_i32_e32 v1, 31, v0
	v_lshlrev_b64 v[0:1], 1, v[0:1]
	v_mov_b32_e32 v27, v62
	v_add_co_u32_e32 v31, vcc, s20, v0
	buffer_load_dword v0, off, s[76:79], 0 offset:140 ; 4-byte Folded Reload
	v_addc_co_u32_e32 v32, vcc, v2, v1, vcc
	buffer_load_dword v1, off, s[76:79], 0 offset:144 ; 4-byte Folded Reload
	v_mov_b32_e32 v62, v45
	s_waitcnt vmcnt(1)
	v_pk_mul_f16 v9, v56, v0
	buffer_load_dword v0, off, s[76:79], 0 offset:148 ; 4-byte Folded Reload
	v_and_b32_e32 v15, 0xffff, v9
	s_waitcnt vmcnt(1)
	v_pk_mul_f16 v2, v63, v1
	v_pk_mul_f16 v1, v61, v18
	v_mov_b32_e32 v56, v51
	v_mov_b32_e32 v18, v10
	;; [unrolled: 1-line block ×8, first 2 shown]
	s_waitcnt vmcnt(0)
	v_pk_mul_f16 v0, v4, v0
	v_lshl_or_b32 v33, v0, 16, v15
	v_and_b32_e32 v15, 0xffff, v2
	v_lshl_or_b32 v34, v1, 16, v15
	global_store_dwordx2 v[31:32], v[33:34], off
	buffer_load_dword v33, off, s[76:79], 0 offset:316 ; 4-byte Folded Reload
	s_nop 0
	buffer_load_dword v32, off, s[76:79], 0 offset:312 ; 4-byte Folded Reload
	buffer_load_dword v31, off, s[76:79], 0 offset:308 ; 4-byte Folded Reload
	v_mov_b32_e32 v4, v6
	v_mov_b32_e32 v6, v21
	buffer_load_dword v21, off, s[76:79], 0 offset:328 ; 4-byte Folded Reload
	v_mov_b32_e32 v15, v11
	v_mov_b32_e32 v34, v41
	s_cbranch_execnz .LBB2_23
	s_branch .LBB2_45
.LBB2_44:                               ;   in Loop: Header=BB2_24 Depth=1
	buffer_load_dword v21, off, s[76:79], 0 offset:132 ; 4-byte Folded Reload
	buffer_load_dword v56, off, s[76:79], 0 offset:128 ; 4-byte Folded Reload
	;; [unrolled: 1-line block ×14, first 2 shown]
	v_mov_b32_e32 v37, v48
	v_mov_b32_e32 v61, v47
	buffer_load_dword v58, off, s[76:79], 0 offset:100 ; 4-byte Folded Reload
	buffer_load_dword v44, off, s[76:79], 0 offset:124 ; 4-byte Folded Reload
	buffer_load_dword v42, off, s[76:79], 0 offset:120 ; 4-byte Folded Reload
	buffer_load_dword v20, off, s[76:79], 0 offset:116 ; 4-byte Folded Reload
	buffer_load_dword v46, off, s[76:79], 0 offset:108 ; 4-byte Folded Reload
	v_mov_b32_e32 v48, v34
	buffer_load_dword v47, off, s[76:79], 0 offset:112 ; 4-byte Folded Reload
	buffer_load_dword v6, off, s[76:79], 0 offset:104 ; 4-byte Folded Reload
	;; [unrolled: 1-line block ×9, first 2 shown]
	v_mov_b32_e32 v4, v5
	buffer_load_dword v55, off, s[76:79], 0 offset:24 ; 4-byte Folded Reload
	buffer_load_dword v5, off, s[76:79], 0 offset:20 ; 4-byte Folded Reload
                                        ; implicit-def: $vgpr3
                                        ; implicit-def: $vgpr1
                                        ; implicit-def: $vgpr2
                                        ; implicit-def: $vgpr0
                                        ; implicit-def: $vgpr9
	v_mov_b32_e32 v10, v60
	v_mov_b32_e32 v49, v41
	;; [unrolled: 1-line block ×3, first 2 shown]
	s_waitcnt vmcnt(29)
	v_mov_b32_e32 v60, v21
	v_mov_b32_e32 v21, v45
.LBB2_45:                               ;   in Loop: Header=BB2_24 Depth=1
	buffer_load_dword v9, off, s[76:79], 0 offset:344 ; 4-byte Folded Reload
	v_mov_b32_e32 v2, s21
	s_waitcnt vmcnt(29)
	v_mov_b32_e32 v8, v56
	s_add_i32 s14, s28, 31
	s_waitcnt vmcnt(0)
	v_add_u32_e32 v0, s66, v9
	v_ashrrev_i32_e32 v1, 31, v0
	v_lshlrev_b64 v[0:1], 1, v[0:1]
	v_add_co_u32_e32 v0, vcc, s20, v0
	v_addc_co_u32_e32 v1, vcc, v2, v1, vcc
	buffer_load_dword v2, off, s[76:79], 0 offset:204 ; 4-byte Folded Reload
	buffer_load_dword v3, off, s[76:79], 0 offset:208 ; 4-byte Folded Reload
	s_waitcnt vmcnt(0)
	global_store_dwordx2 v[0:1], v[2:3], off
	v_add_u32_e32 v0, s65, v9
	v_ashrrev_i32_e32 v1, 31, v0
	v_lshlrev_b64 v[0:1], 1, v[0:1]
	v_mov_b32_e32 v2, s21
	v_add_co_u32_e32 v0, vcc, s20, v0
	v_addc_co_u32_e32 v1, vcc, v2, v1, vcc
	buffer_load_dword v2, off, s[76:79], 0 offset:184 ; 4-byte Folded Reload
	buffer_load_dword v3, off, s[76:79], 0 offset:188 ; 4-byte Folded Reload
	s_waitcnt vmcnt(0)
	global_store_dwordx2 v[0:1], v[2:3], off
	v_add_u32_e32 v0, s63, v9
	v_ashrrev_i32_e32 v1, 31, v0
	v_lshlrev_b64 v[0:1], 1, v[0:1]
	v_mov_b32_e32 v2, s21
	v_add_co_u32_e32 v0, vcc, s20, v0
	v_addc_co_u32_e32 v1, vcc, v2, v1, vcc
	buffer_load_dword v56, off, s[76:79], 0 offset:260 ; 4-byte Folded Reload
	buffer_load_dword v2, off, s[76:79], 0 offset:296 ; 4-byte Folded Reload
	;; [unrolled: 1-line block ×4, first 2 shown]
	s_waitcnt vmcnt(2)
	v_lshl_or_b32 v2, v56, 16, v2
	s_waitcnt vmcnt(0)
	v_lshl_or_b32 v3, v23, 16, v3
	global_store_dwordx2 v[0:1], v[2:3], off
	v_add_u32_e32 v0, s64, v9
	v_ashrrev_i32_e32 v1, 31, v0
	v_lshlrev_b64 v[0:1], 1, v[0:1]
	v_mov_b32_e32 v2, s21
	v_add_co_u32_e32 v0, vcc, s20, v0
	v_addc_co_u32_e32 v1, vcc, v2, v1, vcc
	buffer_load_dword v2, off, s[76:79], 0 offset:288 ; 4-byte Folded Reload
	buffer_load_dword v3, off, s[76:79], 0 offset:292 ; 4-byte Folded Reload
	s_waitcnt vmcnt(1)
	v_and_or_b32 v2, v56, s72, v2
	s_waitcnt vmcnt(0)
	v_and_or_b32 v3, v23, s72, v3
	global_store_dwordx2 v[0:1], v[2:3], off
	v_add_u32_e32 v0, s61, v9
	v_ashrrev_i32_e32 v1, 31, v0
	v_lshlrev_b64 v[0:1], 1, v[0:1]
	v_mov_b32_e32 v2, s21
	v_add_co_u32_e32 v0, vcc, s20, v0
	v_addc_co_u32_e32 v1, vcc, v2, v1, vcc
	buffer_load_dword v2, off, s[76:79], 0 offset:280 ; 4-byte Folded Reload
	buffer_load_dword v52, off, s[76:79], 0 offset:244 ; 4-byte Folded Reload
	buffer_load_dword v3, off, s[76:79], 0 offset:284 ; 4-byte Folded Reload
	s_waitcnt vmcnt(2)
	v_lshl_or_b32 v2, v5, 16, v2
	s_waitcnt vmcnt(0)
	v_lshl_or_b32 v3, v52, 16, v3
	global_store_dwordx2 v[0:1], v[2:3], off
	buffer_load_dword v3, off, s[76:79], 0 offset:276 ; 4-byte Folded Reload
	v_add_u32_e32 v0, s62, v9
	v_ashrrev_i32_e32 v1, 31, v0
	v_lshlrev_b64 v[0:1], 1, v[0:1]
	v_mov_b32_e32 v2, s21
	v_add_co_u32_e32 v0, vcc, s20, v0
	v_addc_co_u32_e32 v1, vcc, v2, v1, vcc
	v_and_or_b32 v2, v5, s72, v21
	s_waitcnt vmcnt(0)
	v_and_or_b32 v3, v52, s72, v3
	global_store_dwordx2 v[0:1], v[2:3], off
	v_add_u32_e32 v0, s59, v9
	v_ashrrev_i32_e32 v1, 31, v0
	v_lshlrev_b64 v[0:1], 1, v[0:1]
	v_mov_b32_e32 v2, s21
	v_add_co_u32_e32 v0, vcc, s20, v0
	v_addc_co_u32_e32 v1, vcc, v2, v1, vcc
	buffer_load_dword v5, off, s[76:79], 0 offset:236 ; 4-byte Folded Reload
	buffer_load_dword v2, off, s[76:79], 0 offset:252 ; 4-byte Folded Reload
	;; [unrolled: 1-line block ×3, first 2 shown]
	s_waitcnt vmcnt(1)
	v_lshl_or_b32 v2, v5, 16, v2
	s_waitcnt vmcnt(0)
	v_lshl_or_b32 v3, v55, 16, v3
	global_store_dwordx2 v[0:1], v[2:3], off
	buffer_load_dword v3, off, s[76:79], 0 offset:248 ; 4-byte Folded Reload
	v_add_u32_e32 v0, s60, v9
	v_ashrrev_i32_e32 v1, 31, v0
	v_lshlrev_b64 v[0:1], 1, v[0:1]
	v_mov_b32_e32 v2, s21
	v_add_co_u32_e32 v0, vcc, s20, v0
	v_addc_co_u32_e32 v1, vcc, v2, v1, vcc
	v_and_or_b32 v2, v5, s72, v62
	s_waitcnt vmcnt(0)
	v_and_or_b32 v3, v55, s72, v3
	global_store_dwordx2 v[0:1], v[2:3], off
	v_add_u32_e32 v0, s57, v9
	v_ashrrev_i32_e32 v1, 31, v0
	v_lshlrev_b64 v[0:1], 1, v[0:1]
	v_mov_b32_e32 v2, s21
	v_add_co_u32_e32 v0, vcc, s20, v0
	v_addc_co_u32_e32 v1, vcc, v2, v1, vcc
	buffer_load_dword v5, off, s[76:79], 0 offset:224 ; 4-byte Folded Reload
	buffer_load_dword v2, off, s[76:79], 0 offset:240 ; 4-byte Folded Reload
	v_lshl_or_b32 v3, v7, 16, v30
	s_waitcnt vmcnt(0)
	v_lshl_or_b32 v2, v5, 16, v2
	global_store_dwordx2 v[0:1], v[2:3], off
	v_add_u32_e32 v0, s58, v9
	v_ashrrev_i32_e32 v1, 31, v0
	v_lshlrev_b64 v[0:1], 1, v[0:1]
	v_mov_b32_e32 v2, s21
	v_add_co_u32_e32 v0, vcc, s20, v0
	v_addc_co_u32_e32 v1, vcc, v2, v1, vcc
	v_and_or_b32 v2, v5, s72, v49
	v_and_or_b32 v3, v7, s72, v50
	global_store_dwordx2 v[0:1], v[2:3], off
	v_add_u32_e32 v0, s55, v9
	v_ashrrev_i32_e32 v1, 31, v0
	v_lshlrev_b64 v[0:1], 1, v[0:1]
	v_mov_b32_e32 v2, s21
	v_add_co_u32_e32 v0, vcc, s20, v0
	v_addc_co_u32_e32 v1, vcc, v2, v1, vcc
	buffer_load_dword v5, off, s[76:79], 0 offset:216 ; 4-byte Folded Reload
	buffer_load_dword v2, off, s[76:79], 0 offset:232 ; 4-byte Folded Reload
	v_lshl_or_b32 v3, v39, 16, v10
	s_waitcnt vmcnt(0)
	v_lshl_or_b32 v2, v5, 16, v2
	global_store_dwordx2 v[0:1], v[2:3], off
	buffer_load_dword v1, off, s[76:79], 0 offset:228 ; 4-byte Folded Reload
	v_add_u32_e32 v2, s56, v9
	v_ashrrev_i32_e32 v3, 31, v2
	v_lshlrev_b64 v[2:3], 1, v[2:3]
	v_and_or_b32 v0, v5, s72, v38
	v_mov_b32_e32 v5, s21
	v_add_co_u32_e32 v2, vcc, s20, v2
	v_addc_co_u32_e32 v3, vcc, v5, v3, vcc
	s_waitcnt vmcnt(0)
	v_and_or_b32 v1, v39, s72, v1
	global_store_dwordx2 v[2:3], v[0:1], off
	v_add_u32_e32 v2, s53, v9
	v_ashrrev_i32_e32 v3, 31, v2
	v_lshlrev_b64 v[2:3], 1, v[2:3]
	v_lshl_or_b32 v0, v29, 16, v27
	v_add_co_u32_e32 v2, vcc, s20, v2
	v_lshl_or_b32 v1, v18, 16, v34
	v_addc_co_u32_e32 v3, vcc, v5, v3, vcc
	global_store_dwordx2 v[2:3], v[0:1], off
	buffer_load_dword v1, off, s[76:79], 0 offset:220 ; 4-byte Folded Reload
	v_add_u32_e32 v2, s54, v9
	v_ashrrev_i32_e32 v3, 31, v2
	v_lshlrev_b64 v[2:3], 1, v[2:3]
	v_and_or_b32 v0, v29, s72, v17
	v_add_co_u32_e32 v2, vcc, s20, v2
	v_addc_co_u32_e32 v3, vcc, v5, v3, vcc
	s_waitcnt vmcnt(0)
	v_and_or_b32 v1, v18, s72, v1
	global_store_dwordx2 v[2:3], v[0:1], off
	buffer_load_dword v0, off, s[76:79], 0 offset:212 ; 4-byte Folded Reload
	v_add_u32_e32 v2, s51, v9
	v_ashrrev_i32_e32 v3, 31, v2
	v_lshlrev_b64 v[2:3], 1, v[2:3]
	v_lshl_or_b32 v1, v16, 16, v35
	v_add_co_u32_e32 v2, vcc, s20, v2
	v_addc_co_u32_e32 v3, vcc, v5, v3, vcc
	s_waitcnt vmcnt(0)
	v_lshl_or_b32 v0, v53, 16, v0
	global_store_dwordx2 v[2:3], v[0:1], off
	v_add_u32_e32 v2, s52, v9
	v_ashrrev_i32_e32 v3, 31, v2
	v_lshlrev_b64 v[2:3], 1, v[2:3]
	v_and_or_b32 v0, v53, s72, v25
	v_add_co_u32_e32 v2, vcc, s20, v2
	v_and_or_b32 v1, v16, s72, v26
	v_addc_co_u32_e32 v3, vcc, v5, v3, vcc
	global_store_dwordx2 v[2:3], v[0:1], off
	v_add_u32_e32 v2, s49, v9
	v_ashrrev_i32_e32 v3, 31, v2
	v_lshlrev_b64 v[2:3], 1, v[2:3]
	v_lshl_or_b32 v0, v22, 16, v13
	v_add_co_u32_e32 v2, vcc, s20, v2
	v_lshl_or_b32 v1, v59, 16, v58
	v_addc_co_u32_e32 v3, vcc, v5, v3, vcc
	global_store_dwordx2 v[2:3], v[0:1], off
	buffer_load_dword v0, off, s[76:79], 0 offset:196 ; 4-byte Folded Reload
	v_add_u32_e32 v2, s50, v9
	buffer_load_dword v1, off, s[76:79], 0 offset:200 ; 4-byte Folded Reload
	v_ashrrev_i32_e32 v3, 31, v2
	v_lshlrev_b64 v[2:3], 1, v[2:3]
	v_add_co_u32_e32 v2, vcc, s20, v2
	v_addc_co_u32_e32 v3, vcc, v5, v3, vcc
	s_waitcnt vmcnt(1)
	v_and_or_b32 v0, v22, s72, v0
	s_waitcnt vmcnt(0)
	v_and_or_b32 v1, v59, s72, v1
	global_store_dwordx2 v[2:3], v[0:1], off
	buffer_load_dword v0, off, s[76:79], 0 offset:192 ; 4-byte Folded Reload
	v_add_u32_e32 v2, s47, v9
	v_ashrrev_i32_e32 v3, 31, v2
	v_lshlrev_b64 v[2:3], 1, v[2:3]
	v_lshl_or_b32 v1, v43, 16, v24
	v_add_co_u32_e32 v2, vcc, s20, v2
	v_addc_co_u32_e32 v3, vcc, v5, v3, vcc
	s_waitcnt vmcnt(0)
	v_lshl_or_b32 v0, v54, 16, v0
	global_store_dwordx2 v[2:3], v[0:1], off
	buffer_load_dword v0, off, s[76:79], 0 offset:180 ; 4-byte Folded Reload
	v_add_u32_e32 v2, s48, v9
	v_ashrrev_i32_e32 v3, 31, v2
	v_lshlrev_b64 v[2:3], 1, v[2:3]
	v_and_or_b32 v1, v43, s72, v37
	v_add_co_u32_e32 v2, vcc, s20, v2
	v_addc_co_u32_e32 v3, vcc, v5, v3, vcc
	s_waitcnt vmcnt(0)
	v_and_or_b32 v0, v54, s72, v0
	global_store_dwordx2 v[2:3], v[0:1], off
	buffer_load_dword v0, off, s[76:79], 0 offset:272 ; 4-byte Folded Reload
	v_add_u32_e32 v2, s45, v9
	buffer_load_dword v1, off, s[76:79], 0 offset:268 ; 4-byte Folded Reload
	v_ashrrev_i32_e32 v3, 31, v2
	v_lshlrev_b64 v[2:3], 1, v[2:3]
	v_add_co_u32_e32 v2, vcc, s20, v2
	v_addc_co_u32_e32 v3, vcc, v5, v3, vcc
	s_waitcnt vmcnt(1)
	v_lshl_or_b32 v0, v19, 16, v0
	s_waitcnt vmcnt(0)
	v_lshl_or_b32 v1, v15, 16, v1
	global_store_dwordx2 v[2:3], v[0:1], off
	v_add_u32_e32 v2, s46, v9
	v_ashrrev_i32_e32 v3, 31, v2
	v_lshlrev_b64 v[2:3], 1, v[2:3]
	v_and_or_b32 v0, v19, s72, v60
	v_add_co_u32_e32 v2, vcc, s20, v2
	v_and_or_b32 v1, v15, s72, v8
	v_addc_co_u32_e32 v3, vcc, v5, v3, vcc
	global_store_dwordx2 v[2:3], v[0:1], off
	v_add_u32_e32 v2, s43, v9
	v_ashrrev_i32_e32 v3, 31, v2
	v_lshlrev_b64 v[2:3], 1, v[2:3]
	v_and_b32_e32 v0, 0xffff, v48
	v_and_b32_e32 v1, 0xffff, v6
	v_add_co_u32_e32 v2, vcc, s20, v2
	v_lshl_or_b32 v0, v46, 16, v0
	v_lshl_or_b32 v1, v47, 16, v1
	v_addc_co_u32_e32 v3, vcc, v5, v3, vcc
	global_store_dwordx2 v[2:3], v[0:1], off
	v_lshrrev_b32_e32 v1, 16, v6
	buffer_load_dword v6, off, s[76:79], 0 offset:8 ; 4-byte Folded Reload
	v_add_u32_e32 v2, s44, v9
	v_ashrrev_i32_e32 v3, 31, v2
	v_lshlrev_b64 v[2:3], 1, v[2:3]
	v_lshrrev_b32_e32 v0, 16, v48
	v_add_co_u32_e32 v2, vcc, s20, v2
	v_and_or_b32 v0, v46, s72, v0
	v_and_or_b32 v1, v47, s72, v1
	v_addc_co_u32_e32 v3, vcc, v5, v3, vcc
	global_store_dwordx2 v[2:3], v[0:1], off
	v_add_u32_e32 v2, s41, v9
	v_ashrrev_i32_e32 v3, 31, v2
	v_lshlrev_b64 v[2:3], 1, v[2:3]
	v_and_b32_e32 v0, 0xffff, v44
	v_and_b32_e32 v1, 0xffff, v20
	v_add_co_u32_e32 v2, vcc, s20, v2
	v_lshl_or_b32 v0, v40, 16, v0
	v_lshl_or_b32 v1, v42, 16, v1
	v_addc_co_u32_e32 v3, vcc, v5, v3, vcc
	global_store_dwordx2 v[2:3], v[0:1], off
	v_add_u32_e32 v2, s42, v9
	v_ashrrev_i32_e32 v3, 31, v2
	v_lshlrev_b64 v[2:3], 1, v[2:3]
	v_lshrrev_b32_e32 v0, 16, v44
	v_lshrrev_b32_e32 v1, 16, v20
	v_add_co_u32_e32 v2, vcc, s20, v2
	v_and_or_b32 v0, v40, s72, v0
	v_and_or_b32 v1, v42, s72, v1
	v_addc_co_u32_e32 v3, vcc, v5, v3, vcc
	global_store_dwordx2 v[2:3], v[0:1], off
	v_add_u32_e32 v2, s39, v9
	v_ashrrev_i32_e32 v3, 31, v2
	v_lshlrev_b64 v[2:3], 1, v[2:3]
	v_and_b32_e32 v0, 0xffff, v61
	v_and_b32_e32 v1, 0xffff, v4
	v_add_co_u32_e32 v2, vcc, s20, v2
	v_lshl_or_b32 v0, v36, 16, v0
	v_lshl_or_b32 v1, v14, 16, v1
	v_addc_co_u32_e32 v3, vcc, v5, v3, vcc
	global_store_dwordx2 v[2:3], v[0:1], off
	v_add_u32_e32 v2, s40, v9
	v_ashrrev_i32_e32 v3, 31, v2
	v_lshlrev_b64 v[2:3], 1, v[2:3]
	v_lshrrev_b32_e32 v0, 16, v61
	v_lshrrev_b32_e32 v1, 16, v4
	v_add_co_u32_e32 v2, vcc, s20, v2
	v_and_or_b32 v0, v36, s72, v0
	v_and_or_b32 v1, v14, s72, v1
	v_addc_co_u32_e32 v3, vcc, v5, v3, vcc
	global_store_dwordx2 v[2:3], v[0:1], off
	v_add_u32_e32 v2, s37, v9
	v_ashrrev_i32_e32 v3, 31, v2
	v_lshlrev_b64 v[2:3], 1, v[2:3]
	v_and_b32_e32 v0, 0xffff, v28
	v_and_b32_e32 v1, 0xffff, v12
	v_add_co_u32_e32 v2, vcc, s20, v2
	v_lshl_or_b32 v0, v57, 16, v0
	v_addc_co_u32_e32 v3, vcc, v5, v3, vcc
	s_waitcnt vmcnt(5)
	v_lshl_or_b32 v1, v6, 16, v1
	global_store_dwordx2 v[2:3], v[0:1], off
	v_lshrrev_b32_e32 v1, 16, v12
	v_and_or_b32 v1, v6, s72, v1
	buffer_load_dword v6, off, s[76:79], 0 offset:304 ; 4-byte Folded Reload
	v_add_u32_e32 v2, s38, v9
	v_ashrrev_i32_e32 v3, 31, v2
	v_lshlrev_b64 v[2:3], 1, v[2:3]
	v_lshrrev_b32_e32 v0, 16, v28
	v_add_co_u32_e32 v2, vcc, s20, v2
	v_and_or_b32 v0, v57, s72, v0
	v_addc_co_u32_e32 v3, vcc, v5, v3, vcc
	global_store_dwordx2 v[2:3], v[0:1], off
	v_add_u32_e32 v2, s36, v9
	v_ashrrev_i32_e32 v3, 31, v2
	v_lshlrev_b64 v[2:3], 1, v[2:3]
	v_and_b32_e32 v1, 0xffff, v32
	v_add_co_u32_e32 v2, vcc, s20, v2
	v_lshl_or_b32 v1, v33, 16, v1
	v_addc_co_u32_e32 v3, vcc, v5, v3, vcc
	s_waitcnt vmcnt(1)
	v_and_b32_e32 v0, 0xffff, v6
	v_lshl_or_b32 v0, v31, 16, v0
	global_store_dwordx2 v[2:3], v[0:1], off
	v_mov_b32_e32 v3, s14
	v_mov_b32_e32 v9, v6
	;; [unrolled: 1-line block ×5, first 2 shown]
	s_branch .LBB2_23
.LBB2_46:
	s_endpgm
	.section	.rodata,"a",@progbits
	.p2align	6, 0x0
	.amdhsa_kernel _ZN4vllm4gptq31reconstruct_exllama_3bit_kernelEPKjPKiS2_PK6__halfiiibPS5_
		.amdhsa_group_segment_fixed_size 512
		.amdhsa_private_segment_fixed_size 372
		.amdhsa_kernarg_size 56
		.amdhsa_user_sgpr_count 6
		.amdhsa_user_sgpr_private_segment_buffer 1
		.amdhsa_user_sgpr_dispatch_ptr 0
		.amdhsa_user_sgpr_queue_ptr 0
		.amdhsa_user_sgpr_kernarg_segment_ptr 1
		.amdhsa_user_sgpr_dispatch_id 0
		.amdhsa_user_sgpr_flat_scratch_init 0
		.amdhsa_user_sgpr_private_segment_size 0
		.amdhsa_uses_dynamic_stack 0
		.amdhsa_system_sgpr_private_segment_wavefront_offset 1
		.amdhsa_system_sgpr_workgroup_id_x 1
		.amdhsa_system_sgpr_workgroup_id_y 1
		.amdhsa_system_sgpr_workgroup_id_z 0
		.amdhsa_system_sgpr_workgroup_info 0
		.amdhsa_system_vgpr_workitem_id 0
		.amdhsa_next_free_vgpr 64
		.amdhsa_next_free_sgpr 80
		.amdhsa_reserve_vcc 1
		.amdhsa_reserve_flat_scratch 0
		.amdhsa_float_round_mode_32 0
		.amdhsa_float_round_mode_16_64 0
		.amdhsa_float_denorm_mode_32 3
		.amdhsa_float_denorm_mode_16_64 3
		.amdhsa_dx10_clamp 1
		.amdhsa_ieee_mode 1
		.amdhsa_fp16_overflow 0
		.amdhsa_exception_fp_ieee_invalid_op 0
		.amdhsa_exception_fp_denorm_src 0
		.amdhsa_exception_fp_ieee_div_zero 0
		.amdhsa_exception_fp_ieee_overflow 0
		.amdhsa_exception_fp_ieee_underflow 0
		.amdhsa_exception_fp_ieee_inexact 0
		.amdhsa_exception_int_div_zero 0
	.end_amdhsa_kernel
	.text
.Lfunc_end2:
	.size	_ZN4vllm4gptq31reconstruct_exllama_3bit_kernelEPKjPKiS2_PK6__halfiiibPS5_, .Lfunc_end2-_ZN4vllm4gptq31reconstruct_exllama_3bit_kernelEPKjPKiS2_PK6__halfiiibPS5_
                                        ; -- End function
	.set _ZN4vllm4gptq31reconstruct_exllama_3bit_kernelEPKjPKiS2_PK6__halfiiibPS5_.num_vgpr, 64
	.set _ZN4vllm4gptq31reconstruct_exllama_3bit_kernelEPKjPKiS2_PK6__halfiiibPS5_.num_agpr, 0
	.set _ZN4vllm4gptq31reconstruct_exllama_3bit_kernelEPKjPKiS2_PK6__halfiiibPS5_.numbered_sgpr, 80
	.set _ZN4vllm4gptq31reconstruct_exllama_3bit_kernelEPKjPKiS2_PK6__halfiiibPS5_.num_named_barrier, 0
	.set _ZN4vllm4gptq31reconstruct_exllama_3bit_kernelEPKjPKiS2_PK6__halfiiibPS5_.private_seg_size, 372
	.set _ZN4vllm4gptq31reconstruct_exllama_3bit_kernelEPKjPKiS2_PK6__halfiiibPS5_.uses_vcc, 1
	.set _ZN4vllm4gptq31reconstruct_exllama_3bit_kernelEPKjPKiS2_PK6__halfiiibPS5_.uses_flat_scratch, 0
	.set _ZN4vllm4gptq31reconstruct_exllama_3bit_kernelEPKjPKiS2_PK6__halfiiibPS5_.has_dyn_sized_stack, 0
	.set _ZN4vllm4gptq31reconstruct_exllama_3bit_kernelEPKjPKiS2_PK6__halfiiibPS5_.has_recursion, 0
	.set _ZN4vllm4gptq31reconstruct_exllama_3bit_kernelEPKjPKiS2_PK6__halfiiibPS5_.has_indirect_call, 0
	.section	.AMDGPU.csdata,"",@progbits
; Kernel info:
; codeLenInByte = 11196
; TotalNumSgprs: 84
; NumVgprs: 64
; ScratchSize: 372
; MemoryBound: 0
; FloatMode: 240
; IeeeMode: 1
; LDSByteSize: 512 bytes/workgroup (compile time only)
; SGPRBlocks: 10
; VGPRBlocks: 15
; NumSGPRsForWavesPerEU: 84
; NumVGPRsForWavesPerEU: 64
; Occupancy: 4
; WaveLimiterHint : 0
; COMPUTE_PGM_RSRC2:SCRATCH_EN: 1
; COMPUTE_PGM_RSRC2:USER_SGPR: 6
; COMPUTE_PGM_RSRC2:TRAP_HANDLER: 0
; COMPUTE_PGM_RSRC2:TGID_X_EN: 1
; COMPUTE_PGM_RSRC2:TGID_Y_EN: 1
; COMPUTE_PGM_RSRC2:TGID_Z_EN: 0
; COMPUTE_PGM_RSRC2:TIDIG_COMP_CNT: 0
	.text
	.protected	_ZN4vllm4gptq31reconstruct_exllama_2bit_kernelEPKjPKiS2_PK6__halfiiibPS5_ ; -- Begin function _ZN4vllm4gptq31reconstruct_exllama_2bit_kernelEPKjPKiS2_PK6__halfiiibPS5_
	.globl	_ZN4vllm4gptq31reconstruct_exllama_2bit_kernelEPKjPKiS2_PK6__halfiiibPS5_
	.p2align	8
	.type	_ZN4vllm4gptq31reconstruct_exllama_2bit_kernelEPKjPKiS2_PK6__halfiiibPS5_,@function
_ZN4vllm4gptq31reconstruct_exllama_2bit_kernelEPKjPKiS2_PK6__halfiiibPS5_: ; @_ZN4vllm4gptq31reconstruct_exllama_2bit_kernelEPKjPKiS2_PK6__halfiiibPS5_
; %bb.0:
	s_mov_b64 s[62:63], s[2:3]
	s_mov_b64 s[60:61], s[0:1]
	s_add_u32 s60, s60, s8
	s_load_dwordx2 s[0:1], s[4:5], 0x8
	s_load_dwordx4 s[8:11], s[4:5], 0x20
	s_addc_u32 s61, s61, 0
	s_lshl_b32 s18, s7, 7
	s_waitcnt lgkmcnt(0)
	s_cmp_lg_u64 s[0:1], 0
	s_cselect_b64 s[2:3], -1, 0
	s_cmp_eq_u64 s[0:1], 0
	s_cbranch_scc1 .LBB3_4
; %bb.1:
	v_add_u32_e32 v1, s18, v0
	v_cmp_gt_u32_e32 vcc, s8, v1
	s_and_saveexec_b64 s[12:13], vcc
	s_cbranch_execz .LBB3_3
; %bb.2:
	v_mov_b32_e32 v2, 0
	v_lshlrev_b64 v[1:2], 2, v[1:2]
	v_mov_b32_e32 v3, s1
	v_add_co_u32_e32 v1, vcc, s0, v1
	v_addc_co_u32_e32 v2, vcc, v3, v2, vcc
	global_load_dword v1, v[1:2], off
	v_lshlrev_b32_e32 v2, 2, v0
	s_waitcnt vmcnt(0)
	ds_write_b32 v2, v1
.LBB3_3:
	s_or_b64 exec, exec, s[12:13]
.LBB3_4:
	s_lshl_b32 s6, s6, 9
	v_lshlrev_b32_e32 v11, 2, v0
	v_add_u32_e32 v4, s6, v11
	v_cmp_gt_i32_e32 vcc, s9, v4
	s_and_saveexec_b64 s[0:1], vcc
	s_cbranch_execz .LBB3_18
; %bb.5:
	s_abs_i32 s0, s10
	v_cvt_f32_u32_e32 v3, s0
	s_add_i32 s1, s18, 0x80
	s_xor_b32 s10, s8, s10
	v_cvt_f64_u32_e32 v[5:6], s1
	v_rcp_iflag_f32_e32 v3, v3
	s_ashr_i32 s1, s10, 31
	s_sub_i32 s10, 0, s0
	v_cvt_f64_i32_e32 v[1:2], s8
	v_mul_f32_e32 v3, 0x4f7ffffe, v3
	v_cvt_u32_f32_e32 v3, v3
	s_abs_i32 s8, s8
	v_min_f64 v[1:2], v[5:6], v[1:2]
	s_waitcnt lgkmcnt(0)
	v_readfirstlane_b32 s12, v3
	s_mul_i32 s10, s10, s12
	s_mul_hi_u32 s10, s12, s10
	s_add_i32 s12, s12, s10
	s_mul_hi_u32 s10, s8, s12
	s_mul_i32 s12, s10, s0
	s_sub_i32 s8, s8, s12
	s_add_i32 s13, s10, 1
	s_sub_i32 s12, s8, s0
	s_cmp_ge_u32 s8, s0
	s_cselect_b32 s10, s13, s10
	s_cselect_b32 s8, s12, s8
	s_add_i32 s12, s10, 1
	s_cmp_ge_u32 s8, s0
	s_cselect_b32 s0, s12, s10
	s_xor_b32 s0, s0, s1
	s_sub_i32 s8, s0, s1
	v_cvt_f32_u32_e32 v3, s8
	v_cvt_i32_f64_e32 v2, v[1:2]
	s_mov_b32 s10, 0
	s_barrier
	v_rcp_iflag_f32_e32 v3, v3
	v_cmp_ge_i32_e32 vcc, s18, v2
	s_and_b64 vcc, exec, vcc
	buffer_store_dword v2, off, s[60:63], 0 offset:112 ; 4-byte Folded Spill
	v_mul_f32_e32 v1, 0x4f7ffffe, v3
	v_cvt_u32_f32_e32 v1, v1
	v_readfirstlane_b32 s0, v1
	s_cbranch_vccnz .LBB3_18
; %bb.6:
	s_sub_i32 s1, 0, s8
	s_mul_i32 s1, s1, s0
	s_mul_hi_u32 s1, s0, s1
	s_add_i32 s0, s0, s1
	s_mul_hi_u32 s0, s18, s0
	s_mul_i32 s1, s0, s8
	s_sub_i32 s1, s18, s1
	s_add_i32 s16, s0, 1
	s_sub_i32 s17, s1, s8
	s_cmp_ge_u32 s1, s8
	s_cselect_b32 s0, s16, s0
	s_cselect_b32 s1, s17, s1
	s_add_i32 s16, s0, 1
	s_cmp_ge_u32 s1, s8
	s_cselect_b32 s19, s16, s0
	s_mul_i32 s0, s19, s9
	s_ashr_i32 s1, s0, 31
	v_ashrrev_i32_e32 v5, 31, v4
	s_load_dwordx4 s[12:15], s[4:5], 0x10
	s_lshr_b32 s1, s1, 28
	v_lshrrev_b32_e32 v1, 28, v5
	s_add_i32 s1, s0, s1
	v_add_u32_e32 v1, v4, v1
	v_add_u32_e32 v6, s0, v4
	s_ashr_i32 s1, s1, 4
	v_ashrrev_i32_e32 v1, 4, v1
	v_ashrrev_i32_e32 v7, 31, v6
	buffer_store_dword v1, off, s[60:63], 0 offset:120 ; 4-byte Folded Spill
	v_add_u32_e32 v1, s1, v1
	v_lshlrev_b64 v[6:7], 1, v[6:7]
	v_ashrrev_i32_e32 v2, 31, v1
	v_lshlrev_b64 v[1:2], 2, v[1:2]
	s_waitcnt lgkmcnt(0)
	v_mov_b32_e32 v8, s15
	v_add_co_u32_e32 v6, vcc, s14, v6
	v_addc_co_u32_e32 v7, vcc, v8, v7, vcc
	v_mov_b32_e32 v3, s13
	v_add_co_u32_e32 v1, vcc, s12, v1
	v_addc_co_u32_e32 v2, vcc, v3, v2, vcc
	global_load_dword v2, v[1:2], off
	s_bitcmp1_b32 s11, 0
	global_load_dwordx2 v[7:8], v[6:7], off
	s_load_dwordx2 s[22:23], s[4:5], 0x0
	s_load_dwordx2 s[16:17], s[4:5], 0x30
	s_cselect_b64 s[4:5], -1, 0
	s_lshr_b32 s1, s18, 4
	s_xor_b64 s[4:5], s[4:5], -1
	v_lshlrev_b32_e32 v3, 3, v0
	v_lshlrev_b64 v[0:1], 2, v[4:5]
	v_cndmask_b32_e64 v5, 0, 1, s[4:5]
	s_mul_i32 s4, s9, s1
	s_ashr_i32 s5, s4, 31
	s_lshl_b64 s[4:5], s[4:5], 2
	s_waitcnt lgkmcnt(0)
	s_add_u32 s4, s22, s4
	s_addc_u32 s5, s23, s5
	s_add_i32 s31, s18, 20
	buffer_store_dword v5, off, s[60:63], 0 offset:116 ; 4-byte Folded Spill
	v_add_co_u32_e32 v5, vcc, s4, v0
	s_mul_i32 s4, s9, s31
	s_add_i32 s31, s4, s6
	s_add_i32 s4, s18, 21
	s_mul_i32 s4, s9, s4
	s_add_i32 s33, s4, s6
	s_add_i32 s4, s18, 18
	;; [unrolled: 3-line block ×18, first 2 shown]
	s_mul_i32 s4, s9, s4
	s_mul_i32 s7, s7, s9
	s_add_i32 s50, s4, s6
	s_lshl_b32 s4, s7, 7
	s_add_i32 s22, s18, 30
	s_add_i32 s23, s18, 28
	;; [unrolled: 1-line block ×11, first 2 shown]
	s_mov_b32 s20, 0x10001
	s_mov_b32 s0, s9
	v_and_b32_e32 v9, 24, v3
	s_ashr_i32 s1, s9, 31
	v_mov_b32_e32 v6, s5
	s_mul_i32 s5, s9, s22
	s_mul_i32 s23, s9, s23
	;; [unrolled: 1-line block ×9, first 2 shown]
	s_waitcnt vmcnt(2)
	v_lshrrev_b32_e32 v0, v3, v2
	s_mul_i32 s4, s9, s4
	s_add_i32 s11, s8, s18
	s_lshl_b32 s21, s9, 5
	v_addc_co_u32_e32 v6, vcc, v6, v1, vcc
	s_add_i32 s22, s5, s6
	s_add_i32 s23, s23, s6
	;; [unrolled: 1-line block ×9, first 2 shown]
	s_waitcnt vmcnt(1)
	v_mul_u32_u24_sdwa v19, v8, s20 dst_sel:DWORD dst_unused:UNUSED_PAD src0_sel:WORD_1 src1_sel:DWORD
	v_mul_u32_u24_sdwa v16, v8, s20 dst_sel:DWORD dst_unused:UNUSED_PAD src0_sel:WORD_0 src1_sel:DWORD
	v_mul_u32_u24_sdwa v17, v7, s20 dst_sel:DWORD dst_unused:UNUSED_PAD src0_sel:WORD_1 src1_sel:DWORD
	v_mul_u32_u24_sdwa v18, v7, s20 dst_sel:DWORD dst_unused:UNUSED_PAD src0_sel:WORD_0 src1_sel:DWORD
	buffer_store_dword v9, off, s[60:63], 0 offset:124 ; 4-byte Folded Spill
	v_bfe_u32 v7, v2, v9, 2
	v_bfe_u32 v12, v0, 6, 2
	;; [unrolled: 1-line block ×4, first 2 shown]
	s_add_i32 s52, s4, s6
	s_lshl_b64 s[4:5], s[0:1], 2
	s_movk_i32 s53, 0x3400
	s_movk_i32 s54, 0x2c00
	;; [unrolled: 1-line block ×3, first 2 shown]
	s_mov_b32 s56, 0xffff0000
	s_branch .LBB3_8
.LBB3_7:                                ;   in Loop: Header=BB3_8 Depth=1
	v_mul_lo_u32 v3, v3, s9
	v_lshrrev_b32_e32 v2, 16, v2
	v_and_or_b32 v1, v1, s56, v2
	v_lshrrev_b32_e32 v7, 16, v37
	v_add_u32_e32 v2, v3, v4
	v_ashrrev_i32_e32 v3, 31, v2
	v_lshlrev_b64 v[2:3], 1, v[2:3]
	v_and_or_b32 v0, v0, s56, v7
	v_mov_b32_e32 v7, s17
	v_add_co_u32_e32 v2, vcc, s16, v2
	v_addc_co_u32_e32 v3, vcc, v7, v3, vcc
	global_store_dwordx2 v[2:3], v[0:1], off
	buffer_load_dword v0, off, s[60:63], 0 offset:112 ; 4-byte Folded Reload
	s_nop 0
	buffer_load_dword v7, off, s[60:63], 0  ; 4-byte Folded Reload
	buffer_load_dword v8, off, s[60:63], 0 offset:4 ; 4-byte Folded Reload
	buffer_load_dword v9, off, s[60:63], 0 offset:8 ; 4-byte Folded Reload
	;; [unrolled: 1-line block ×3, first 2 shown]
	s_add_i32 s18, s18, 32
	v_add_co_u32_e64 v5, s[0:1], s4, v5
	s_addk_i32 s10, 0x80
	s_add_i32 s22, s22, s21
	s_add_i32 s23, s23, s21
	;; [unrolled: 1-line block ×30, first 2 shown]
	s_waitcnt vmcnt(4)
	v_cmp_lt_i32_e32 vcc, s18, v0
	v_mov_b32_e32 v0, s5
	v_addc_co_u32_e64 v6, s[0:1], v6, v0, s[0:1]
	s_cbranch_vccz .LBB3_18
.LBB3_8:                                ; =>This Inner Loop Header: Depth=1
	s_cmp_lg_u32 s18, s11
	s_cbranch_scc1 .LBB3_10
; %bb.9:                                ;   in Loop: Header=BB3_8 Depth=1
	s_add_i32 s19, s19, 1
	s_mul_i32 s0, s19, s9
	v_add_u32_e32 v2, s0, v4
	v_ashrrev_i32_e32 v3, 31, v2
	v_lshlrev_b64 v[2:3], 1, v[2:3]
	s_waitcnt vmcnt(2)
	v_mov_b32_e32 v8, s15
	v_add_co_u32_e32 v2, vcc, s14, v2
	v_addc_co_u32_e32 v3, vcc, v8, v3, vcc
	buffer_load_dword v0, off, s[60:63], 0 offset:120 ; 4-byte Folded Reload
	s_ashr_i32 s1, s0, 31
	global_load_dwordx2 v[2:3], v[2:3], off
	s_lshr_b32 s1, s1, 28
	s_add_i32 s1, s0, s1
	s_ashr_i32 s1, s1, 4
	v_mov_b32_e32 v7, s13
	s_add_i32 s11, s11, s8
	s_waitcnt vmcnt(0)
	v_mul_u32_u24_sdwa v18, v2, s20 dst_sel:DWORD dst_unused:UNUSED_PAD src0_sel:WORD_0 src1_sel:DWORD
	v_mul_u32_u24_sdwa v17, v2, s20 dst_sel:DWORD dst_unused:UNUSED_PAD src0_sel:WORD_1 src1_sel:DWORD
	buffer_load_dword v2, off, s[60:63], 0 offset:124 ; 4-byte Folded Reload
	v_add_u32_e32 v0, s1, v0
	v_ashrrev_i32_e32 v1, 31, v0
	v_lshlrev_b64 v[0:1], 2, v[0:1]
	v_mul_u32_u24_sdwa v16, v3, s20 dst_sel:DWORD dst_unused:UNUSED_PAD src0_sel:WORD_0 src1_sel:DWORD
	v_add_co_u32_e32 v0, vcc, s12, v0
	v_addc_co_u32_e32 v1, vcc, v7, v1, vcc
	global_load_dword v0, v[0:1], off
	v_mul_u32_u24_sdwa v19, v3, s20 dst_sel:DWORD dst_unused:UNUSED_PAD src0_sel:WORD_1 src1_sel:DWORD
	s_waitcnt vmcnt(0)
	v_lshrrev_b32_e32 v1, v2, v0
	v_bfe_u32 v7, v0, v2, 2
	v_bfe_u32 v8, v1, 2, 2
	;; [unrolled: 1-line block ×4, first 2 shown]
.LBB3_10:                               ;   in Loop: Header=BB3_8 Depth=1
	buffer_load_dword v10, off, s[60:63], 0 offset:116 ; 4-byte Folded Reload
	global_load_dwordx4 v[0:3], v[5:6], off
	v_mov_b32_e32 v13, 0xe400e400
	s_waitcnt vmcnt(5)
	buffer_store_dword v7, off, s[60:63], 0 ; 4-byte Folded Spill
	s_waitcnt vmcnt(4)
	buffer_store_dword v9, off, s[60:63], 0 offset:8 ; 4-byte Folded Spill
	buffer_store_dword v8, off, s[60:63], 0 offset:4 ; 4-byte Folded Spill
	s_waitcnt vmcnt(5)
	buffer_store_dword v12, off, s[60:63], 0 offset:12 ; 4-byte Folded Spill
	s_andn2_b64 vcc, exec, s[2:3]
	s_waitcnt vmcnt(5)
	v_add_u32_e32 v7, v7, v10
	v_add_u32_e32 v9, v9, v10
	v_mad_u32_u24 v37, v7, s20, v13
	v_mad_u32_u24 v26, v9, s20, v13
	v_cvt_f32_u32_e32 v7, v7
	v_cvt_f32_u32_e32 v9, v9
	v_add_u32_e32 v8, v8, v10
	v_add_u32_e32 v10, v12, v10
	v_mad_u32_u24 v33, v8, s20, v13
	v_mad_u32_u24 v54, v10, s20, v13
	v_cvt_f32_u32_e32 v8, v8
	v_cvt_f32_u32_e32 v10, v10
	v_cvt_f16_f32_e32 v7, v7
	v_cvt_f16_f32_e32 v9, v9
	;; [unrolled: 1-line block ×4, first 2 shown]
	v_cndmask_b32_e64 v12, 0, 1, s[2:3]
	v_cmp_ne_u32_e64 s[0:1], 1, v12
	v_sub_f16_e32 v12, 0xdc00, v7
	v_sub_f16_e32 v13, 0xd400, v7
	v_sub_f16_e32 v7, 0xcc00, v7
	v_sub_f16_e32 v20, 0xdc00, v9
	v_sub_f16_e32 v21, 0xd400, v9
	v_sub_f16_e32 v9, 0xcc00, v9
	v_mul_u32_u24_e32 v40, 0x10001, v7
	v_mul_u32_u24_e32 v30, 0x10001, v20
	s_waitcnt vmcnt(4)
	v_and_b32_e32 v7, 0x30003, v0
	v_and_b32_e32 v20, 0x30003, v2
	v_sub_f16_e32 v14, 0xdc00, v8
	v_sub_f16_e32 v15, 0xd400, v8
	;; [unrolled: 1-line block ×6, first 2 shown]
	v_mul_u32_u24_e32 v38, 0x10001, v12
	v_mul_u32_u24_e32 v32, 0x10001, v9
	v_and_b32_e32 v9, 0x300030, v0
	v_and_b32_e32 v12, 0x30003, v1
	v_and_b32_e32 v24, 0x30003, v3
	v_or_b32_e32 v7, 0x64006400, v7
	v_or_b32_e32 v20, 0x64006400, v20
	v_mul_u32_u24_e32 v36, 0x10001, v8
	v_mul_u32_u24_e32 v29, 0x10001, v10
	v_and_b32_e32 v8, 0xc000c, v0
	v_and_b32_e32 v10, 0xc000c0, v0
	v_or_b32_e32 v12, 0x64006400, v12
	v_or_b32_e32 v24, 0x64006400, v24
	;; [unrolled: 1-line block ×3, first 2 shown]
	v_pk_add_f16 v7, v37, v7
	v_pk_add_f16 v9, v26, v20
	v_or_b32_e32 v43, 0x64006400, v8
	v_or_b32_e32 v45, 0x64006400, v10
	v_pk_add_f16 v8, v33, v12
	v_pk_add_f16 v10, v54, v24
	v_pk_mul_f16 v7, v18, v7
	v_pk_mul_f16 v9, v16, v9
	v_lshrrev_b32_e32 v0, 8, v0
	v_pk_mul_f16 v8, v17, v8
	v_pk_mul_f16 v12, v19, v10
	v_and_b32_e32 v10, 0xffff, v7
	v_and_b32_e32 v20, 0xffff, v9
	v_lshrrev_b32_e32 v7, 16, v7
	v_lshrrev_b32_e32 v24, 16, v9
	v_lshl_or_b32 v9, v8, 16, v10
	v_lshl_or_b32 v10, v12, 16, v20
	v_and_or_b32 v7, v8, s56, v7
	v_and_or_b32 v8, v12, s56, v24
	v_and_b32_e32 v12, 0x30003, v0
	v_and_b32_e32 v20, 0xc000c, v0
	;; [unrolled: 1-line block ×4, first 2 shown]
	v_mul_u32_u24_e32 v39, 0x10001, v13
	v_mul_u32_u24_e32 v34, 0x10001, v14
	;; [unrolled: 1-line block ×3, first 2 shown]
	v_and_b32_e32 v13, 0xc000c, v1
	v_and_b32_e32 v14, 0x300030, v1
	;; [unrolled: 1-line block ×3, first 2 shown]
	v_lshrrev_b32_e32 v1, 8, v1
	v_or_b32_e32 v12, 0x64006400, v12
	v_or_b32_e32 v0, 0x64006400, v0
	v_pk_add_f16 v46, v37, v12
	v_pk_fma_f16 v56, v0, s55, v40 op_sel_hi:[1,0,1]
	v_or_b32_e32 v0, 0x64006400, v13
	v_or_b32_e32 v12, 0x64006400, v14
	;; [unrolled: 1-line block ×3, first 2 shown]
	v_and_b32_e32 v14, 0x30003, v1
	v_and_b32_e32 v15, 0xc000c, v1
	;; [unrolled: 1-line block ×4, first 2 shown]
	v_mul_u32_u24_e32 v31, 0x10001, v21
	v_mul_u32_u24_e32 v27, 0x10001, v22
	;; [unrolled: 1-line block ×3, first 2 shown]
	v_and_b32_e32 v21, 0xc000c, v2
	v_and_b32_e32 v22, 0x300030, v2
	;; [unrolled: 1-line block ×3, first 2 shown]
	v_lshrrev_b32_e32 v2, 8, v2
	v_or_b32_e32 v47, 0x64006400, v47
	v_or_b32_e32 v1, 0x64006400, v1
	v_pk_fma_f16 v45, v45, s55, v40 op_sel_hi:[1,0,1]
	buffer_store_dword v40, off, s[60:63], 0 offset:76 ; 4-byte Folded Spill
	v_pk_fma_f16 v49, v47, s54, v35 op_sel_hi:[1,0,1]
	v_pk_fma_f16 v40, v1, s55, v36 op_sel_hi:[1,0,1]
	v_or_b32_e32 v1, 0x64006400, v21
	v_or_b32_e32 v21, 0x64006400, v22
	;; [unrolled: 1-line block ×3, first 2 shown]
	v_and_b32_e32 v23, 0x30003, v2
	v_and_b32_e32 v47, 0xc000c, v2
	;; [unrolled: 1-line block ×7, first 2 shown]
	v_lshrrev_b32_e32 v3, 8, v3
	v_or_b32_e32 v47, 0x64006400, v47
	v_or_b32_e32 v48, 0x64006400, v48
	;; [unrolled: 1-line block ×7, first 2 shown]
	v_pk_fma_f16 v50, v47, s53, v30 op_sel_hi:[1,0,1]
	v_pk_fma_f16 v52, v48, s54, v31 op_sel_hi:[1,0,1]
	;; [unrolled: 1-line block ×3, first 2 shown]
	v_or_b32_e32 v2, 0x64006400, v25
	v_or_b32_e32 v25, 0x64006400, v41
	;; [unrolled: 1-line block ×3, first 2 shown]
	v_and_b32_e32 v42, 0x30003, v3
	v_and_b32_e32 v47, 0xc000c, v3
	;; [unrolled: 1-line block ×4, first 2 shown]
	v_pk_fma_f16 v43, v43, s53, v38 op_sel_hi:[1,0,1]
	v_pk_fma_f16 v44, v44, s54, v39 op_sel_hi:[1,0,1]
	;; [unrolled: 1-line block ×4, first 2 shown]
	v_or_b32_e32 v15, 0x64006400, v15
	v_pk_fma_f16 v0, v0, s53, v34 op_sel_hi:[1,0,1]
	v_pk_fma_f16 v13, v13, s55, v36 op_sel_hi:[1,0,1]
	v_pk_add_f16 v14, v33, v14
	v_pk_fma_f16 v1, v1, s53, v30 op_sel_hi:[1,0,1]
	v_pk_fma_f16 v21, v21, s54, v31 op_sel_hi:[1,0,1]
	;; [unrolled: 1-line block ×3, first 2 shown]
	v_pk_add_f16 v23, v26, v23
	v_or_b32_e32 v42, 0x64006400, v42
	v_or_b32_e32 v47, 0x64006400, v47
	v_or_b32_e32 v48, 0x64006400, v48
	v_or_b32_e32 v3, 0x64006400, v3
	v_pk_fma_f16 v2, v2, s53, v27 op_sel_hi:[1,0,1]
	v_pk_fma_f16 v25, v25, s54, v28 op_sel_hi:[1,0,1]
	;; [unrolled: 1-line block ×5, first 2 shown]
	buffer_store_dword v54, off, s[60:63], 0 offset:16 ; 4-byte Folded Spill
	v_pk_add_f16 v54, v54, v42
	v_pk_fma_f16 v55, v47, s53, v27 op_sel_hi:[1,0,1]
	v_pk_fma_f16 v62, v48, s54, v28 op_sel_hi:[1,0,1]
	;; [unrolled: 1-line block ×3, first 2 shown]
	v_pk_mul_f16 v3, v18, v43
	v_pk_mul_f16 v41, v17, v0
	;; [unrolled: 1-line block ×18, first 2 shown]
	buffer_store_dword v37, off, s[60:63], 0 offset:64 ; 4-byte Folded Spill
	buffer_store_dword v38, off, s[60:63], 0 offset:68 ; 4-byte Folded Spill
	buffer_store_dword v39, off, s[60:63], 0 offset:72 ; 4-byte Folded Spill
	buffer_store_dword v33, off, s[60:63], 0 offset:48 ; 4-byte Folded Spill
	buffer_store_dword v34, off, s[60:63], 0 offset:52 ; 4-byte Folded Spill
	buffer_store_dword v35, off, s[60:63], 0 offset:56 ; 4-byte Folded Spill
	buffer_store_dword v36, off, s[60:63], 0 offset:60 ; 4-byte Folded Spill
	buffer_store_dword v26, off, s[60:63], 0 offset:20 ; 4-byte Folded Spill
	buffer_store_dword v30, off, s[60:63], 0 offset:36 ; 4-byte Folded Spill
	buffer_store_dword v31, off, s[60:63], 0 offset:40 ; 4-byte Folded Spill
	buffer_store_dword v32, off, s[60:63], 0 offset:44 ; 4-byte Folded Spill
	buffer_store_dword v27, off, s[60:63], 0 offset:24 ; 4-byte Folded Spill
	buffer_store_dword v28, off, s[60:63], 0 offset:28 ; 4-byte Folded Spill
	buffer_store_dword v29, off, s[60:63], 0 offset:32 ; 4-byte Folded Spill
	v_pk_mul_f16 v12, v17, v12
	v_pk_mul_f16 v54, v19, v54
	v_pk_mul_f16 v48, v17, v15
	v_pk_mul_f16 v38, v19, v55
	v_pk_mul_f16 v46, v17, v49
	v_pk_mul_f16 v37, v19, v62
	v_and_b32_e32 v51, 0xffff, v3
	v_lshrrev_b32_e32 v36, 16, v3
	v_and_b32_e32 v39, 0xffff, v0
	v_lshrrev_b32_e32 v45, 16, v0
	;; [unrolled: 2-line block ×12, first 2 shown]
	v_pk_mul_f16 v14, v18, v56
	v_pk_mul_f16 v23, v17, v40
	;; [unrolled: 1-line block ×4, first 2 shown]
	buffer_store_dword v52, off, s[60:63], 0 offset:80 ; 4-byte Folded Spill
	buffer_store_dword v55, off, s[60:63], 0 offset:84 ; 4-byte Folded Spill
	;; [unrolled: 1-line block ×6, first 2 shown]
	s_cbranch_vccnz .LBB3_15
; %bb.11:                               ;   in Loop: Header=BB3_8 Depth=1
	v_mov_b32_e32 v0, s10
	buffer_store_dword v22, off, s[60:63], 0 offset:104 ; 4-byte Folded Spill
	buffer_store_dword v23, off, s[60:63], 0 offset:108 ; 4-byte Folded Spill
	ds_read_b128 v[22:25], v0
	v_mov_b32_e32 v3, s17
	v_mov_b32_e32 v14, v63
	;; [unrolled: 1-line block ×3, first 2 shown]
	s_waitcnt lgkmcnt(0)
	v_mul_lo_u32 v1, v22, s9
	v_add_u32_e32 v1, v1, v4
	v_ashrrev_i32_e32 v2, 31, v1
	v_lshlrev_b64 v[1:2], 1, v[1:2]
	v_add_co_u32_e32 v1, vcc, s16, v1
	v_addc_co_u32_e32 v2, vcc, v3, v2, vcc
	v_mul_lo_u32 v3, v23, s9
	v_add_u32_e32 v22, v3, v4
	v_ashrrev_i32_e32 v23, 31, v22
	v_lshlrev_b64 v[22:23], 1, v[22:23]
	v_mov_b32_e32 v3, s17
	v_add_co_u32_e32 v22, vcc, s16, v22
	v_addc_co_u32_e32 v23, vcc, v3, v23, vcc
	v_mul_lo_u32 v3, v24, s9
	global_store_dwordx2 v[1:2], v[9:10], off
	global_store_dwordx2 v[22:23], v[7:8], off
	v_lshl_or_b32 v1, v41, 16, v51
	v_lshl_or_b32 v2, v42, 16, v39
	v_add_u32_e32 v62, v3, v4
	v_ashrrev_i32_e32 v63, 31, v62
	v_lshlrev_b64 v[62:63], 1, v[62:63]
	v_mov_b32_e32 v3, s17
	v_add_co_u32_e32 v62, vcc, s16, v62
	v_addc_co_u32_e32 v63, vcc, v3, v63, vcc
	global_store_dwordx2 v[62:63], v[1:2], off
	v_mul_lo_u32 v1, v25, s9
	v_and_or_b32 v22, v41, s56, v36
	v_and_or_b32 v23, v42, s56, v45
	v_lshl_or_b32 v62, v12, 16, v34
	v_add_u32_e32 v1, v1, v4
	v_ashrrev_i32_e32 v2, 31, v1
	v_lshlrev_b64 v[1:2], 1, v[1:2]
	v_lshl_or_b32 v63, v21, 16, v35
	v_add_co_u32_e32 v1, vcc, s16, v1
	v_addc_co_u32_e32 v2, vcc, v3, v2, vcc
	global_store_dwordx2 v[1:2], v[22:23], off
	ds_read_b128 v[22:25], v0 offset:16
	v_pk_mul_f16 v51, v16, v57
	s_waitcnt lgkmcnt(0)
	v_mul_lo_u32 v1, v22, s9
	v_and_or_b32 v22, v12, s56, v55
	v_mov_b32_e32 v55, v32
	v_add_u32_e32 v1, v1, v4
	v_ashrrev_i32_e32 v2, 31, v1
	v_lshlrev_b64 v[1:2], 1, v[1:2]
	v_add_co_u32_e32 v1, vcc, s16, v1
	v_addc_co_u32_e32 v2, vcc, v3, v2, vcc
	global_store_dwordx2 v[1:2], v[62:63], off
	v_mul_lo_u32 v1, v23, s9
	v_and_or_b32 v23, v21, s56, v33
	v_lshl_or_b32 v62, v53, 16, v28
	v_lshl_or_b32 v63, v54, 16, v29
	v_add_u32_e32 v1, v1, v4
	v_ashrrev_i32_e32 v2, 31, v1
	v_lshlrev_b64 v[1:2], 1, v[1:2]
	v_add_co_u32_e32 v1, vcc, s16, v1
	v_addc_co_u32_e32 v2, vcc, v3, v2, vcc
	global_store_dwordx2 v[1:2], v[22:23], off
	v_mul_lo_u32 v1, v24, s9
	v_lshl_or_b32 v22, v59, 16, v32
	v_lshl_or_b32 v23, v61, 16, v52
	v_mov_b32_e32 v32, v30
	v_add_u32_e32 v1, v1, v4
	v_ashrrev_i32_e32 v2, 31, v1
	v_lshlrev_b64 v[1:2], 1, v[1:2]
	v_mov_b32_e32 v52, v31
	v_add_co_u32_e32 v1, vcc, s16, v1
	v_addc_co_u32_e32 v2, vcc, v3, v2, vcc
	global_store_dwordx2 v[1:2], v[22:23], off
	v_mul_lo_u32 v1, v25, s9
	v_and_or_b32 v22, v59, s56, v30
	v_and_or_b32 v23, v61, s56, v31
	v_mov_b32_e32 v30, v28
	v_add_u32_e32 v1, v1, v4
	v_ashrrev_i32_e32 v2, 31, v1
	v_lshlrev_b64 v[1:2], 1, v[1:2]
	v_mov_b32_e32 v31, v29
	v_add_co_u32_e32 v1, vcc, s16, v1
	v_addc_co_u32_e32 v2, vcc, v3, v2, vcc
	global_store_dwordx2 v[1:2], v[22:23], off
	ds_read_b128 v[22:25], v0 offset:32
	v_mov_b32_e32 v28, v27
	v_mov_b32_e32 v29, v50
	s_waitcnt lgkmcnt(0)
	v_mul_lo_u32 v1, v22, s9
	v_and_or_b32 v22, v53, s56, v27
	v_mov_b32_e32 v27, v49
	v_add_u32_e32 v1, v1, v4
	v_ashrrev_i32_e32 v2, 31, v1
	v_lshlrev_b64 v[1:2], 1, v[1:2]
	v_add_co_u32_e32 v1, vcc, s16, v1
	v_addc_co_u32_e32 v2, vcc, v3, v2, vcc
	global_store_dwordx2 v[1:2], v[62:63], off
	v_mul_lo_u32 v1, v23, s9
	v_and_or_b32 v23, v54, s56, v50
	v_mov_b32_e32 v63, v14
	v_mov_b32_e32 v62, v13
	v_add_u32_e32 v1, v1, v4
	v_ashrrev_i32_e32 v2, 31, v1
	v_lshlrev_b64 v[1:2], 1, v[1:2]
	v_mov_b32_e32 v13, s17
	v_add_co_u32_e32 v1, vcc, s16, v1
	v_addc_co_u32_e32 v2, vcc, v3, v2, vcc
	global_store_dwordx2 v[1:2], v[22:23], off
	v_mul_lo_u32 v1, v24, s9
	v_lshl_or_b32 v22, v48, 16, v26
	v_lshl_or_b32 v23, v38, 16, v49
	;; [unrolled: 1-line block ×3, first 2 shown]
	v_add_u32_e32 v1, v1, v4
	v_ashrrev_i32_e32 v2, 31, v1
	v_lshlrev_b64 v[1:2], 1, v[1:2]
	v_pk_mul_f16 v14, v18, v47
	v_add_co_u32_e32 v1, vcc, s16, v1
	v_addc_co_u32_e32 v2, vcc, v3, v2, vcc
	global_store_dwordx2 v[1:2], v[22:23], off
	v_mul_lo_u32 v1, v25, s9
	v_and_or_b32 v22, v48, s56, v43
	v_and_or_b32 v23, v38, s56, v44
	v_lshl_or_b32 v25, v37, 16, v60
	v_add_u32_e32 v1, v1, v4
	v_ashrrev_i32_e32 v2, 31, v1
	v_lshlrev_b64 v[1:2], 1, v[1:2]
	v_mov_b32_e32 v50, v26
	v_add_co_u32_e32 v1, vcc, s16, v1
	v_addc_co_u32_e32 v2, vcc, v3, v2, vcc
	global_store_dwordx2 v[1:2], v[22:23], off
	ds_read_b128 v[0:3], v0 offset:48
	v_mov_b32_e32 v26, v43
	v_mov_b32_e32 v49, v44
	;; [unrolled: 1-line block ×4, first 2 shown]
	s_waitcnt lgkmcnt(0)
	v_mul_lo_u32 v0, v0, s9
	v_mov_b32_e32 v15, v20
	v_add_u32_e32 v22, v0, v4
	v_ashrrev_i32_e32 v23, 31, v22
	v_lshlrev_b64 v[22:23], 1, v[22:23]
	v_mov_b32_e32 v0, s17
	v_add_co_u32_e32 v22, vcc, s16, v22
	v_addc_co_u32_e32 v23, vcc, v0, v23, vcc
	v_mul_lo_u32 v0, v1, s9
	global_store_dwordx2 v[22:23], v[24:25], off
	v_and_or_b32 v22, v46, s56, v63
	v_and_or_b32 v23, v37, s56, v20
	v_add_u32_e32 v0, v0, v4
	v_ashrrev_i32_e32 v1, 31, v0
	v_lshlrev_b64 v[0:1], 1, v[0:1]
	v_add_co_u32_e32 v0, vcc, s16, v0
	v_addc_co_u32_e32 v1, vcc, v13, v1, vcc
	global_store_dwordx2 v[0:1], v[22:23], off
	v_mul_lo_u32 v0, v2, s9
	v_mov_b32_e32 v2, s17
	v_add_u32_e32 v0, v0, v4
	v_ashrrev_i32_e32 v1, 31, v0
	v_lshlrev_b64 v[0:1], 1, v[0:1]
	v_add_co_u32_e32 v22, vcc, s16, v0
	v_addc_co_u32_e32 v23, vcc, v2, v1, vcc
	v_pk_mul_f16 v1, v18, v47
	v_pk_mul_f16 v0, v17, v40
	v_and_b32_e32 v13, 0xffff, v1
	v_pk_mul_f16 v2, v19, v58
	v_lshl_or_b32 v24, v0, 16, v13
	v_and_b32_e32 v13, 0xffff, v51
	v_lshl_or_b32 v25, v2, 16, v13
	global_store_dwordx2 v[22:23], v[24:25], off
	buffer_load_dword v23, off, s[60:63], 0 offset:108 ; 4-byte Folded Reload
	s_nop 0
	buffer_load_dword v22, off, s[60:63], 0 offset:104 ; 4-byte Folded Reload
	v_mov_b32_e32 v13, v62
	s_cbranch_execnz .LBB3_13
.LBB3_12:                               ;   in Loop: Header=BB3_8 Depth=1
	v_add_u32_e32 v0, s51, v11
	v_ashrrev_i32_e32 v1, 31, v0
	v_lshlrev_b64 v[0:1], 1, v[0:1]
	v_mov_b32_e32 v2, s17
	v_add_co_u32_e32 v0, vcc, s16, v0
	v_addc_co_u32_e32 v1, vcc, v2, v1, vcc
	global_store_dwordx2 v[0:1], v[9:10], off
	v_add_u32_e32 v0, s52, v11
	v_ashrrev_i32_e32 v1, 31, v0
	v_lshlrev_b64 v[0:1], 1, v[0:1]
	s_add_i32 s6, s18, 15
	v_add_co_u32_e32 v0, vcc, s16, v0
	v_addc_co_u32_e32 v1, vcc, v2, v1, vcc
	global_store_dwordx2 v[0:1], v[7:8], off
	buffer_load_dword v0, off, s[60:63], 0 offset:100 ; 4-byte Folded Reload
	v_add_u32_e32 v2, s49, v11
	v_ashrrev_i32_e32 v3, 31, v2
	v_lshlrev_b64 v[2:3], 1, v[2:3]
	v_mov_b32_e32 v7, s17
	v_add_co_u32_e32 v2, vcc, s16, v2
	v_lshl_or_b32 v1, v42, 16, v39
	v_addc_co_u32_e32 v3, vcc, v7, v3, vcc
	v_mov_b32_e32 v51, v13
	s_waitcnt vmcnt(0)
	v_lshl_or_b32 v0, v41, 16, v0
	global_store_dwordx2 v[2:3], v[0:1], off
	buffer_load_dword v0, off, s[60:63], 0 offset:96 ; 4-byte Folded Reload
	v_add_u32_e32 v2, s50, v11
	v_ashrrev_i32_e32 v3, 31, v2
	v_lshlrev_b64 v[2:3], 1, v[2:3]
	v_and_or_b32 v1, v42, s56, v45
	v_add_co_u32_e32 v2, vcc, s16, v2
	v_addc_co_u32_e32 v3, vcc, v7, v3, vcc
	s_waitcnt vmcnt(0)
	v_and_or_b32 v0, v41, s56, v0
	global_store_dwordx2 v[2:3], v[0:1], off
	buffer_load_dword v0, off, s[60:63], 0 offset:92 ; 4-byte Folded Reload
	v_add_u32_e32 v2, s47, v11
	v_ashrrev_i32_e32 v3, 31, v2
	v_lshlrev_b64 v[2:3], 1, v[2:3]
	v_lshl_or_b32 v1, v21, 16, v35
	v_add_co_u32_e32 v2, vcc, s16, v2
	v_addc_co_u32_e32 v3, vcc, v7, v3, vcc
	s_waitcnt vmcnt(0)
	v_lshl_or_b32 v0, v12, 16, v0
	global_store_dwordx2 v[2:3], v[0:1], off
	buffer_load_dword v0, off, s[60:63], 0 offset:84 ; 4-byte Folded Reload
	v_add_u32_e32 v2, s48, v11
	buffer_load_dword v1, off, s[60:63], 0 offset:88 ; 4-byte Folded Reload
	v_ashrrev_i32_e32 v3, 31, v2
	v_lshlrev_b64 v[2:3], 1, v[2:3]
	v_add_co_u32_e32 v2, vcc, s16, v2
	v_addc_co_u32_e32 v3, vcc, v7, v3, vcc
	s_waitcnt vmcnt(1)
	v_and_or_b32 v0, v12, s56, v0
	s_waitcnt vmcnt(0)
	v_and_or_b32 v1, v21, s56, v1
	global_store_dwordx2 v[2:3], v[0:1], off
	buffer_load_dword v1, off, s[60:63], 0 offset:80 ; 4-byte Folded Reload
	v_add_u32_e32 v2, s45, v11
	v_ashrrev_i32_e32 v3, 31, v2
	v_lshlrev_b64 v[2:3], 1, v[2:3]
	v_lshl_or_b32 v0, v59, 16, v55
	v_add_co_u32_e32 v2, vcc, s16, v2
	v_addc_co_u32_e32 v3, vcc, v7, v3, vcc
	s_waitcnt vmcnt(0)
	v_lshl_or_b32 v1, v61, 16, v1
	global_store_dwordx2 v[2:3], v[0:1], off
	v_add_u32_e32 v2, s46, v11
	v_ashrrev_i32_e32 v3, 31, v2
	v_lshlrev_b64 v[2:3], 1, v[2:3]
	v_and_or_b32 v0, v59, s56, v32
	v_add_co_u32_e32 v2, vcc, s16, v2
	v_and_or_b32 v1, v61, s56, v52
	v_addc_co_u32_e32 v3, vcc, v7, v3, vcc
	global_store_dwordx2 v[2:3], v[0:1], off
	v_add_u32_e32 v2, s43, v11
	v_ashrrev_i32_e32 v3, 31, v2
	v_lshlrev_b64 v[2:3], 1, v[2:3]
	v_lshl_or_b32 v0, v53, 16, v30
	v_add_co_u32_e32 v2, vcc, s16, v2
	v_lshl_or_b32 v1, v54, 16, v31
	v_addc_co_u32_e32 v3, vcc, v7, v3, vcc
	global_store_dwordx2 v[2:3], v[0:1], off
	v_add_u32_e32 v2, s44, v11
	v_ashrrev_i32_e32 v3, 31, v2
	v_lshlrev_b64 v[2:3], 1, v[2:3]
	v_and_or_b32 v0, v53, s56, v28
	v_add_co_u32_e32 v2, vcc, s16, v2
	v_and_or_b32 v1, v54, s56, v29
	v_addc_co_u32_e32 v3, vcc, v7, v3, vcc
	global_store_dwordx2 v[2:3], v[0:1], off
	v_add_u32_e32 v2, s41, v11
	v_ashrrev_i32_e32 v3, 31, v2
	v_lshlrev_b64 v[2:3], 1, v[2:3]
	v_lshl_or_b32 v0, v48, 16, v50
	v_add_co_u32_e32 v2, vcc, s16, v2
	v_lshl_or_b32 v1, v38, 16, v27
	v_addc_co_u32_e32 v3, vcc, v7, v3, vcc
	;; [unrolled: 16-line block ×3, first 2 shown]
	global_store_dwordx2 v[2:3], v[0:1], off
	v_add_u32_e32 v2, s40, v11
	v_ashrrev_i32_e32 v3, 31, v2
	v_lshlrev_b64 v[2:3], 1, v[2:3]
	v_and_or_b32 v0, v46, s56, v63
	v_add_co_u32_e32 v2, vcc, s16, v2
	v_and_or_b32 v1, v37, s56, v15
	v_addc_co_u32_e32 v3, vcc, v7, v3, vcc
	global_store_dwordx2 v[2:3], v[0:1], off
	v_add_u32_e32 v2, s38, v11
	v_ashrrev_i32_e32 v3, 31, v2
	v_lshlrev_b64 v[2:3], 1, v[2:3]
	v_and_b32_e32 v0, 0xffff, v14
	v_and_b32_e32 v1, 0xffff, v13
	v_add_co_u32_e32 v2, vcc, s16, v2
	v_lshl_or_b32 v0, v23, 16, v0
	v_lshl_or_b32 v1, v22, 16, v1
	v_addc_co_u32_e32 v3, vcc, v7, v3, vcc
	global_store_dwordx2 v[2:3], v[0:1], off
	v_mov_b32_e32 v3, s6
	v_mov_b32_e32 v1, v14
	;; [unrolled: 1-line block ×4, first 2 shown]
.LBB3_13:                               ;   in Loop: Header=BB3_8 Depth=1
	v_lshrrev_b32_e32 v1, 16, v1
	v_lshrrev_b32_e32 v7, 16, v51
	v_and_or_b32 v0, v0, s56, v1
	v_and_or_b32 v1, v2, s56, v7
	v_mul_lo_u32 v2, v3, s9
	v_mov_b32_e32 v7, s17
	buffer_load_dword v23, off, s[60:63], 0 offset:72 ; 4-byte Folded Reload
	buffer_load_dword v27, off, s[60:63], 0 offset:60 ; 4-byte Folded Reload
	v_add_u32_e32 v2, v2, v4
	v_ashrrev_i32_e32 v3, 31, v2
	v_lshlrev_b64 v[2:3], 1, v[2:3]
	buffer_load_dword v24, off, s[60:63], 0 offset:76 ; 4-byte Folded Reload
	v_add_co_u32_e32 v2, vcc, s16, v2
	v_addc_co_u32_e32 v3, vcc, v7, v3, vcc
	global_store_dwordx2 v[2:3], v[0:1], off
	v_add_co_u32_e32 v5, vcc, s4, v5
	v_mov_b32_e32 v0, s5
	v_addc_co_u32_e32 v6, vcc, v6, v0, vcc
	global_load_dwordx4 v[0:3], v[5:6], off
	s_and_b64 vcc, exec, s[0:1]
	buffer_load_dword v26, off, s[60:63], 0 offset:56 ; 4-byte Folded Reload
	buffer_load_dword v28, off, s[60:63], 0 offset:40 ; 4-byte Folded Reload
	;; [unrolled: 1-line block ×3, first 2 shown]
	s_waitcnt vmcnt(3)
	v_and_b32_e32 v7, 0x30003, v0
	v_and_b32_e32 v8, 0xc000c, v0
	;; [unrolled: 1-line block ×4, first 2 shown]
	v_lshrrev_b32_e32 v0, 8, v0
	v_or_b32_e32 v14, 0x64006400, v10
	v_and_b32_e32 v10, 0x30003, v0
	v_or_b32_e32 v15, 0x64006400, v10
	v_and_b32_e32 v10, 0xc000c, v0
	;; [unrolled: 2-line block ×3, first 2 shown]
	v_and_b32_e32 v0, 0xc000c0, v0
	v_or_b32_e32 v22, 0x64006400, v0
	buffer_load_dword v0, off, s[60:63], 0 offset:64 ; 4-byte Folded Reload
	v_or_b32_e32 v7, 0x64006400, v7
	v_or_b32_e32 v8, 0x64006400, v8
	;; [unrolled: 1-line block ×4, first 2 shown]
	v_pk_fma_f16 v10, v9, s54, v23 op_sel_hi:[1,0,1]
	v_pk_fma_f16 v9, v14, s55, v24 op_sel_hi:[1,0,1]
	v_and_b32_e32 v14, 0x30003, v1
	v_pk_fma_f16 v37, v22, s55, v24 op_sel_hi:[1,0,1]
	v_or_b32_e32 v14, 0x64006400, v14
	v_and_b32_e32 v31, 0xc000c, v3
	v_and_b32_e32 v32, 0x300030, v3
	v_or_b32_e32 v32, 0x64006400, v32
	v_or_b32_e32 v31, 0x64006400, v31
	s_waitcnt vmcnt(0)
	v_pk_add_f16 v13, v0, v7
	buffer_load_dword v7, off, s[60:63], 0 offset:68 ; 4-byte Folded Reload
	s_waitcnt vmcnt(0)
	v_pk_fma_f16 v12, v8, s53, v7 op_sel_hi:[1,0,1]
	v_pk_add_f16 v8, v0, v15
	v_pk_fma_f16 v7, v20, s53, v7 op_sel_hi:[1,0,1]
	v_pk_fma_f16 v0, v21, s54, v23 op_sel_hi:[1,0,1]
	v_and_b32_e32 v15, 0xc000c, v1
	v_and_b32_e32 v20, 0x300030, v1
	;; [unrolled: 1-line block ×3, first 2 shown]
	v_lshrrev_b32_e32 v1, 8, v1
	v_or_b32_e32 v24, 0x64006400, v21
	v_and_b32_e32 v21, 0x30003, v1
	v_or_b32_e32 v25, 0x64006400, v21
	v_and_b32_e32 v21, 0xc000c, v1
	;; [unrolled: 2-line block ×3, first 2 shown]
	v_and_b32_e32 v1, 0xc000c0, v1
	v_or_b32_e32 v40, 0x64006400, v1
	buffer_load_dword v1, off, s[60:63], 0 offset:48 ; 4-byte Folded Reload
	v_or_b32_e32 v20, 0x64006400, v20
	v_or_b32_e32 v39, 0x64006400, v21
	v_pk_fma_f16 v21, v20, s54, v26 op_sel_hi:[1,0,1]
	v_pk_fma_f16 v20, v24, s55, v27 op_sel_hi:[1,0,1]
	;; [unrolled: 1-line block ×3, first 2 shown]
	buffer_load_dword v27, off, s[60:63], 0 offset:36 ; 4-byte Folded Reload
	v_or_b32_e32 v15, 0x64006400, v15
	v_and_b32_e32 v24, 0x30003, v2
	v_pk_mul_f16 v12, v18, v12
	v_pk_mul_f16 v0, v18, v0
	v_and_b32_e32 v56, 0xffff, v12
	v_lshrrev_b32_e32 v54, 16, v12
	v_and_b32_e32 v12, 0xffff, v0
	v_or_b32_e32 v24, 0x64006400, v24
	s_waitcnt vmcnt(1)
	v_pk_add_f16 v23, v1, v14
	buffer_load_dword v14, off, s[60:63], 0 offset:52 ; 4-byte Folded Reload
	v_pk_mul_f16 v23, v17, v23
	s_waitcnt vmcnt(0)
	v_pk_fma_f16 v22, v15, s53, v14 op_sel_hi:[1,0,1]
	v_pk_add_f16 v15, v1, v25
	v_pk_fma_f16 v1, v39, s54, v26 op_sel_hi:[1,0,1]
	buffer_load_dword v26, off, s[60:63], 0 offset:20 ; 4-byte Folded Reload
	v_and_b32_e32 v25, 0xc000c, v2
	v_or_b32_e32 v34, 0x64006400, v25
	v_and_b32_e32 v25, 0x300030, v2
	v_or_b32_e32 v35, 0x64006400, v25
	v_and_b32_e32 v25, 0xc000c0, v2
	v_lshrrev_b32_e32 v2, 8, v2
	v_pk_fma_f16 v14, v38, s53, v14 op_sel_hi:[1,0,1]
	v_or_b32_e32 v36, 0x64006400, v25
	v_and_b32_e32 v25, 0x30003, v2
	v_and_b32_e32 v38, 0xc000c, v2
	;; [unrolled: 1-line block ×4, first 2 shown]
	v_or_b32_e32 v25, 0x64006400, v25
	v_or_b32_e32 v38, 0x64006400, v38
	;; [unrolled: 1-line block ×4, first 2 shown]
	v_pk_fma_f16 v35, v35, s54, v28 op_sel_hi:[1,0,1]
	v_pk_fma_f16 v36, v36, s55, v29 op_sel_hi:[1,0,1]
	;; [unrolled: 1-line block ×4, first 2 shown]
	buffer_load_dword v28, off, s[60:63], 0 offset:28 ; 4-byte Folded Reload
	buffer_load_dword v42, off, s[60:63], 0 offset:16 ; 4-byte Folded Reload
	v_pk_fma_f16 v34, v34, s53, v27 op_sel_hi:[1,0,1]
	v_and_b32_e32 v2, 0x30003, v3
	v_or_b32_e32 v2, 0x64006400, v2
	v_pk_mul_f16 v48, v17, v22
	v_pk_mul_f16 v22, v16, v34
	;; [unrolled: 1-line block ×7, first 2 shown]
	v_and_b32_e32 v57, 0xffff, v22
	v_lshrrev_b32_e32 v55, 16, v22
	v_and_b32_e32 v52, 0xffff, v34
	v_and_b32_e32 v53, 0xffff, v44
	v_lshrrev_b32_e32 v50, 16, v34
	v_lshrrev_b32_e32 v51, 16, v44
	v_and_b32_e32 v47, 0xffff, v45
	v_lshrrev_b32_e32 v45, 16, v45
	buffer_load_dword v29, off, s[60:63], 0 offset:32 ; 4-byte Folded Reload
	s_waitcnt vmcnt(3)
	v_pk_add_f16 v24, v26, v24
	v_pk_add_f16 v25, v26, v25
	v_pk_fma_f16 v26, v38, s53, v27 op_sel_hi:[1,0,1]
	buffer_load_dword v27, off, s[60:63], 0 offset:24 ; 4-byte Folded Reload
	v_and_b32_e32 v38, 0xc000c0, v3
	v_lshrrev_b32_e32 v3, 8, v3
	v_and_b32_e32 v39, 0x30003, v3
	v_and_b32_e32 v40, 0xc000c, v3
	;; [unrolled: 1-line block ×4, first 2 shown]
	v_or_b32_e32 v38, 0x64006400, v38
	v_or_b32_e32 v3, 0x64006400, v3
	;; [unrolled: 1-line block ×5, first 2 shown]
	v_pk_mul_f16 v15, v16, v25
	v_pk_mul_f16 v25, v18, v7
	v_lshrrev_b32_e32 v22, 16, v25
	s_waitcnt vmcnt(3)
	v_pk_fma_f16 v32, v32, s54, v28 op_sel_hi:[1,0,1]
	s_waitcnt vmcnt(2)
	v_pk_add_f16 v2, v42, v2
	v_pk_add_f16 v39, v42, v39
	v_pk_fma_f16 v28, v41, s54, v28 op_sel_hi:[1,0,1]
	v_pk_mul_f16 v2, v19, v2
	v_pk_mul_f16 v43, v19, v32
	v_pk_mul_f16 v32, v18, v9
	v_pk_mul_f16 v42, v17, v21
	v_pk_mul_f16 v21, v19, v39
	v_and_b32_e32 v46, 0xffff, v32
	v_lshrrev_b32_e32 v44, 16, v32
	v_lshrrev_b32_e32 v39, 16, v15
	;; [unrolled: 1-line block ×3, first 2 shown]
	s_waitcnt vmcnt(1)
	v_pk_fma_f16 v38, v38, s55, v29 op_sel_hi:[1,0,1]
	v_pk_fma_f16 v59, v3, s55, v29 op_sel_hi:[1,0,1]
	v_pk_mul_f16 v3, v18, v13
	v_pk_mul_f16 v13, v16, v24
	;; [unrolled: 1-line block ×3, first 2 shown]
	v_and_b32_e32 v24, 0xffff, v3
	v_lshrrev_b32_e32 v3, 16, v3
	v_lshrrev_b32_e32 v41, 16, v13
	v_pk_mul_f16 v36, v19, v38
	v_pk_mul_f16 v38, v18, v8
	;; [unrolled: 1-line block ×4, first 2 shown]
	v_lshl_or_b32 v9, v23, 16, v24
	v_and_or_b32 v7, v23, s56, v3
	v_and_or_b32 v8, v2, s56, v41
	v_and_b32_e32 v41, 0xffff, v15
	v_and_b32_e32 v15, 0xffff, v25
	v_lshrrev_b32_e32 v34, 16, v1
	v_pk_mul_f16 v25, v18, v37
	v_pk_mul_f16 v28, v19, v59
	s_waitcnt vmcnt(0)
	v_pk_fma_f16 v31, v31, s53, v27 op_sel_hi:[1,0,1]
	v_pk_fma_f16 v27, v40, s53, v27 op_sel_hi:[1,0,1]
	v_and_b32_e32 v40, 0xffff, v13
	v_pk_mul_f16 v13, v17, v14
	v_pk_mul_f16 v14, v16, v26
	;; [unrolled: 1-line block ×4, first 2 shown]
	v_lshl_or_b32 v10, v2, 16, v40
	v_and_b32_e32 v40, 0xffff, v38
	v_lshrrev_b32_e32 v38, 16, v38
	v_and_b32_e32 v24, 0xffff, v14
	v_lshrrev_b32_e32 v23, 16, v14
	v_and_b32_e32 v14, 0xffff, v1
	v_pk_mul_f16 v26, v17, v33
	v_pk_mul_f16 v27, v16, v58
	s_cbranch_vccnz .LBB3_16
; %bb.14:                               ;   in Loop: Header=BB3_8 Depth=1
	v_mov_b32_e32 v0, s10
	ds_read_b128 v[60:63], v0 offset:64
	buffer_store_dword v25, off, s[60:63], 0 offset:16 ; 4-byte Folded Spill
	v_lshl_or_b32 v25, v48, 16, v56
	buffer_store_dword v26, off, s[60:63], 0 offset:20 ; 4-byte Folded Spill
	v_lshl_or_b32 v26, v49, 16, v57
	s_waitcnt lgkmcnt(0)
	v_mul_lo_u32 v1, v60, s9
	v_mov_b32_e32 v60, s17
	buffer_store_dword v27, off, s[60:63], 0 offset:24 ; 4-byte Folded Spill
	v_pk_mul_f16 v37, v18, v37
	v_add_u32_e32 v1, v1, v4
	v_ashrrev_i32_e32 v2, 31, v1
	v_lshlrev_b64 v[1:2], 1, v[1:2]
	v_add_co_u32_e32 v1, vcc, s16, v1
	v_addc_co_u32_e32 v2, vcc, v60, v2, vcc
	global_store_dwordx2 v[1:2], v[9:10], off
	v_mul_lo_u32 v1, v61, s9
	v_lshl_or_b32 v61, v42, 16, v52
	v_add_u32_e32 v1, v1, v4
	v_ashrrev_i32_e32 v2, 31, v1
	v_lshlrev_b64 v[1:2], 1, v[1:2]
	v_add_co_u32_e32 v1, vcc, s16, v1
	v_addc_co_u32_e32 v2, vcc, v60, v2, vcc
	global_store_dwordx2 v[1:2], v[7:8], off
	v_mul_lo_u32 v1, v62, s9
	v_lshl_or_b32 v62, v43, 16, v53
	v_add_u32_e32 v1, v1, v4
	v_ashrrev_i32_e32 v2, 31, v1
	v_lshlrev_b64 v[1:2], 1, v[1:2]
	v_add_co_u32_e32 v1, vcc, s16, v1
	v_addc_co_u32_e32 v2, vcc, v60, v2, vcc
	global_store_dwordx2 v[1:2], v[25:26], off
	v_mul_lo_u32 v1, v63, s9
	v_and_or_b32 v25, v48, s56, v54
	v_and_or_b32 v26, v49, s56, v55
	v_mov_b32_e32 v63, v28
	v_add_u32_e32 v1, v1, v4
	v_ashrrev_i32_e32 v2, 31, v1
	v_lshlrev_b64 v[1:2], 1, v[1:2]
	v_add_co_u32_e32 v1, vcc, s16, v1
	v_addc_co_u32_e32 v2, vcc, v60, v2, vcc
	global_store_dwordx2 v[1:2], v[25:26], off
	ds_read_b128 v[25:28], v0 offset:80
	s_waitcnt lgkmcnt(0)
	v_mul_lo_u32 v1, v25, s9
	v_and_or_b32 v25, v42, s56, v50
	v_add_u32_e32 v1, v1, v4
	v_ashrrev_i32_e32 v2, 31, v1
	v_lshlrev_b64 v[1:2], 1, v[1:2]
	v_add_co_u32_e32 v1, vcc, s16, v1
	v_addc_co_u32_e32 v2, vcc, v60, v2, vcc
	global_store_dwordx2 v[1:2], v[61:62], off
	v_mul_lo_u32 v1, v26, s9
	v_and_or_b32 v26, v43, s56, v51
	v_lshl_or_b32 v61, v20, 16, v40
	v_lshl_or_b32 v62, v21, 16, v41
	v_add_u32_e32 v1, v1, v4
	v_ashrrev_i32_e32 v2, 31, v1
	v_lshlrev_b64 v[1:2], 1, v[1:2]
	v_add_co_u32_e32 v1, vcc, s16, v1
	v_addc_co_u32_e32 v2, vcc, v60, v2, vcc
	global_store_dwordx2 v[1:2], v[25:26], off
	v_mul_lo_u32 v1, v27, s9
	v_lshl_or_b32 v25, v35, 16, v46
	v_lshl_or_b32 v26, v36, 16, v47
	v_add_u32_e32 v1, v1, v4
	v_ashrrev_i32_e32 v2, 31, v1
	v_lshlrev_b64 v[1:2], 1, v[1:2]
	v_add_co_u32_e32 v1, vcc, s16, v1
	v_addc_co_u32_e32 v2, vcc, v60, v2, vcc
	global_store_dwordx2 v[1:2], v[25:26], off
	v_mul_lo_u32 v1, v28, s9
	v_and_or_b32 v25, v35, s56, v44
	v_and_or_b32 v26, v36, s56, v45
	v_add_u32_e32 v1, v1, v4
	v_ashrrev_i32_e32 v2, 31, v1
	v_lshlrev_b64 v[1:2], 1, v[1:2]
	v_add_co_u32_e32 v1, vcc, s16, v1
	v_addc_co_u32_e32 v2, vcc, v60, v2, vcc
	global_store_dwordx2 v[1:2], v[25:26], off
	ds_read_b128 v[25:28], v0 offset:96
	s_waitcnt lgkmcnt(0)
	v_mul_lo_u32 v1, v25, s9
	v_and_or_b32 v25, v20, s56, v38
	v_add_u32_e32 v1, v1, v4
	v_ashrrev_i32_e32 v2, 31, v1
	v_lshlrev_b64 v[1:2], 1, v[1:2]
	v_add_co_u32_e32 v1, vcc, s16, v1
	v_addc_co_u32_e32 v2, vcc, v60, v2, vcc
	global_store_dwordx2 v[1:2], v[61:62], off
	v_mul_lo_u32 v1, v26, s9
	v_and_or_b32 v26, v21, s56, v39
	v_add_u32_e32 v1, v1, v4
	v_ashrrev_i32_e32 v2, 31, v1
	v_lshlrev_b64 v[1:2], 1, v[1:2]
	v_add_co_u32_e32 v1, vcc, s16, v1
	v_addc_co_u32_e32 v2, vcc, v60, v2, vcc
	global_store_dwordx2 v[1:2], v[25:26], off
	v_mul_lo_u32 v1, v27, s9
	v_lshl_or_b32 v25, v13, 16, v15
	v_lshl_or_b32 v26, v31, 16, v24
	;; [unrolled: 1-line block ×3, first 2 shown]
	v_add_u32_e32 v1, v1, v4
	v_ashrrev_i32_e32 v2, 31, v1
	v_lshlrev_b64 v[1:2], 1, v[1:2]
	v_add_co_u32_e32 v1, vcc, s16, v1
	v_addc_co_u32_e32 v2, vcc, v60, v2, vcc
	global_store_dwordx2 v[1:2], v[25:26], off
	v_mul_lo_u32 v1, v28, s9
	v_and_or_b32 v25, v13, s56, v22
	v_and_or_b32 v26, v31, s56, v23
	v_lshl_or_b32 v28, v30, 16, v14
	v_add_u32_e32 v1, v1, v4
	v_ashrrev_i32_e32 v2, 31, v1
	v_lshlrev_b64 v[1:2], 1, v[1:2]
	v_add_co_u32_e32 v1, vcc, s16, v1
	v_addc_co_u32_e32 v2, vcc, v60, v2, vcc
	global_store_dwordx2 v[1:2], v[25:26], off
	ds_read_b128 v[0:3], v0 offset:112
	s_waitcnt lgkmcnt(0)
	v_mul_lo_u32 v0, v0, s9
	v_add_u32_e32 v25, v0, v4
	v_mul_lo_u32 v0, v1, s9
	v_ashrrev_i32_e32 v26, 31, v25
	v_lshlrev_b64 v[25:26], 1, v[25:26]
	v_add_u32_e32 v0, v0, v4
	v_ashrrev_i32_e32 v1, 31, v0
	v_add_co_u32_e32 v25, vcc, s16, v25
	v_lshlrev_b64 v[0:1], 1, v[0:1]
	v_addc_co_u32_e32 v26, vcc, v60, v26, vcc
	v_add_co_u32_e32 v0, vcc, s16, v0
	global_store_dwordx2 v[25:26], v[27:28], off
	v_addc_co_u32_e32 v1, vcc, v60, v1, vcc
	v_and_or_b32 v25, v29, s56, v32
	v_and_or_b32 v26, v30, s56, v34
	global_store_dwordx2 v[0:1], v[25:26], off
	v_mul_lo_u32 v0, v2, s9
	v_pk_mul_f16 v2, v16, v58
	v_and_b32_e32 v27, 0xffff, v37
	v_and_b32_e32 v28, 0xffff, v2
	v_add_u32_e32 v0, v0, v4
	v_ashrrev_i32_e32 v1, 31, v0
	v_lshlrev_b64 v[0:1], 1, v[0:1]
	v_add_co_u32_e32 v25, vcc, s16, v0
	v_addc_co_u32_e32 v26, vcc, v60, v1, vcc
	v_pk_mul_f16 v0, v17, v33
	v_pk_mul_f16 v1, v19, v59
	v_lshl_or_b32 v27, v0, 16, v27
	v_lshl_or_b32 v28, v1, 16, v28
	global_store_dwordx2 v[25:26], v[27:28], off
	buffer_load_dword v27, off, s[60:63], 0 offset:24 ; 4-byte Folded Reload
	s_nop 0
	buffer_load_dword v26, off, s[60:63], 0 offset:20 ; 4-byte Folded Reload
	buffer_load_dword v25, off, s[60:63], 0 offset:16 ; 4-byte Folded Reload
	v_mov_b32_e32 v28, v63
	s_cbranch_execnz .LBB3_7
	s_branch .LBB3_17
.LBB3_15:                               ;   in Loop: Header=BB3_8 Depth=1
	v_mov_b32_e32 v55, v32
	v_mov_b32_e32 v52, v31
	;; [unrolled: 1-line block ×14, first 2 shown]
                                        ; implicit-def: $vgpr3
                                        ; implicit-def: $vgpr2
                                        ; implicit-def: $vgpr51
                                        ; implicit-def: $vgpr0
                                        ; implicit-def: $vgpr1
	s_branch .LBB3_12
.LBB3_16:                               ;   in Loop: Header=BB3_8 Depth=1
                                        ; implicit-def: $vgpr3
                                        ; implicit-def: $vgpr1
                                        ; implicit-def: $vgpr2
                                        ; implicit-def: $vgpr0
                                        ; implicit-def: $vgpr37
.LBB3_17:                               ;   in Loop: Header=BB3_8 Depth=1
	v_add_u32_e32 v0, s37, v11
	v_ashrrev_i32_e32 v1, 31, v0
	v_lshlrev_b64 v[1:2], 1, v[0:1]
	v_mov_b32_e32 v0, s17
	v_add_co_u32_e32 v1, vcc, s16, v1
	v_addc_co_u32_e32 v2, vcc, v0, v2, vcc
	global_store_dwordx2 v[1:2], v[9:10], off
	v_add_u32_e32 v1, s36, v11
	v_ashrrev_i32_e32 v2, 31, v1
	v_lshlrev_b64 v[1:2], 1, v[1:2]
	s_add_i32 s0, s18, 31
	v_add_co_u32_e32 v1, vcc, s16, v1
	v_addc_co_u32_e32 v2, vcc, v0, v2, vcc
	global_store_dwordx2 v[1:2], v[7:8], off
	v_add_u32_e32 v7, s34, v11
	v_ashrrev_i32_e32 v8, 31, v7
	v_lshlrev_b64 v[7:8], 1, v[7:8]
	v_lshl_or_b32 v1, v48, 16, v56
	v_add_co_u32_e32 v7, vcc, s16, v7
	v_lshl_or_b32 v2, v49, 16, v57
	v_addc_co_u32_e32 v8, vcc, v0, v8, vcc
	global_store_dwordx2 v[7:8], v[1:2], off
	v_add_u32_e32 v7, s35, v11
	v_ashrrev_i32_e32 v8, 31, v7
	v_lshlrev_b64 v[7:8], 1, v[7:8]
	v_and_or_b32 v1, v48, s56, v54
	v_add_co_u32_e32 v7, vcc, s16, v7
	v_and_or_b32 v2, v49, s56, v55
	v_addc_co_u32_e32 v8, vcc, v0, v8, vcc
	global_store_dwordx2 v[7:8], v[1:2], off
	v_add_u32_e32 v7, s31, v11
	v_ashrrev_i32_e32 v8, 31, v7
	v_lshlrev_b64 v[7:8], 1, v[7:8]
	v_lshl_or_b32 v1, v42, 16, v52
	v_add_co_u32_e32 v7, vcc, s16, v7
	v_lshl_or_b32 v2, v43, 16, v53
	v_addc_co_u32_e32 v8, vcc, v0, v8, vcc
	global_store_dwordx2 v[7:8], v[1:2], off
	v_add_u32_e32 v7, s33, v11
	v_ashrrev_i32_e32 v8, 31, v7
	v_lshlrev_b64 v[7:8], 1, v[7:8]
	v_and_or_b32 v1, v42, s56, v50
	v_add_co_u32_e32 v7, vcc, s16, v7
	v_and_or_b32 v2, v43, s56, v51
	v_addc_co_u32_e32 v8, vcc, v0, v8, vcc
	global_store_dwordx2 v[7:8], v[1:2], off
	v_add_u32_e32 v7, s29, v11
	v_ashrrev_i32_e32 v8, 31, v7
	v_lshlrev_b64 v[7:8], 1, v[7:8]
	v_lshl_or_b32 v1, v35, 16, v46
	v_add_co_u32_e32 v7, vcc, s16, v7
	v_lshl_or_b32 v2, v36, 16, v47
	v_addc_co_u32_e32 v8, vcc, v0, v8, vcc
	global_store_dwordx2 v[7:8], v[1:2], off
	v_add_u32_e32 v7, s30, v11
	v_ashrrev_i32_e32 v8, 31, v7
	v_lshlrev_b64 v[7:8], 1, v[7:8]
	v_and_or_b32 v1, v35, s56, v44
	v_add_co_u32_e32 v7, vcc, s16, v7
	v_and_or_b32 v2, v36, s56, v45
	v_addc_co_u32_e32 v8, vcc, v0, v8, vcc
	global_store_dwordx2 v[7:8], v[1:2], off
	v_add_u32_e32 v7, s27, v11
	v_ashrrev_i32_e32 v8, 31, v7
	v_lshlrev_b64 v[7:8], 1, v[7:8]
	v_lshl_or_b32 v1, v20, 16, v40
	v_add_co_u32_e32 v7, vcc, s16, v7
	v_lshl_or_b32 v2, v21, 16, v41
	v_addc_co_u32_e32 v8, vcc, v0, v8, vcc
	global_store_dwordx2 v[7:8], v[1:2], off
	v_add_u32_e32 v7, s28, v11
	v_ashrrev_i32_e32 v8, 31, v7
	v_lshlrev_b64 v[7:8], 1, v[7:8]
	v_and_or_b32 v1, v20, s56, v38
	v_add_co_u32_e32 v7, vcc, s16, v7
	v_and_or_b32 v2, v21, s56, v39
	v_addc_co_u32_e32 v8, vcc, v0, v8, vcc
	global_store_dwordx2 v[7:8], v[1:2], off
	v_add_u32_e32 v7, s25, v11
	v_ashrrev_i32_e32 v8, 31, v7
	v_lshlrev_b64 v[7:8], 1, v[7:8]
	v_lshl_or_b32 v1, v13, 16, v15
	v_add_co_u32_e32 v7, vcc, s16, v7
	v_lshl_or_b32 v2, v31, 16, v24
	v_addc_co_u32_e32 v8, vcc, v0, v8, vcc
	global_store_dwordx2 v[7:8], v[1:2], off
	v_add_u32_e32 v7, s26, v11
	v_ashrrev_i32_e32 v8, 31, v7
	v_lshlrev_b64 v[7:8], 1, v[7:8]
	v_and_or_b32 v1, v13, s56, v22
	v_add_co_u32_e32 v7, vcc, s16, v7
	v_and_or_b32 v2, v31, s56, v23
	v_addc_co_u32_e32 v8, vcc, v0, v8, vcc
	global_store_dwordx2 v[7:8], v[1:2], off
	v_add_u32_e32 v7, s23, v11
	v_ashrrev_i32_e32 v8, 31, v7
	v_lshlrev_b64 v[7:8], 1, v[7:8]
	v_lshl_or_b32 v1, v29, 16, v12
	v_add_co_u32_e32 v7, vcc, s16, v7
	v_lshl_or_b32 v2, v30, 16, v14
	v_addc_co_u32_e32 v8, vcc, v0, v8, vcc
	global_store_dwordx2 v[7:8], v[1:2], off
	v_add_u32_e32 v7, s24, v11
	v_ashrrev_i32_e32 v8, 31, v7
	v_lshlrev_b64 v[7:8], 1, v[7:8]
	v_and_or_b32 v1, v29, s56, v32
	v_add_co_u32_e32 v7, vcc, s16, v7
	v_and_or_b32 v2, v30, s56, v34
	v_addc_co_u32_e32 v8, vcc, v0, v8, vcc
	global_store_dwordx2 v[7:8], v[1:2], off
	v_add_u32_e32 v7, s22, v11
	v_ashrrev_i32_e32 v8, 31, v7
	v_lshlrev_b64 v[7:8], 1, v[7:8]
	s_waitcnt vmcnt(14)
	v_and_b32_e32 v1, 0xffff, v25
	v_and_b32_e32 v2, 0xffff, v27
	v_add_co_u32_e32 v7, vcc, s16, v7
	v_lshl_or_b32 v1, v26, 16, v1
	v_lshl_or_b32 v2, v28, 16, v2
	v_addc_co_u32_e32 v8, vcc, v0, v8, vcc
	global_store_dwordx2 v[7:8], v[1:2], off
	v_mov_b32_e32 v3, s0
	v_mov_b32_e32 v37, v25
	;; [unrolled: 1-line block ×5, first 2 shown]
	s_branch .LBB3_7
.LBB3_18:
	s_endpgm
	.section	.rodata,"a",@progbits
	.p2align	6, 0x0
	.amdhsa_kernel _ZN4vllm4gptq31reconstruct_exllama_2bit_kernelEPKjPKiS2_PK6__halfiiibPS5_
		.amdhsa_group_segment_fixed_size 512
		.amdhsa_private_segment_fixed_size 132
		.amdhsa_kernarg_size 56
		.amdhsa_user_sgpr_count 6
		.amdhsa_user_sgpr_private_segment_buffer 1
		.amdhsa_user_sgpr_dispatch_ptr 0
		.amdhsa_user_sgpr_queue_ptr 0
		.amdhsa_user_sgpr_kernarg_segment_ptr 1
		.amdhsa_user_sgpr_dispatch_id 0
		.amdhsa_user_sgpr_flat_scratch_init 0
		.amdhsa_user_sgpr_private_segment_size 0
		.amdhsa_uses_dynamic_stack 0
		.amdhsa_system_sgpr_private_segment_wavefront_offset 1
		.amdhsa_system_sgpr_workgroup_id_x 1
		.amdhsa_system_sgpr_workgroup_id_y 1
		.amdhsa_system_sgpr_workgroup_id_z 0
		.amdhsa_system_sgpr_workgroup_info 0
		.amdhsa_system_vgpr_workitem_id 0
		.amdhsa_next_free_vgpr 64
		.amdhsa_next_free_sgpr 64
		.amdhsa_reserve_vcc 1
		.amdhsa_reserve_flat_scratch 0
		.amdhsa_float_round_mode_32 0
		.amdhsa_float_round_mode_16_64 0
		.amdhsa_float_denorm_mode_32 3
		.amdhsa_float_denorm_mode_16_64 3
		.amdhsa_dx10_clamp 1
		.amdhsa_ieee_mode 1
		.amdhsa_fp16_overflow 0
		.amdhsa_exception_fp_ieee_invalid_op 0
		.amdhsa_exception_fp_denorm_src 0
		.amdhsa_exception_fp_ieee_div_zero 0
		.amdhsa_exception_fp_ieee_overflow 0
		.amdhsa_exception_fp_ieee_underflow 0
		.amdhsa_exception_fp_ieee_inexact 0
		.amdhsa_exception_int_div_zero 0
	.end_amdhsa_kernel
	.text
.Lfunc_end3:
	.size	_ZN4vllm4gptq31reconstruct_exllama_2bit_kernelEPKjPKiS2_PK6__halfiiibPS5_, .Lfunc_end3-_ZN4vllm4gptq31reconstruct_exllama_2bit_kernelEPKjPKiS2_PK6__halfiiibPS5_
                                        ; -- End function
	.set _ZN4vllm4gptq31reconstruct_exllama_2bit_kernelEPKjPKiS2_PK6__halfiiibPS5_.num_vgpr, 64
	.set _ZN4vllm4gptq31reconstruct_exllama_2bit_kernelEPKjPKiS2_PK6__halfiiibPS5_.num_agpr, 0
	.set _ZN4vllm4gptq31reconstruct_exllama_2bit_kernelEPKjPKiS2_PK6__halfiiibPS5_.numbered_sgpr, 64
	.set _ZN4vllm4gptq31reconstruct_exllama_2bit_kernelEPKjPKiS2_PK6__halfiiibPS5_.num_named_barrier, 0
	.set _ZN4vllm4gptq31reconstruct_exllama_2bit_kernelEPKjPKiS2_PK6__halfiiibPS5_.private_seg_size, 132
	.set _ZN4vllm4gptq31reconstruct_exllama_2bit_kernelEPKjPKiS2_PK6__halfiiibPS5_.uses_vcc, 1
	.set _ZN4vllm4gptq31reconstruct_exllama_2bit_kernelEPKjPKiS2_PK6__halfiiibPS5_.uses_flat_scratch, 0
	.set _ZN4vllm4gptq31reconstruct_exllama_2bit_kernelEPKjPKiS2_PK6__halfiiibPS5_.has_dyn_sized_stack, 0
	.set _ZN4vllm4gptq31reconstruct_exllama_2bit_kernelEPKjPKiS2_PK6__halfiiibPS5_.has_recursion, 0
	.set _ZN4vllm4gptq31reconstruct_exllama_2bit_kernelEPKjPKiS2_PK6__halfiiibPS5_.has_indirect_call, 0
	.section	.AMDGPU.csdata,"",@progbits
; Kernel info:
; codeLenInByte = 8540
; TotalNumSgprs: 68
; NumVgprs: 64
; ScratchSize: 132
; MemoryBound: 0
; FloatMode: 240
; IeeeMode: 1
; LDSByteSize: 512 bytes/workgroup (compile time only)
; SGPRBlocks: 8
; VGPRBlocks: 15
; NumSGPRsForWavesPerEU: 68
; NumVGPRsForWavesPerEU: 64
; Occupancy: 4
; WaveLimiterHint : 0
; COMPUTE_PGM_RSRC2:SCRATCH_EN: 1
; COMPUTE_PGM_RSRC2:USER_SGPR: 6
; COMPUTE_PGM_RSRC2:TRAP_HANDLER: 0
; COMPUTE_PGM_RSRC2:TGID_X_EN: 1
; COMPUTE_PGM_RSRC2:TGID_Y_EN: 1
; COMPUTE_PGM_RSRC2:TGID_Z_EN: 0
; COMPUTE_PGM_RSRC2:TIDIG_COMP_CNT: 0
	.text
	.protected	_ZN4vllm4gptq32gemm_half_q_half_alt_4bit_kernelEPK7__half2PKjP6__halfPKS6_S5_PKiiiib ; -- Begin function _ZN4vllm4gptq32gemm_half_q_half_alt_4bit_kernelEPK7__half2PKjP6__halfPKS6_S5_PKiiiib
	.globl	_ZN4vllm4gptq32gemm_half_q_half_alt_4bit_kernelEPK7__half2PKjP6__halfPKS6_S5_PKiiiib
	.p2align	8
	.type	_ZN4vllm4gptq32gemm_half_q_half_alt_4bit_kernelEPK7__half2PKjP6__halfPKS6_S5_PKiiiib,@function
_ZN4vllm4gptq32gemm_half_q_half_alt_4bit_kernelEPK7__half2PKjP6__halfPKS6_S5_PKiiiib: ; @_ZN4vllm4gptq32gemm_half_q_half_alt_4bit_kernelEPK7__half2PKjP6__halfPKS6_S5_PKiiiib
; %bb.0:
	s_load_dwordx4 s[20:23], s[6:7], 0x30
	s_load_dwordx2 s[2:3], s[6:7], 0x28
	s_lshl_b32 s0, s10, 4
	s_and_b32 s25, s0, 0x1ffffff0
	s_lshl_b32 s11, s9, 3
	s_waitcnt lgkmcnt(0)
	s_sub_i32 s0, s21, s25
	v_cvt_f64_u32_e32 v[3:4], s0
	s_mov_b32 s0, 0
	s_mov_b32 s1, 0x40300000
	s_load_dwordx8 s[12:19], s[6:7], 0x8
	v_min_f64 v[3:4], v[3:4], s[0:1]
	s_sub_i32 s0, s20, s11
	v_cvt_f64_u32_e32 v[5:6], s0
	s_mov_b32 s0, 0
	s_mov_b32 s1, 0x40200000
	v_min_f64 v[5:6], v[5:6], s[0:1]
	v_mul_f64 v[3:4], v[3:4], 4.0
	v_cvt_i32_f64_e32 v5, v[5:6]
	v_cvt_i32_f64_e32 v3, v[3:4]
	v_readfirstlane_b32 s20, v5
	v_readfirstlane_b32 s24, v3
	v_cmp_lt_u32_e32 vcc, v0, v3
	s_and_saveexec_b64 s[0:1], vcc
	s_cbranch_execz .LBB4_4
; %bb.1:
	s_cmp_lt_i32 s20, 1
	s_cbranch_scc1 .LBB4_4
; %bb.2:
	s_load_dwordx2 s[6:7], s[6:7], 0x0
	s_lshl_b32 s10, s10, 6
	s_mul_i32 s9, s9, s21
	s_and_b32 s10, s10, 0x7fffffc0
	s_lshl_b32 s9, s9, 5
	s_add_i32 s10, s10, s9
	v_mov_b32_e32 v4, 0x2000
	s_lshl_b32 s26, s21, 2
	v_add_u32_e32 v3, s10, v0
	v_lshl_or_b32 v5, v0, 2, v4
	v_mov_b32_e32 v4, 0
	s_waitcnt lgkmcnt(0)
	v_mov_b32_e32 v6, s7
	s_mov_b32 s7, s20
.LBB4_3:                                ; =>This Inner Loop Header: Depth=1
	v_lshlrev_b64 v[7:8], 2, v[3:4]
	s_add_i32 s7, s7, -1
	v_add_co_u32_e32 v7, vcc, s6, v7
	v_addc_co_u32_e32 v8, vcc, v6, v8, vcc
	global_load_dword v7, v[7:8], off
	v_add_u32_e32 v3, s26, v3
	s_cmp_lg_u32 s7, 0
	s_waitcnt vmcnt(0)
	ds_write_b32 v5, v7
	v_add_u32_e32 v5, 0x100, v5
	s_cbranch_scc1 .LBB4_3
.LBB4_4:
	s_or_b64 exec, exec, s[0:1]
	v_bfe_u32 v3, v0, 3, 4
	v_cvt_f32_ubyte0_e32 v3, v3
	v_cvt_f16_f32_e32 v3, v3
	v_and_b32_e32 v6, 7, v0
	v_lshrrev_b32_e32 v7, 3, v0
	v_lshlrev_b32_e32 v27, 2, v6
	v_add_u32_e32 v4, -16, v7
	v_lshrrev_b32_e32 v5, 7, v0
	v_lshl_or_b32 v6, v7, 5, v27
	s_mov_b64 s[0:1], 0
	s_movk_i32 s6, 0xef
.LBB4_5:                                ; =>This Inner Loop Header: Depth=1
	v_cvt_f32_u32_e32 v7, v5
	v_add_u32_e32 v4, 16, v4
	v_cmp_lt_u32_e32 vcc, s6, v4
	v_add_u32_e32 v5, 1, v5
	v_cvt_f16_f32_sdwa v7, v7 dst_sel:WORD_1 dst_unused:UNUSED_PAD src0_sel:DWORD
	s_or_b64 s[0:1], vcc, s[0:1]
	v_or_b32_e32 v7, v7, v3
	ds_write_b32 v6, v7
	v_add_u32_e32 v6, 0x200, v6
	s_andn2_b64 exec, exec, s[0:1]
	s_cbranch_execnz .LBB4_5
; %bb.6:
	s_or_b64 exec, exec, s[0:1]
	s_load_dwordx2 s[0:1], s[4:5], 0x4
	v_mov_b32_e32 v4, 0
	v_lshl_add_u32 v25, s8, 7, v0
	s_mov_b32 s8, 0
	v_mov_b32_e32 v3, v4
	s_waitcnt lgkmcnt(0)
	s_lshr_b32 s0, s0, 16
	s_mul_i32 s0, s0, s1
	v_mul_lo_u32 v5, s0, v0
	v_mov_b32_e32 v6, v4
	s_cmp_lt_i32 s24, 1
	v_mad_u32_u24 v1, v1, s1, v5
	v_add_lshl_u32 v1, v1, v2, 4
	v_add_u32_e32 v26, 0x2800, v1
	v_mov_b32_e32 v5, v4
	s_barrier
	ds_write_b128 v1, v[3:6] offset:10240
	s_cbranch_scc1 .LBB4_12
; %bb.7:
	s_ashr_i32 s0, s22, 31
	s_lshr_b32 s0, s0, 29
	s_add_i32 s0, s22, s0
	s_and_b32 s21, s23, 1
	s_lshl_b32 s9, s25, 3
	s_ashr_i32 s10, s0, 3
	s_add_i32 s21, s21, -1
	v_lshlrev_b32_e32 v0, 2, v0
	s_mul_i32 s0, s22, s25
	s_cmp_gt_i32 s20, 0
	v_and_b32_e32 v29, 28, v0
	v_add_u32_e32 v0, s0, v25
	s_cselect_b64 s[0:1], -1, 0
	v_cndmask_b32_e64 v1, 0, 1, s[0:1]
	v_lshrrev_b32_e32 v28, 3, v25
	s_ashr_i32 s23, s9, 31
	s_movk_i32 s25, 0x2000
	v_cmp_ne_u32_e64 s[0:1], 1, v1
	s_branch .LBB4_9
.LBB4_8:                                ;   in Loop: Header=BB4_9 Depth=1
	s_add_i32 s8, s8, 4
	s_add_i32 s25, s25, 16
	s_cmp_ge_i32 s8, s24
	v_add_u32_e32 v0, s22, v0
	s_cbranch_scc1 .LBB4_12
.LBB4_9:                                ; =>This Loop Header: Depth=1
                                        ;     Child Loop BB4_11 Depth 2
	s_and_b64 vcc, exec, s[0:1]
	s_cbranch_vccnz .LBB4_8
; %bb.10:                               ;   in Loop: Header=BB4_9 Depth=1
	s_lshl_b32 s26, s8, 1
	s_ashr_i32 s5, s26, 31
	s_add_u32 s4, s26, s9
	s_addc_u32 s5, s5, s23
	s_lshl_b64 s[4:5], s[4:5], 2
	s_add_u32 s28, s2, s4
	s_addc_u32 s29, s3, s5
	s_load_dwordx2 s[30:31], s[28:29], 0x18
	s_load_dwordx4 s[4:7], s[28:29], 0x8
	v_mov_b32_e32 v5, s17
	v_mov_b32_e32 v21, s17
	;; [unrolled: 1-line block ×3, first 2 shown]
	s_waitcnt lgkmcnt(0)
	s_mul_i32 s27, s30, s22
	v_add_u32_e32 v3, s27, v25
	v_lshlrev_b64 v[1:2], 1, v[3:4]
	s_mul_i32 s28, s30, s10
	v_add_co_u32_e32 v1, vcc, s16, v1
	v_addc_co_u32_e32 v2, vcc, v5, v2, vcc
	v_add_u32_e32 v5, s28, v28
	v_ashrrev_i32_e32 v6, 31, v5
	v_lshlrev_b64 v[5:6], 2, v[5:6]
	v_mov_b32_e32 v3, s19
	v_add_co_u32_e32 v5, vcc, s18, v5
	s_mul_i32 s27, s31, s22
	v_addc_co_u32_e32 v6, vcc, v3, v6, vcc
	v_add_u32_e32 v3, s27, v25
	s_mul_i32 s27, s31, s10
	v_lshlrev_b64 v[7:8], 1, v[3:4]
	v_add_u32_e32 v9, s27, v28
	v_ashrrev_i32_e32 v10, 31, v9
	v_mov_b32_e32 v3, s17
	v_add_co_u32_e32 v7, vcc, s16, v7
	v_lshlrev_b64 v[9:10], 2, v[9:10]
	v_addc_co_u32_e32 v8, vcc, v3, v8, vcc
	v_mov_b32_e32 v3, s19
	v_add_co_u32_e32 v11, vcc, s18, v9
	s_mul_i32 s27, s6, s22
	v_addc_co_u32_e32 v12, vcc, v3, v10, vcc
	v_add_u32_e32 v3, s27, v25
	s_mul_i32 s6, s6, s10
	v_lshlrev_b64 v[9:10], 1, v[3:4]
	v_add_u32_e32 v13, s6, v28
	v_ashrrev_i32_e32 v14, 31, v13
	v_mov_b32_e32 v3, s17
	v_add_co_u32_e32 v9, vcc, s16, v9
	v_lshlrev_b64 v[13:14], 2, v[13:14]
	v_addc_co_u32_e32 v10, vcc, v3, v10, vcc
	;; [unrolled: 13-line block ×3, first 2 shown]
	v_mov_b32_e32 v3, s19
	v_add_co_u32_e32 v17, vcc, s18, v17
	s_mul_i32 s6, s4, s22
	v_addc_co_u32_e32 v18, vcc, v3, v18, vcc
	v_add_u32_e32 v3, s6, v25
	v_lshlrev_b64 v[19:20], 1, v[3:4]
	s_mul_i32 s4, s4, s10
	v_add_co_u32_e32 v19, vcc, s16, v19
	v_addc_co_u32_e32 v20, vcc, v21, v20, vcc
	v_add_u32_e32 v21, s4, v28
	v_ashrrev_i32_e32 v22, 31, v21
	v_lshlrev_b64 v[21:22], 2, v[21:22]
	v_mov_b32_e32 v3, s19
	v_add_co_u32_e32 v21, vcc, s18, v21
	s_mul_i32 s4, s5, s22
	v_addc_co_u32_e32 v22, vcc, v3, v22, vcc
	v_add_u32_e32 v3, s4, v25
	v_lshlrev_b64 v[23:24], 1, v[3:4]
	s_mul_i32 s4, s5, s10
	v_add_co_u32_e32 v23, vcc, s16, v23
	v_addc_co_u32_e32 v24, vcc, v30, v24, vcc
	v_add_u32_e32 v30, s4, v28
	s_add_i32 s4, s26, s9
	s_ashr_i32 s5, s4, 31
	s_lshl_b64 s[4:5], s[4:5], 2
	s_add_u32 s6, s2, s4
	s_addc_u32 s7, s3, s5
	s_load_dwordx2 s[4:5], s[6:7], 0x0
	global_load_dword v32, v[5:6], off
	global_load_dword v34, v[11:12], off
	v_ashrrev_i32_e32 v31, 31, v30
	v_lshlrev_b64 v[30:31], 2, v[30:31]
	v_mov_b32_e32 v3, s19
	v_add_co_u32_e32 v30, vcc, s18, v30
	s_waitcnt lgkmcnt(0)
	s_mul_i32 s6, s4, s22
	v_addc_co_u32_e32 v31, vcc, v3, v31, vcc
	v_add_u32_e32 v3, s6, v25
	v_lshlrev_b64 v[5:6], 1, v[3:4]
	v_mov_b32_e32 v33, s17
	v_add_co_u32_e32 v5, vcc, s16, v5
	v_addc_co_u32_e32 v6, vcc, v33, v6, vcc
	global_load_ushort v33, v[1:2], off
	global_load_ushort v35, v[7:8], off
	s_nop 0
	global_load_dword v13, v[13:14], off
	s_nop 0
	global_load_dword v14, v[17:18], off
	s_mul_i32 s4, s4, s10
	v_add_u32_e32 v11, s4, v28
	global_load_dword v18, v[21:22], off
	v_ashrrev_i32_e32 v12, 31, v11
	v_lshlrev_b64 v[11:12], 2, v[11:12]
	s_mul_i32 s4, s5, s22
	v_add_u32_e32 v3, s4, v25
	s_mul_i32 s4, s5, s10
	v_mov_b32_e32 v2, s19
	v_add_co_u32_e32 v1, vcc, s18, v11
	v_add_u32_e32 v11, s4, v28
	v_addc_co_u32_e32 v2, vcc, v2, v12, vcc
	global_load_ushort v21, v[9:10], off
	s_nop 0
	global_load_ushort v15, v[15:16], off
	v_ashrrev_i32_e32 v12, 31, v11
	v_lshlrev_b64 v[9:10], 2, v[11:12]
	global_load_dword v11, v[30:31], off
	v_lshlrev_b64 v[7:8], 1, v[3:4]
	v_mov_b32_e32 v3, s19
	v_add_co_u32_e32 v9, vcc, s18, v9
	global_load_ushort v12, v[19:20], off
	v_addc_co_u32_e32 v10, vcc, v3, v10, vcc
	global_load_dword v16, v[1:2], off
	global_load_dword v19, v[9:10], off
	v_mov_b32_e32 v17, s17
	v_add_co_u32_e32 v2, vcc, s16, v7
	v_ashrrev_i32_e32 v1, 31, v0
	v_addc_co_u32_e32 v3, vcc, v17, v8, vcc
	v_lshlrev_b64 v[7:8], 2, v[0:1]
	v_mov_b32_e32 v10, s13
	v_add_co_u32_e32 v1, vcc, s12, v7
	global_load_ushort v9, v[23:24], off
	global_load_ushort v17, v[5:6], off
	;; [unrolled: 1-line block ×3, first 2 shown]
	v_addc_co_u32_e32 v2, vcc, v10, v8, vcc
	global_load_dword v1, v[1:2], off
	s_mov_b32 s4, s25
	s_mov_b32 s5, s20
	s_waitcnt vmcnt(16)
	v_bfe_u32 v2, v32, v29, 4
	s_waitcnt vmcnt(15)
	v_bfe_u32 v3, v34, v29, 4
	v_sub_u32_e32 v2, s21, v2
	v_sub_u32_e32 v3, s21, v3
	v_cvt_f32_i32_e32 v2, v2
	v_cvt_f32_i32_e32 v3, v3
	v_cvt_f16_f32_e32 v2, v2
	v_cvt_f16_f32_e32 v3, v3
	s_waitcnt vmcnt(14)
	v_mul_f16_e32 v2, v33, v2
	s_waitcnt vmcnt(13)
	v_mul_f16_e32 v3, v35, v3
	v_pack_b32_f16 v5, v2, v3
	s_waitcnt vmcnt(12)
	v_bfe_u32 v2, v13, v29, 4
	s_waitcnt vmcnt(11)
	v_bfe_u32 v3, v14, v29, 4
	v_sub_u32_e32 v2, s21, v2
	v_sub_u32_e32 v3, s21, v3
	v_cvt_f32_i32_e32 v2, v2
	v_cvt_f32_i32_e32 v3, v3
	s_waitcnt vmcnt(10)
	v_bfe_u32 v7, v18, v29, 4
	v_sub_u32_e32 v7, s21, v7
	v_cvt_f16_f32_e32 v2, v2
	v_cvt_f16_f32_e32 v3, v3
	v_cvt_f32_i32_e32 v7, v7
	v_lshlrev_b32_e32 v6, 16, v35
	v_or_b32_sdwa v6, v6, v33 dst_sel:DWORD dst_unused:UNUSED_PAD src0_sel:DWORD src1_sel:WORD_0
	s_waitcnt vmcnt(9)
	v_mul_f16_e32 v2, v21, v2
	s_waitcnt vmcnt(8)
	v_mul_f16_e32 v3, v15, v3
	v_pack_b32_f16 v3, v2, v3
	v_cvt_f16_f32_e32 v2, v7
	s_waitcnt vmcnt(7)
	v_bfe_u32 v7, v11, v29, 4
	v_sub_u32_e32 v7, s21, v7
	v_cvt_f32_i32_e32 v7, v7
	v_lshlrev_b32_e32 v8, 16, v15
	v_or_b32_sdwa v8, v8, v21 dst_sel:DWORD dst_unused:UNUSED_PAD src0_sel:DWORD src1_sel:WORD_0
	s_waitcnt vmcnt(6)
	v_mul_f16_e32 v2, v12, v2
	v_cvt_f16_f32_e32 v7, v7
	s_waitcnt vmcnt(5)
	v_bfe_u32 v10, v16, v29, 4
	s_waitcnt vmcnt(4)
	v_bfe_u32 v11, v19, v29, 4
	v_sub_u32_e32 v10, s21, v10
	v_sub_u32_e32 v11, s21, v11
	v_cvt_f32_i32_e32 v10, v10
	v_cvt_f32_i32_e32 v11, v11
	s_waitcnt vmcnt(3)
	v_mul_f16_e32 v7, v9, v7
	v_lshlrev_b32_e32 v9, 16, v9
	v_pack_b32_f16 v2, v2, v7
	v_cvt_f16_f32_e32 v7, v10
	v_cvt_f16_f32_e32 v10, v11
	v_or_b32_sdwa v9, v9, v12 dst_sel:DWORD dst_unused:UNUSED_PAD src0_sel:DWORD src1_sel:WORD_0
	s_waitcnt vmcnt(0)
	v_and_b32_e32 v11, 0xff, v1
	v_bfe_u32 v12, v1, 8, 8
	v_bfe_u32 v13, v1, 16, 8
	v_lshl_or_b32 v11, v11, 5, v27
	v_lshl_or_b32 v12, v12, 5, v27
	;; [unrolled: 1-line block ×3, first 2 shown]
	v_lshrrev_b32_e32 v1, 24, v1
	v_lshl_or_b32 v1, v1, 5, v27
	ds_read_b32 v11, v11
	ds_read_b32 v12, v12
	;; [unrolled: 1-line block ×4, first 2 shown]
	v_mul_f16_e32 v7, v17, v7
	v_mul_f16_e32 v10, v20, v10
	v_pack_b32_f16 v7, v7, v10
	v_lshlrev_b32_e32 v10, 16, v20
	v_or_b32_sdwa v1, v10, v17 dst_sel:DWORD dst_unused:UNUSED_PAD src0_sel:DWORD src1_sel:WORD_0
	s_waitcnt lgkmcnt(3)
	v_pk_fma_f16 v1, v11, v1, v7
	s_waitcnt lgkmcnt(2)
	v_pk_fma_f16 v2, v12, v9, v2
	;; [unrolled: 2-line block ×4, first 2 shown]
	v_mov_b32_e32 v6, v26
.LBB4_11:                               ;   Parent Loop BB4_9 Depth=1
                                        ; =>  This Inner Loop Header: Depth=2
	v_mov_b32_e32 v7, s4
	ds_read_b128 v[7:10], v7
	ds_read_u16 v11, v6
	s_add_i32 s5, s5, -1
	s_addk_i32 s4, 0x100
	s_cmp_eq_u32 s5, 0
	s_waitcnt lgkmcnt(1)
	v_pk_fma_f16 v7, v1, v7, 0
	v_pk_fma_f16 v7, v2, v8, v7
	;; [unrolled: 1-line block ×4, first 2 shown]
	v_cvt_u16_f16_e32 v8, v7
	v_cvt_u16_f16_sdwa v7, v7 dst_sel:DWORD dst_unused:UNUSED_PAD src0_sel:WORD_1
	v_add_f16_e32 v7, v8, v7
	s_waitcnt lgkmcnt(0)
	v_add_f16_e32 v7, v11, v7
	ds_write_b16 v6, v7
	v_add_u32_e32 v6, 2, v6
	s_cbranch_scc0 .LBB4_11
	s_branch .LBB4_8
.LBB4_12:
	s_cmp_lt_i32 s20, 1
	s_cbranch_scc1 .LBB4_21
; %bb.13:
	s_mov_b32 s6, 0
	v_mov_b32_e32 v1, 0
	v_mov_b32_e32 v6, s15
	s_mov_b32 s7, 0xffff0000
	s_branch .LBB4_15
.LBB4_14:                               ;   in Loop: Header=BB4_15 Depth=1
	s_or_b64 exec, exec, s[4:5]
	s_add_i32 s6, s6, 1
	s_cmp_eq_u32 s6, s20
	s_cbranch_scc1 .LBB4_21
.LBB4_15:                               ; =>This Loop Header: Depth=1
                                        ;     Child Loop BB4_17 Depth 2
	s_add_i32 s0, s6, s11
	s_mul_i32 s0, s0, s22
	v_add_u32_e32 v0, s0, v25
	v_lshlrev_b64 v[2:3], 1, v[0:1]
	s_mov_b64 s[4:5], 0
	v_add_co_u32_e32 v2, vcc, s14, v2
	v_addc_co_u32_e32 v3, vcc, v6, v3, vcc
	v_and_b32_e32 v0, 2, v2
	v_sub_co_u32_e32 v4, vcc, 0, v0
	v_subb_co_u32_e64 v5, s[0:1], 0, 0, vcc
	v_add_co_u32_e32 v2, vcc, v2, v4
	v_addc_co_u32_e32 v3, vcc, v3, v5, vcc
	global_load_dword v5, v[2:3], off
	v_lshl_add_u32 v4, s6, 1, v26
	ds_read_u16 v7, v4
	v_cmp_eq_u64_e32 vcc, 0, v[0:1]
	v_cmp_ne_u32_e64 s[0:1], 0, v0
	s_branch .LBB4_17
.LBB4_16:                               ;   in Loop: Header=BB4_17 Depth=2
	s_or_b64 exec, exec, s[2:3]
	global_atomic_cmpswap v0, v[2:3], v[4:5], off glc
	s_waitcnt vmcnt(0)
	v_cmp_eq_u32_e64 s[2:3], v5, v0
	s_or_b64 s[4:5], s[2:3], s[4:5]
	v_mov_b32_e32 v5, v0
	s_andn2_b64 exec, exec, s[4:5]
	s_cbranch_execz .LBB4_14
.LBB4_17:                               ;   Parent Loop BB4_15 Depth=1
                                        ; =>  This Inner Loop Header: Depth=2
	s_waitcnt vmcnt(0)
	v_cndmask_b32_sdwa v0, v5, v5, vcc dst_sel:DWORD dst_unused:UNUSED_PAD src0_sel:WORD_1 src1_sel:DWORD
	s_waitcnt lgkmcnt(0)
	v_add_f16_e32 v0, v7, v0
	s_and_saveexec_b64 s[2:3], s[0:1]
	s_xor_b64 s[2:3], exec, s[2:3]
; %bb.18:                               ;   in Loop: Header=BB4_17 Depth=2
	v_and_b32_e32 v4, 0xffff, v5
	v_lshl_or_b32 v4, v0, 16, v4
                                        ; implicit-def: $vgpr0
; %bb.19:                               ;   in Loop: Header=BB4_17 Depth=2
	s_andn2_saveexec_b64 s[2:3], s[2:3]
	s_cbranch_execz .LBB4_16
; %bb.20:                               ;   in Loop: Header=BB4_17 Depth=2
	v_and_or_b32 v4, v5, s7, v0
	s_branch .LBB4_16
.LBB4_21:
	s_endpgm
	.section	.rodata,"a",@progbits
	.p2align	6, 0x0
	.amdhsa_kernel _ZN4vllm4gptq32gemm_half_q_half_alt_4bit_kernelEPK7__half2PKjP6__halfPKS6_S5_PKiiiib
		.amdhsa_group_segment_fixed_size 26624
		.amdhsa_private_segment_fixed_size 0
		.amdhsa_kernarg_size 64
		.amdhsa_user_sgpr_count 8
		.amdhsa_user_sgpr_private_segment_buffer 1
		.amdhsa_user_sgpr_dispatch_ptr 1
		.amdhsa_user_sgpr_queue_ptr 0
		.amdhsa_user_sgpr_kernarg_segment_ptr 1
		.amdhsa_user_sgpr_dispatch_id 0
		.amdhsa_user_sgpr_flat_scratch_init 0
		.amdhsa_user_sgpr_private_segment_size 0
		.amdhsa_uses_dynamic_stack 0
		.amdhsa_system_sgpr_private_segment_wavefront_offset 0
		.amdhsa_system_sgpr_workgroup_id_x 1
		.amdhsa_system_sgpr_workgroup_id_y 1
		.amdhsa_system_sgpr_workgroup_id_z 1
		.amdhsa_system_sgpr_workgroup_info 0
		.amdhsa_system_vgpr_workitem_id 2
		.amdhsa_next_free_vgpr 36
		.amdhsa_next_free_sgpr 61
		.amdhsa_reserve_vcc 1
		.amdhsa_reserve_flat_scratch 0
		.amdhsa_float_round_mode_32 0
		.amdhsa_float_round_mode_16_64 0
		.amdhsa_float_denorm_mode_32 3
		.amdhsa_float_denorm_mode_16_64 3
		.amdhsa_dx10_clamp 1
		.amdhsa_ieee_mode 1
		.amdhsa_fp16_overflow 0
		.amdhsa_exception_fp_ieee_invalid_op 0
		.amdhsa_exception_fp_denorm_src 0
		.amdhsa_exception_fp_ieee_div_zero 0
		.amdhsa_exception_fp_ieee_overflow 0
		.amdhsa_exception_fp_ieee_underflow 0
		.amdhsa_exception_fp_ieee_inexact 0
		.amdhsa_exception_int_div_zero 0
	.end_amdhsa_kernel
	.text
.Lfunc_end4:
	.size	_ZN4vllm4gptq32gemm_half_q_half_alt_4bit_kernelEPK7__half2PKjP6__halfPKS6_S5_PKiiiib, .Lfunc_end4-_ZN4vllm4gptq32gemm_half_q_half_alt_4bit_kernelEPK7__half2PKjP6__halfPKS6_S5_PKiiiib
                                        ; -- End function
	.set _ZN4vllm4gptq32gemm_half_q_half_alt_4bit_kernelEPK7__half2PKjP6__halfPKS6_S5_PKiiiib.num_vgpr, 36
	.set _ZN4vllm4gptq32gemm_half_q_half_alt_4bit_kernelEPK7__half2PKjP6__halfPKS6_S5_PKiiiib.num_agpr, 0
	.set _ZN4vllm4gptq32gemm_half_q_half_alt_4bit_kernelEPK7__half2PKjP6__halfPKS6_S5_PKiiiib.numbered_sgpr, 32
	.set _ZN4vllm4gptq32gemm_half_q_half_alt_4bit_kernelEPK7__half2PKjP6__halfPKS6_S5_PKiiiib.num_named_barrier, 0
	.set _ZN4vllm4gptq32gemm_half_q_half_alt_4bit_kernelEPK7__half2PKjP6__halfPKS6_S5_PKiiiib.private_seg_size, 0
	.set _ZN4vllm4gptq32gemm_half_q_half_alt_4bit_kernelEPK7__half2PKjP6__halfPKS6_S5_PKiiiib.uses_vcc, 1
	.set _ZN4vllm4gptq32gemm_half_q_half_alt_4bit_kernelEPK7__half2PKjP6__halfPKS6_S5_PKiiiib.uses_flat_scratch, 0
	.set _ZN4vllm4gptq32gemm_half_q_half_alt_4bit_kernelEPK7__half2PKjP6__halfPKS6_S5_PKiiiib.has_dyn_sized_stack, 0
	.set _ZN4vllm4gptq32gemm_half_q_half_alt_4bit_kernelEPK7__half2PKjP6__halfPKS6_S5_PKiiiib.has_recursion, 0
	.set _ZN4vllm4gptq32gemm_half_q_half_alt_4bit_kernelEPK7__half2PKjP6__halfPKS6_S5_PKiiiib.has_indirect_call, 0
	.section	.AMDGPU.csdata,"",@progbits
; Kernel info:
; codeLenInByte = 2184
; TotalNumSgprs: 36
; NumVgprs: 36
; ScratchSize: 0
; MemoryBound: 0
; FloatMode: 240
; IeeeMode: 1
; LDSByteSize: 26624 bytes/workgroup (compile time only)
; SGPRBlocks: 8
; VGPRBlocks: 8
; NumSGPRsForWavesPerEU: 65
; NumVGPRsForWavesPerEU: 36
; Occupancy: 7
; WaveLimiterHint : 1
; COMPUTE_PGM_RSRC2:SCRATCH_EN: 0
; COMPUTE_PGM_RSRC2:USER_SGPR: 8
; COMPUTE_PGM_RSRC2:TRAP_HANDLER: 0
; COMPUTE_PGM_RSRC2:TGID_X_EN: 1
; COMPUTE_PGM_RSRC2:TGID_Y_EN: 1
; COMPUTE_PGM_RSRC2:TGID_Z_EN: 1
; COMPUTE_PGM_RSRC2:TIDIG_COMP_CNT: 2
	.text
	.protected	_ZN4vllm4gptq32gemm_half_q_half_alt_8bit_kernelEPK7__half2PKjP6__halfPKS6_S5_PKiiiib ; -- Begin function _ZN4vllm4gptq32gemm_half_q_half_alt_8bit_kernelEPK7__half2PKjP6__halfPKS6_S5_PKiiiib
	.globl	_ZN4vllm4gptq32gemm_half_q_half_alt_8bit_kernelEPK7__half2PKjP6__halfPKS6_S5_PKiiiib
	.p2align	8
	.type	_ZN4vllm4gptq32gemm_half_q_half_alt_8bit_kernelEPK7__half2PKjP6__halfPKS6_S5_PKiiiib,@function
_ZN4vllm4gptq32gemm_half_q_half_alt_8bit_kernelEPK7__half2PKjP6__halfPKS6_S5_PKiiiib: ; @_ZN4vllm4gptq32gemm_half_q_half_alt_8bit_kernelEPK7__half2PKjP6__halfPKS6_S5_PKiiiib
; %bb.0:
	s_load_dwordx4 s[12:15], s[6:7], 0x30
	s_lshl_b32 s0, s10, 5
	s_and_b32 s20, s0, 0x3fffffe0
	s_lshl_b32 s16, s9, 3
	s_waitcnt lgkmcnt(0)
	s_sub_i32 s0, s13, s20
	v_cvt_f64_u32_e32 v[3:4], s0
	s_mov_b32 s0, 0
	s_mov_b32 s1, 0x40400000
	v_min_f64 v[3:4], v[3:4], s[0:1]
	s_sub_i32 s0, s12, s16
	v_cvt_f64_u32_e32 v[5:6], s0
	s_mov_b32 s0, 0
	s_mov_b32 s1, 0x40200000
	v_min_f64 v[5:6], v[5:6], s[0:1]
	v_add_f64 v[3:4], v[3:4], v[3:4]
	v_cvt_i32_f64_e32 v5, v[5:6]
	v_cvt_i32_f64_e32 v3, v[3:4]
	v_readfirstlane_b32 s12, v5
	v_readfirstlane_b32 s17, v3
	v_cmp_lt_u32_e32 vcc, v0, v3
	s_and_saveexec_b64 s[0:1], vcc
	s_cbranch_execz .LBB5_4
; %bb.1:
	s_cmp_lt_i32 s12, 1
	s_cbranch_scc1 .LBB5_4
; %bb.2:
	s_load_dwordx2 s[2:3], s[6:7], 0x0
	s_lshl_b32 s10, s10, 6
	s_mul_i32 s9, s9, s13
	s_and_b32 s10, s10, 0x7fffffc0
	s_lshl_b32 s9, s9, 4
	s_add_i32 s10, s10, s9
	v_lshlrev_b32_e32 v5, 2, v0
	s_lshl_b32 s11, s13, 1
	v_add_u32_e32 v3, s10, v0
	v_mov_b32_e32 v4, 0
	s_waitcnt lgkmcnt(0)
	v_mov_b32_e32 v6, s3
	s_mov_b32 s3, s12
.LBB5_3:                                ; =>This Inner Loop Header: Depth=1
	v_lshlrev_b64 v[7:8], 2, v[3:4]
	s_add_i32 s3, s3, -1
	v_add_co_u32_e32 v7, vcc, s2, v7
	v_addc_co_u32_e32 v8, vcc, v6, v8, vcc
	global_load_dword v7, v[7:8], off
	v_add_u32_e32 v3, s11, v3
	s_cmp_lg_u32 s3, 0
	s_waitcnt vmcnt(0)
	ds_write_b32 v5, v7
	v_add_u32_e32 v5, 0x100, v5
	s_cbranch_scc1 .LBB5_3
.LBB5_4:
	s_or_b64 exec, exec, s[0:1]
	s_load_dwordx2 s[0:1], s[4:5], 0x4
	v_mov_b32_e32 v4, 0
	v_lshl_add_u32 v7, s8, 7, v0
	s_mov_b32 s13, 0
	v_mov_b32_e32 v3, v4
	s_waitcnt lgkmcnt(0)
	s_lshr_b32 s0, s0, 16
	s_mul_i32 s0, s0, s1
	v_mul_lo_u32 v5, s0, v0
	v_mov_b32_e32 v6, v4
	s_cmp_lt_i32 s17, 1
	v_mad_u32_u24 v1, v1, s1, v5
	v_add_lshl_u32 v1, v1, v2, 4
	v_add_u32_e32 v8, 0x800, v1
	v_mov_b32_e32 v5, v4
	s_barrier
	ds_write_b128 v1, v[3:6] offset:2048
	s_cbranch_scc1 .LBB5_10
; %bb.5:
	s_ashr_i32 s0, s14, 31
	s_lshr_b32 s0, s0, 30
	s_load_dwordx2 s[2:3], s[6:7], 0x8
	s_load_dwordx4 s[8:11], s[6:7], 0x18
	s_load_dwordx2 s[4:5], s[6:7], 0x28
	s_add_i32 s0, s14, s0
	s_and_b32 s15, s15, 1
	s_lshl_b32 s18, s20, 2
	s_ashr_i32 s19, s0, 2
	s_add_i32 s15, s15, -1
	v_lshlrev_b32_e32 v0, 3, v0
	s_mul_i32 s0, s14, s20
	s_cmp_gt_i32 s12, 0
	v_and_b32_e32 v5, 24, v0
	v_add_u32_e32 v0, s0, v7
	s_cselect_b64 s[0:1], -1, 0
	v_cndmask_b32_e64 v1, 0, 1, s[0:1]
	v_lshrrev_b32_e32 v2, 2, v7
	s_ashr_i32 s20, s18, 31
	s_mov_b32 s21, 0
	v_cmp_ne_u32_e64 s[0:1], 1, v1
	s_branch .LBB5_7
.LBB5_6:                                ;   in Loop: Header=BB5_7 Depth=1
	s_add_i32 s21, s21, 2
	s_add_i32 s13, s13, 8
	s_cmp_ge_i32 s21, s17
	v_add_u32_e32 v0, s14, v0
	s_cbranch_scc1 .LBB5_10
.LBB5_7:                                ; =>This Loop Header: Depth=1
                                        ;     Child Loop BB5_9 Depth 2
	s_and_b64 vcc, exec, s[0:1]
	s_cbranch_vccnz .LBB5_6
; %bb.8:                                ;   in Loop: Header=BB5_7 Depth=1
	s_lshl_b32 s26, s21, 1
	s_ashr_i32 s23, s26, 31
	s_add_u32 s22, s26, s18
	s_addc_u32 s23, s23, s20
	s_lshl_b64 s[22:23], s[22:23], 2
	s_waitcnt lgkmcnt(0)
	s_add_u32 s22, s4, s22
	s_addc_u32 s23, s5, s23
	s_load_dwordx2 s[24:25], s[22:23], 0x8
	s_add_i32 s22, s26, s18
	s_ashr_i32 s23, s22, 31
	s_lshl_b64 s[22:23], s[22:23], 2
	s_add_u32 s22, s4, s22
	s_addc_u32 s23, s5, s23
	s_load_dwordx2 s[26:27], s[22:23], 0x0
	s_waitcnt lgkmcnt(0)
	s_mul_i32 s22, s24, s14
	v_add_u32_e32 v3, s22, v7
	v_lshlrev_b64 v[9:10], 1, v[3:4]
	v_mov_b32_e32 v1, s9
	v_add_co_u32_e32 v9, vcc, s8, v9
	v_addc_co_u32_e32 v10, vcc, v1, v10, vcc
	s_mul_i32 s22, s24, s19
	global_load_ushort v6, v[9:10], off
	v_add_u32_e32 v9, s22, v2
	v_ashrrev_i32_e32 v10, 31, v9
	v_lshlrev_b64 v[9:10], 2, v[9:10]
	v_mov_b32_e32 v1, s11
	v_add_co_u32_e32 v9, vcc, s10, v9
	s_mul_i32 s22, s25, s14
	v_addc_co_u32_e32 v10, vcc, v1, v10, vcc
	v_add_u32_e32 v3, s22, v7
	global_load_dword v13, v[9:10], off
	v_lshlrev_b64 v[9:10], 1, v[3:4]
	v_mov_b32_e32 v1, s9
	v_add_co_u32_e32 v9, vcc, s8, v9
	v_addc_co_u32_e32 v10, vcc, v1, v10, vcc
	s_mul_i32 s22, s25, s19
	global_load_ushort v14, v[9:10], off
	v_add_u32_e32 v9, s22, v2
	v_ashrrev_i32_e32 v10, 31, v9
	v_lshlrev_b64 v[9:10], 2, v[9:10]
	v_mov_b32_e32 v1, s11
	v_add_co_u32_e32 v9, vcc, s10, v9
	s_mul_i32 s22, s26, s14
	v_addc_co_u32_e32 v10, vcc, v1, v10, vcc
	v_add_u32_e32 v3, s22, v7
	global_load_dword v15, v[9:10], off
	v_lshlrev_b64 v[9:10], 1, v[3:4]
	v_mov_b32_e32 v1, s9
	v_add_co_u32_e32 v9, vcc, s8, v9
	v_addc_co_u32_e32 v10, vcc, v1, v10, vcc
	s_mul_i32 s22, s26, s19
	global_load_ushort v16, v[9:10], off
	v_add_u32_e32 v9, s22, v2
	s_mul_i32 s22, s27, s14
	v_ashrrev_i32_e32 v10, 31, v9
	v_add_u32_e32 v3, s22, v7
	s_mul_i32 s22, s27, s19
	v_lshlrev_b64 v[9:10], 2, v[9:10]
	v_add_u32_e32 v11, s22, v2
	v_ashrrev_i32_e32 v12, 31, v11
	v_mov_b32_e32 v1, s11
	v_add_co_u32_e32 v9, vcc, s10, v9
	v_lshlrev_b64 v[11:12], 2, v[11:12]
	v_addc_co_u32_e32 v10, vcc, v1, v10, vcc
	global_load_dword v17, v[9:10], off
	v_lshlrev_b64 v[9:10], 1, v[3:4]
	v_mov_b32_e32 v3, s11
	v_add_co_u32_e32 v11, vcc, s10, v11
	v_addc_co_u32_e32 v12, vcc, v3, v12, vcc
	global_load_dword v3, v[11:12], off
	v_mov_b32_e32 v1, s9
	v_add_co_u32_e32 v9, vcc, s8, v9
	v_addc_co_u32_e32 v10, vcc, v1, v10, vcc
	v_ashrrev_i32_e32 v1, 31, v0
	global_load_ushort v11, v[9:10], off
	v_lshlrev_b64 v[9:10], 2, v[0:1]
	v_mov_b32_e32 v1, s3
	v_add_co_u32_e32 v9, vcc, s2, v9
	v_addc_co_u32_e32 v10, vcc, v1, v10, vcc
	global_load_dword v1, v[9:10], off
	s_mov_b32 s22, s13
	s_mov_b32 s23, s12
	s_waitcnt vmcnt(7)
	v_bfe_u32 v9, v13, v5, 8
	v_sub_u32_e32 v9, s15, v9
	v_cvt_f32_i32_e32 v9, v9
	v_cvt_f16_f32_e32 v9, v9
	v_mul_f16_e32 v9, v6, v9
	s_waitcnt vmcnt(5)
	v_bfe_u32 v10, v15, v5, 8
	v_sub_u32_e32 v10, s15, v10
	v_cvt_f32_i32_e32 v10, v10
	v_cvt_f16_f32_e32 v10, v10
	v_mul_f16_e32 v10, v14, v10
	v_pack_b32_f16 v9, v9, v10
	s_waitcnt vmcnt(3)
	v_bfe_u32 v12, v17, v5, 8
	v_sub_u32_e32 v12, s15, v12
	v_cvt_f32_i32_e32 v12, v12
	v_cvt_f16_f32_e32 v10, v12
	s_waitcnt vmcnt(2)
	v_bfe_u32 v3, v3, v5, 8
	v_sub_u32_e32 v3, s15, v3
	v_cvt_f32_i32_e32 v3, v3
	v_lshlrev_b32_e32 v12, 16, v14
	v_mul_f16_e32 v10, v16, v10
	v_or_b32_sdwa v6, v12, v6 dst_sel:DWORD dst_unused:UNUSED_PAD src0_sel:DWORD src1_sel:WORD_0
	v_cvt_f16_f32_e32 v3, v3
	s_waitcnt vmcnt(1)
	v_mul_f16_e32 v3, v11, v3
	v_pack_b32_f16 v3, v10, v3
	v_lshlrev_b32_e32 v10, 16, v11
	s_waitcnt vmcnt(0)
	v_cvt_f32_ubyte0_e32 v11, v1
	v_cvt_f32_ubyte1_e32 v12, v1
	v_cvt_f16_f32_e32 v11, v11
	v_cvt_f16_f32_e32 v12, v12
	v_cvt_f32_ubyte2_e32 v13, v1
	v_cvt_f32_ubyte3_e32 v1, v1
	v_cvt_f16_f32_e32 v13, v13
	v_cvt_f16_f32_e32 v14, v1
	v_or_b32_sdwa v1, v10, v16 dst_sel:DWORD dst_unused:UNUSED_PAD src0_sel:DWORD src1_sel:WORD_0
	v_pack_b32_f16 v10, v11, v12
	v_pk_fma_f16 v1, v10, v1, v3
	v_pack_b32_f16 v3, v13, v14
	v_pk_fma_f16 v3, v3, v6, v9
	v_mov_b32_e32 v6, v8
.LBB5_9:                                ;   Parent Loop BB5_7 Depth=1
                                        ; =>  This Inner Loop Header: Depth=2
	v_mov_b32_e32 v9, s22
	ds_read_b64 v[9:10], v9
	ds_read_u16 v11, v6
	s_add_i32 s23, s23, -1
	s_addk_i32 s22, 0x100
	s_cmp_eq_u32 s23, 0
	s_waitcnt lgkmcnt(1)
	v_pk_fma_f16 v9, v1, v9, 0
	v_pk_fma_f16 v9, v3, v10, v9
	v_cvt_u16_f16_e32 v10, v9
	v_cvt_u16_f16_sdwa v9, v9 dst_sel:DWORD dst_unused:UNUSED_PAD src0_sel:WORD_1
	v_add_f16_e32 v9, v10, v9
	s_waitcnt lgkmcnt(0)
	v_add_f16_e32 v9, v11, v9
	ds_write_b16 v6, v9
	v_add_u32_e32 v6, 2, v6
	s_cbranch_scc0 .LBB5_9
	s_branch .LBB5_6
.LBB5_10:
	s_cmp_lt_i32 s12, 1
	s_cbranch_scc1 .LBB5_19
; %bb.11:
	s_waitcnt lgkmcnt(0)
	s_load_dwordx2 s[4:5], s[6:7], 0x10
	s_mov_b32 s8, 0
	v_mov_b32_e32 v1, 0
	s_waitcnt lgkmcnt(0)
	v_mov_b32_e32 v6, s5
	s_mov_b32 s5, 0xffff0000
	s_branch .LBB5_13
.LBB5_12:                               ;   in Loop: Header=BB5_13 Depth=1
	s_or_b64 exec, exec, s[6:7]
	s_add_i32 s8, s8, 1
	s_cmp_eq_u32 s8, s12
	s_cbranch_scc1 .LBB5_19
.LBB5_13:                               ; =>This Loop Header: Depth=1
                                        ;     Child Loop BB5_15 Depth 2
	s_add_i32 s0, s8, s16
	s_mul_i32 s0, s0, s14
	v_add_u32_e32 v0, s0, v7
	v_lshlrev_b64 v[2:3], 1, v[0:1]
	s_mov_b64 s[6:7], 0
	v_add_co_u32_e32 v2, vcc, s4, v2
	v_addc_co_u32_e32 v3, vcc, v6, v3, vcc
	v_and_b32_e32 v0, 2, v2
	v_sub_co_u32_e32 v4, vcc, 0, v0
	v_subb_co_u32_e64 v5, s[0:1], 0, 0, vcc
	v_add_co_u32_e32 v2, vcc, v2, v4
	v_addc_co_u32_e32 v3, vcc, v3, v5, vcc
	global_load_dword v5, v[2:3], off
	v_lshl_add_u32 v4, s8, 1, v8
	ds_read_u16 v9, v4
	v_cmp_eq_u64_e32 vcc, 0, v[0:1]
	v_cmp_ne_u32_e64 s[0:1], 0, v0
	s_branch .LBB5_15
.LBB5_14:                               ;   in Loop: Header=BB5_15 Depth=2
	s_or_b64 exec, exec, s[2:3]
	global_atomic_cmpswap v0, v[2:3], v[4:5], off glc
	s_waitcnt vmcnt(0)
	v_cmp_eq_u32_e64 s[2:3], v5, v0
	s_or_b64 s[6:7], s[2:3], s[6:7]
	v_mov_b32_e32 v5, v0
	s_andn2_b64 exec, exec, s[6:7]
	s_cbranch_execz .LBB5_12
.LBB5_15:                               ;   Parent Loop BB5_13 Depth=1
                                        ; =>  This Inner Loop Header: Depth=2
	s_waitcnt vmcnt(0)
	v_cndmask_b32_sdwa v0, v5, v5, vcc dst_sel:DWORD dst_unused:UNUSED_PAD src0_sel:WORD_1 src1_sel:DWORD
	s_waitcnt lgkmcnt(0)
	v_add_f16_e32 v0, v9, v0
	s_and_saveexec_b64 s[2:3], s[0:1]
	s_xor_b64 s[2:3], exec, s[2:3]
; %bb.16:                               ;   in Loop: Header=BB5_15 Depth=2
	v_and_b32_e32 v4, 0xffff, v5
	v_lshl_or_b32 v4, v0, 16, v4
                                        ; implicit-def: $vgpr0
; %bb.17:                               ;   in Loop: Header=BB5_15 Depth=2
	s_andn2_saveexec_b64 s[2:3], s[2:3]
	s_cbranch_execz .LBB5_14
; %bb.18:                               ;   in Loop: Header=BB5_15 Depth=2
	v_and_or_b32 v4, v5, s5, v0
	s_branch .LBB5_14
.LBB5_19:
	s_endpgm
	.section	.rodata,"a",@progbits
	.p2align	6, 0x0
	.amdhsa_kernel _ZN4vllm4gptq32gemm_half_q_half_alt_8bit_kernelEPK7__half2PKjP6__halfPKS6_S5_PKiiiib
		.amdhsa_group_segment_fixed_size 18432
		.amdhsa_private_segment_fixed_size 0
		.amdhsa_kernarg_size 64
		.amdhsa_user_sgpr_count 8
		.amdhsa_user_sgpr_private_segment_buffer 1
		.amdhsa_user_sgpr_dispatch_ptr 1
		.amdhsa_user_sgpr_queue_ptr 0
		.amdhsa_user_sgpr_kernarg_segment_ptr 1
		.amdhsa_user_sgpr_dispatch_id 0
		.amdhsa_user_sgpr_flat_scratch_init 0
		.amdhsa_user_sgpr_private_segment_size 0
		.amdhsa_uses_dynamic_stack 0
		.amdhsa_system_sgpr_private_segment_wavefront_offset 0
		.amdhsa_system_sgpr_workgroup_id_x 1
		.amdhsa_system_sgpr_workgroup_id_y 1
		.amdhsa_system_sgpr_workgroup_id_z 1
		.amdhsa_system_sgpr_workgroup_info 0
		.amdhsa_system_vgpr_workitem_id 2
		.amdhsa_next_free_vgpr 29
		.amdhsa_next_free_sgpr 61
		.amdhsa_reserve_vcc 1
		.amdhsa_reserve_flat_scratch 0
		.amdhsa_float_round_mode_32 0
		.amdhsa_float_round_mode_16_64 0
		.amdhsa_float_denorm_mode_32 3
		.amdhsa_float_denorm_mode_16_64 3
		.amdhsa_dx10_clamp 1
		.amdhsa_ieee_mode 1
		.amdhsa_fp16_overflow 0
		.amdhsa_exception_fp_ieee_invalid_op 0
		.amdhsa_exception_fp_denorm_src 0
		.amdhsa_exception_fp_ieee_div_zero 0
		.amdhsa_exception_fp_ieee_overflow 0
		.amdhsa_exception_fp_ieee_underflow 0
		.amdhsa_exception_fp_ieee_inexact 0
		.amdhsa_exception_int_div_zero 0
	.end_amdhsa_kernel
	.text
.Lfunc_end5:
	.size	_ZN4vllm4gptq32gemm_half_q_half_alt_8bit_kernelEPK7__half2PKjP6__halfPKS6_S5_PKiiiib, .Lfunc_end5-_ZN4vllm4gptq32gemm_half_q_half_alt_8bit_kernelEPK7__half2PKjP6__halfPKS6_S5_PKiiiib
                                        ; -- End function
	.set _ZN4vllm4gptq32gemm_half_q_half_alt_8bit_kernelEPK7__half2PKjP6__halfPKS6_S5_PKiiiib.num_vgpr, 18
	.set _ZN4vllm4gptq32gemm_half_q_half_alt_8bit_kernelEPK7__half2PKjP6__halfPKS6_S5_PKiiiib.num_agpr, 0
	.set _ZN4vllm4gptq32gemm_half_q_half_alt_8bit_kernelEPK7__half2PKjP6__halfPKS6_S5_PKiiiib.numbered_sgpr, 28
	.set _ZN4vllm4gptq32gemm_half_q_half_alt_8bit_kernelEPK7__half2PKjP6__halfPKS6_S5_PKiiiib.num_named_barrier, 0
	.set _ZN4vllm4gptq32gemm_half_q_half_alt_8bit_kernelEPK7__half2PKjP6__halfPKS6_S5_PKiiiib.private_seg_size, 0
	.set _ZN4vllm4gptq32gemm_half_q_half_alt_8bit_kernelEPK7__half2PKjP6__halfPKS6_S5_PKiiiib.uses_vcc, 1
	.set _ZN4vllm4gptq32gemm_half_q_half_alt_8bit_kernelEPK7__half2PKjP6__halfPKS6_S5_PKiiiib.uses_flat_scratch, 0
	.set _ZN4vllm4gptq32gemm_half_q_half_alt_8bit_kernelEPK7__half2PKjP6__halfPKS6_S5_PKiiiib.has_dyn_sized_stack, 0
	.set _ZN4vllm4gptq32gemm_half_q_half_alt_8bit_kernelEPK7__half2PKjP6__halfPKS6_S5_PKiiiib.has_recursion, 0
	.set _ZN4vllm4gptq32gemm_half_q_half_alt_8bit_kernelEPK7__half2PKjP6__halfPKS6_S5_PKiiiib.has_indirect_call, 0
	.section	.AMDGPU.csdata,"",@progbits
; Kernel info:
; codeLenInByte = 1496
; TotalNumSgprs: 32
; NumVgprs: 18
; ScratchSize: 0
; MemoryBound: 0
; FloatMode: 240
; IeeeMode: 1
; LDSByteSize: 18432 bytes/workgroup (compile time only)
; SGPRBlocks: 8
; VGPRBlocks: 7
; NumSGPRsForWavesPerEU: 65
; NumVGPRsForWavesPerEU: 29
; Occupancy: 8
; WaveLimiterHint : 1
; COMPUTE_PGM_RSRC2:SCRATCH_EN: 0
; COMPUTE_PGM_RSRC2:USER_SGPR: 8
; COMPUTE_PGM_RSRC2:TRAP_HANDLER: 0
; COMPUTE_PGM_RSRC2:TGID_X_EN: 1
; COMPUTE_PGM_RSRC2:TGID_Y_EN: 1
; COMPUTE_PGM_RSRC2:TGID_Z_EN: 1
; COMPUTE_PGM_RSRC2:TIDIG_COMP_CNT: 2
	.text
	.protected	_ZN4vllm4gptq28reconstruct_gptq_3bit_kernelEPKjPK6__halfS2_PKiiiibPS3_ ; -- Begin function _ZN4vllm4gptq28reconstruct_gptq_3bit_kernelEPKjPK6__halfS2_PKiiiibPS3_
	.globl	_ZN4vllm4gptq28reconstruct_gptq_3bit_kernelEPKjPK6__halfS2_PKiiiibPS3_
	.p2align	8
	.type	_ZN4vllm4gptq28reconstruct_gptq_3bit_kernelEPKjPK6__halfS2_PKiiiibPS3_,@function
_ZN4vllm4gptq28reconstruct_gptq_3bit_kernelEPKjPK6__halfS2_PKiiiibPS3_: ; @_ZN4vllm4gptq28reconstruct_gptq_3bit_kernelEPKjPK6__halfS2_PKiiiibPS3_
; %bb.0:
	s_load_dword s16, s[4:5], 0x24
	v_lshl_add_u32 v5, s6, 7, v0
	s_waitcnt lgkmcnt(0)
	v_cmp_gt_u32_e32 vcc, s16, v5
	s_and_saveexec_b64 s[0:1], vcc
	s_cbranch_execz .LBB6_175
; %bb.1:
	s_mul_i32 s26, s16, 3
	s_load_dwordx8 s[8:15], s[4:5], 0x0
	s_load_dwordx2 s[18:19], s[4:5], 0x30
	s_mul_i32 s0, s26, s7
	v_add_u32_e32 v1, s0, v5
	v_mov_b32_e32 v2, 0
	v_lshlrev_b64 v[3:4], 2, v[1:2]
	s_waitcnt lgkmcnt(0)
	v_mov_b32_e32 v7, s9
	v_add_co_u32_e32 v6, vcc, s8, v3
	v_add_u32_e32 v1, s16, v1
	v_addc_co_u32_e32 v7, vcc, v7, v4, vcc
	v_lshlrev_b64 v[3:4], 2, v[1:2]
	s_lshl_b32 s20, s7, 5
	s_mov_b32 s21, 0
	v_add_u32_e32 v1, s16, v1
	v_mov_b32_e32 v9, s9
	v_add_co_u32_e32 v8, vcc, s8, v3
	v_lshlrev_b64 v[1:2], 2, v[1:2]
	s_lshl_b64 s[0:1], s[20:21], 2
	v_addc_co_u32_e32 v9, vcc, v9, v4, vcc
	s_add_u32 s6, s14, s0
	v_mov_b32_e32 v3, s9
	v_add_co_u32_e32 v1, vcc, s8, v1
	s_addc_u32 s7, s15, s1
	v_addc_co_u32_e32 v2, vcc, v3, v2, vcc
	global_load_dword v12, v[6:7], off
	global_load_dword v11, v[8:9], off
	;; [unrolled: 1-line block ×3, first 2 shown]
	s_load_dword s0, s[6:7], 0x0
	v_lshl_add_u32 v1, v5, 1, v5
	v_ashrrev_i32_e32 v2, 31, v1
	v_lshrrev_b32_e32 v2, 27, v2
	v_add_u32_e32 v1, v1, v2
	s_waitcnt lgkmcnt(0)
	s_mul_i32 s1, s0, s16
	v_ashrrev_i32_e32 v8, 5, v1
	v_add_u32_e32 v1, s1, v5
	v_ashrrev_i32_e32 v2, 31, v1
	s_mul_i32 s0, s26, s0
	v_lshlrev_b64 v[1:2], 1, v[1:2]
	s_ashr_i32 s1, s0, 31
	s_lshr_b32 s1, s1, 27
	v_mov_b32_e32 v3, s11
	v_add_co_u32_e32 v1, vcc, s10, v1
	s_add_i32 s0, s0, s1
	v_addc_co_u32_e32 v2, vcc, v3, v2, vcc
	s_ashr_i32 s0, s0, 5
	global_load_ushort v3, v[1:2], off
	v_add_u32_e32 v1, s0, v8
	v_ashrrev_i32_e32 v2, 31, v1
	v_lshlrev_b64 v[1:2], 2, v[1:2]
	v_mov_b32_e32 v6, s13
	v_add_co_u32_e32 v1, vcc, s12, v1
	v_addc_co_u32_e32 v2, vcc, v6, v2, vcc
	global_load_dword v13, v[1:2], off
	v_and_b32_e32 v10, 31, v0
	v_cmp_lt_u32_e64 s[0:1], 9, v10
	v_cmp_lt_u32_e32 vcc, 20, v10
	v_cmp_lt_i32_e64 s[2:3], 20, v10
	s_mov_b64 s[8:9], 0
	s_mov_b64 s[14:15], 0
                                        ; implicit-def: $vgpr0
	s_and_saveexec_b64 s[22:23], s[2:3]
	s_xor_b64 s[22:23], exec, s[22:23]
	s_cbranch_execz .LBB6_5
; %bb.2:
	v_cmp_eq_u32_e64 s[2:3], 21, v10
	s_mov_b64 s[14:15], -1
                                        ; implicit-def: $vgpr0
	s_and_saveexec_b64 s[24:25], s[2:3]
	s_cbranch_execz .LBB6_4
; %bb.3:
	global_load_dword v0, v[1:2], off offset:4
	s_xor_b64 s[14:15], exec, -1
	s_waitcnt vmcnt(0)
	v_alignbit_b32 v0, v0, v13, 31
	v_and_b32_e32 v0, 7, v0
.LBB6_4:
	s_or_b64 exec, exec, s[24:25]
	s_and_b64 s[14:15], s[14:15], exec
.LBB6_5:
	s_or_saveexec_b64 s[22:23], s[22:23]
	v_not_b32_e32 v6, 63
	v_not_b32_e32 v14, 31
	v_cmp_ne_u32_e64 s[2:3], 10, v10
	s_xor_b64 exec, exec, s[22:23]
; %bb.6:
	s_andn2_b64 s[14:15], s[14:15], exec
	s_and_b64 s[24:25], s[2:3], exec
	s_mov_b64 s[8:9], exec
	s_or_b64 s[14:15], s[14:15], s[24:25]
; %bb.7:
	s_or_b64 exec, exec, s[22:23]
	v_mul_u32_u24_e32 v7, 3, v10
	v_mad_u32_u24 v9, v10, 3, v6
	v_mad_u32_u24 v6, v10, 3, v14
	s_and_saveexec_b64 s[22:23], s[14:15]
	s_xor_b64 s[14:15], exec, s[22:23]
	s_cbranch_execz .LBB6_17
; %bb.8:
                                        ; implicit-def: $vgpr0
	s_and_saveexec_b64 s[22:23], s[0:1]
	s_xor_b64 s[22:23], exec, s[22:23]
	s_cbranch_execz .LBB6_14
; %bb.9:
                                        ; implicit-def: $vgpr0
	s_and_saveexec_b64 s[24:25], vcc
	s_xor_b64 s[24:25], exec, s[24:25]
	s_cbranch_execz .LBB6_11
; %bb.10:
	s_waitcnt vmcnt(0)
	v_bfe_u32 v0, v13, v9, 3
.LBB6_11:
	s_andn2_saveexec_b64 s[24:25], s[24:25]
	s_cbranch_execz .LBB6_13
; %bb.12:
	s_waitcnt vmcnt(0)
	v_bfe_u32 v0, v13, v6, 3
.LBB6_13:
	s_or_b64 exec, exec, s[24:25]
.LBB6_14:
	s_andn2_saveexec_b64 s[22:23], s[22:23]
	s_cbranch_execz .LBB6_16
; %bb.15:
	s_waitcnt vmcnt(0)
	v_bfe_u32 v0, v13, v7, 3
.LBB6_16:
	s_or_b64 exec, exec, s[22:23]
	s_andn2_b64 s[8:9], s[8:9], exec
.LBB6_17:
	s_or_b64 exec, exec, s[14:15]
	s_and_saveexec_b64 s[14:15], s[8:9]
	s_cbranch_execz .LBB6_19
; %bb.18:
	global_load_dword v0, v[1:2], off offset:4
	s_waitcnt vmcnt(0)
	v_alignbit_b32 v0, v0, v13, 30
	v_and_b32_e32 v0, 7, v0
.LBB6_19:
	s_or_b64 exec, exec, s[14:15]
	s_load_dword s4, s[4:5], 0x2c
	s_waitcnt vmcnt(4)
	v_and_b32_e32 v1, 7, v12
	s_mul_i32 s5, s16, s20
	v_mov_b32_e32 v2, s19
	v_mov_b32_e32 v14, s13
	s_waitcnt lgkmcnt(0)
	s_and_b32 s24, s4, 1
	s_add_i32 s24, s24, -1
	v_sub_u32_e32 v0, s24, v0
	v_add_u32_e32 v0, v0, v1
	s_waitcnt vmcnt(0)
	v_cvt_f32_i32_e32 v13, v0
	v_add_u32_e32 v0, s5, v5
	v_ashrrev_i32_e32 v1, 31, v0
	v_lshlrev_b64 v[0:1], 1, v[0:1]
	v_cvt_f16_f32_e32 v13, v13
	v_add_co_u32_e64 v0, s[4:5], s18, v0
	v_addc_co_u32_e64 v1, s[4:5], v2, v1, s[4:5]
	s_load_dword s4, s[6:7], 0x4
	v_mul_f16_e32 v2, v3, v13
	global_store_short v[0:1], v2, off
	v_mov_b32_e32 v13, s11
	s_mov_b64 s[14:15], 0
	s_waitcnt lgkmcnt(0)
	s_mul_i32 s5, s4, s16
	v_add_u32_e32 v2, s5, v5
	v_ashrrev_i32_e32 v3, 31, v2
	v_lshlrev_b64 v[2:3], 1, v[2:3]
	s_mul_i32 s8, s26, s4
	v_add_co_u32_e64 v2, s[4:5], s10, v2
	v_addc_co_u32_e64 v3, s[4:5], v13, v3, s[4:5]
	s_ashr_i32 s4, s8, 31
	s_lshr_b32 s4, s4, 27
	s_add_i32 s8, s8, s4
	s_ashr_i32 s4, s8, 5
	global_load_ushort v13, v[2:3], off
	v_add_u32_e32 v2, s4, v8
	v_ashrrev_i32_e32 v3, 31, v2
	v_lshlrev_b64 v[2:3], 2, v[2:3]
	s_mov_b64 s[8:9], 0
	v_add_co_u32_e64 v2, s[4:5], s12, v2
	v_addc_co_u32_e64 v3, s[4:5], v14, v3, s[4:5]
	global_load_dword v14, v[2:3], off
	v_cmp_lt_i32_e64 s[4:5], 20, v10
                                        ; implicit-def: $vgpr15
	s_and_saveexec_b64 s[18:19], s[4:5]
	s_xor_b64 s[18:19], exec, s[18:19]
	s_cbranch_execnz .LBB6_176
; %bb.20:
	s_andn2_saveexec_b64 s[4:5], s[18:19]
	s_cbranch_execnz .LBB6_179
.LBB6_21:
	s_or_b64 exec, exec, s[4:5]
	s_and_saveexec_b64 s[4:5], s[14:15]
	s_xor_b64 s[4:5], exec, s[4:5]
	s_cbranch_execnz .LBB6_180
.LBB6_22:
	s_or_b64 exec, exec, s[4:5]
	s_and_saveexec_b64 s[4:5], s[8:9]
	s_cbranch_execz .LBB6_24
.LBB6_23:
	global_load_dword v2, v[2:3], off offset:4
	s_waitcnt vmcnt(0)
	v_alignbit_b32 v2, v2, v14, 30
	v_and_b32_e32 v15, 7, v2
.LBB6_24:
	s_or_b64 exec, exec, s[4:5]
	v_bfe_u32 v2, v12, 3, 3
	v_sub_u32_e32 v3, s24, v15
	v_add_u32_e32 v2, v3, v2
	s_ashr_i32 s17, s16, 31
	v_cvt_f32_i32_e32 v2, v2
	s_lshl_b64 s[8:9], s[16:17], 1
	v_mov_b32_e32 v3, s9
	v_add_co_u32_e64 v0, s[4:5], s8, v0
	v_addc_co_u32_e64 v1, s[4:5], v1, v3, s[4:5]
	s_load_dword s4, s[6:7], 0x8
	v_cvt_f16_f32_e32 v2, v2
	s_waitcnt vmcnt(0)
	v_mov_b32_e32 v14, s13
	s_mov_b64 s[18:19], 0
                                        ; implicit-def: $vgpr15
	v_mul_f16_e32 v2, v13, v2
	s_waitcnt lgkmcnt(0)
	s_mul_i32 s5, s4, s16
	global_store_short v[0:1], v2, off
	v_add_u32_e32 v2, s5, v5
	v_ashrrev_i32_e32 v3, 31, v2
	v_lshlrev_b64 v[2:3], 1, v[2:3]
	v_mov_b32_e32 v13, s11
	s_mul_i32 s14, s26, s4
	v_add_co_u32_e64 v2, s[4:5], s10, v2
	v_addc_co_u32_e64 v3, s[4:5], v13, v3, s[4:5]
	s_ashr_i32 s4, s14, 31
	s_lshr_b32 s4, s4, 27
	s_add_i32 s14, s14, s4
	s_ashr_i32 s4, s14, 5
	global_load_ushort v13, v[2:3], off
	v_add_u32_e32 v2, s4, v8
	v_ashrrev_i32_e32 v3, 31, v2
	v_lshlrev_b64 v[2:3], 2, v[2:3]
	s_mov_b64 s[14:15], 0
	v_add_co_u32_e64 v2, s[4:5], s12, v2
	v_addc_co_u32_e64 v3, s[4:5], v14, v3, s[4:5]
	global_load_dword v14, v[2:3], off
	v_cmp_lt_i32_e64 s[4:5], 20, v10
	s_and_saveexec_b64 s[20:21], s[4:5]
	s_xor_b64 s[20:21], exec, s[20:21]
	s_cbranch_execnz .LBB6_189
; %bb.25:
	s_andn2_saveexec_b64 s[4:5], s[20:21]
	s_cbranch_execnz .LBB6_192
.LBB6_26:
	s_or_b64 exec, exec, s[4:5]
	s_and_saveexec_b64 s[4:5], s[18:19]
	s_xor_b64 s[4:5], exec, s[4:5]
	s_cbranch_execnz .LBB6_193
.LBB6_27:
	s_or_b64 exec, exec, s[4:5]
	s_and_saveexec_b64 s[4:5], s[14:15]
	s_cbranch_execz .LBB6_29
.LBB6_28:
	global_load_dword v2, v[2:3], off offset:4
	s_waitcnt vmcnt(0)
	v_alignbit_b32 v2, v2, v14, 30
	v_and_b32_e32 v15, 7, v2
.LBB6_29:
	s_or_b64 exec, exec, s[4:5]
	v_bfe_u32 v2, v12, 6, 3
	v_sub_u32_e32 v3, s24, v15
	v_add_u32_e32 v2, v3, v2
	v_cvt_f32_i32_e32 v2, v2
	v_mov_b32_e32 v3, s9
	v_add_co_u32_e64 v0, s[4:5], s8, v0
	v_addc_co_u32_e64 v1, s[4:5], v1, v3, s[4:5]
	s_load_dword s4, s[6:7], 0xc
	v_cvt_f16_f32_e32 v2, v2
	s_waitcnt vmcnt(0)
	v_mov_b32_e32 v14, s13
	s_mov_b64 s[18:19], 0
                                        ; implicit-def: $vgpr15
	v_mul_f16_e32 v2, v13, v2
	s_waitcnt lgkmcnt(0)
	s_mul_i32 s5, s4, s16
	global_store_short v[0:1], v2, off
	v_add_u32_e32 v2, s5, v5
	v_ashrrev_i32_e32 v3, 31, v2
	v_lshlrev_b64 v[2:3], 1, v[2:3]
	v_mov_b32_e32 v13, s11
	s_mul_i32 s14, s26, s4
	v_add_co_u32_e64 v2, s[4:5], s10, v2
	v_addc_co_u32_e64 v3, s[4:5], v13, v3, s[4:5]
	s_ashr_i32 s4, s14, 31
	s_lshr_b32 s4, s4, 27
	s_add_i32 s14, s14, s4
	s_ashr_i32 s4, s14, 5
	global_load_ushort v13, v[2:3], off
	v_add_u32_e32 v2, s4, v8
	v_ashrrev_i32_e32 v3, 31, v2
	v_lshlrev_b64 v[2:3], 2, v[2:3]
	s_mov_b64 s[14:15], 0
	v_add_co_u32_e64 v2, s[4:5], s12, v2
	v_addc_co_u32_e64 v3, s[4:5], v14, v3, s[4:5]
	global_load_dword v14, v[2:3], off
	v_cmp_lt_i32_e64 s[4:5], 20, v10
	s_and_saveexec_b64 s[20:21], s[4:5]
	s_xor_b64 s[20:21], exec, s[20:21]
	s_cbranch_execnz .LBB6_202
; %bb.30:
	s_andn2_saveexec_b64 s[4:5], s[20:21]
	s_cbranch_execnz .LBB6_205
.LBB6_31:
	s_or_b64 exec, exec, s[4:5]
	s_and_saveexec_b64 s[4:5], s[18:19]
	s_xor_b64 s[4:5], exec, s[4:5]
	s_cbranch_execnz .LBB6_206
.LBB6_32:
	s_or_b64 exec, exec, s[4:5]
	s_and_saveexec_b64 s[4:5], s[14:15]
	s_cbranch_execz .LBB6_34
.LBB6_33:
	global_load_dword v2, v[2:3], off offset:4
	s_waitcnt vmcnt(0)
	v_alignbit_b32 v2, v2, v14, 30
	v_and_b32_e32 v15, 7, v2
.LBB6_34:
	s_or_b64 exec, exec, s[4:5]
	v_bfe_u32 v2, v12, 9, 3
	v_sub_u32_e32 v3, s24, v15
	v_add_u32_e32 v2, v3, v2
	v_cvt_f32_i32_e32 v2, v2
	v_mov_b32_e32 v3, s9
	v_add_co_u32_e64 v0, s[4:5], s8, v0
	v_addc_co_u32_e64 v1, s[4:5], v1, v3, s[4:5]
	s_load_dword s4, s[6:7], 0x10
	v_cvt_f16_f32_e32 v2, v2
	s_waitcnt vmcnt(0)
	v_mov_b32_e32 v14, s13
	s_mov_b64 s[18:19], 0
                                        ; implicit-def: $vgpr15
	v_mul_f16_e32 v2, v13, v2
	s_waitcnt lgkmcnt(0)
	s_mul_i32 s5, s4, s16
	global_store_short v[0:1], v2, off
	v_add_u32_e32 v2, s5, v5
	v_ashrrev_i32_e32 v3, 31, v2
	v_lshlrev_b64 v[2:3], 1, v[2:3]
	v_mov_b32_e32 v13, s11
	s_mul_i32 s14, s26, s4
	v_add_co_u32_e64 v2, s[4:5], s10, v2
	v_addc_co_u32_e64 v3, s[4:5], v13, v3, s[4:5]
	s_ashr_i32 s4, s14, 31
	s_lshr_b32 s4, s4, 27
	s_add_i32 s14, s14, s4
	s_ashr_i32 s4, s14, 5
	global_load_ushort v13, v[2:3], off
	v_add_u32_e32 v2, s4, v8
	v_ashrrev_i32_e32 v3, 31, v2
	v_lshlrev_b64 v[2:3], 2, v[2:3]
	s_mov_b64 s[14:15], 0
	v_add_co_u32_e64 v2, s[4:5], s12, v2
	v_addc_co_u32_e64 v3, s[4:5], v14, v3, s[4:5]
	global_load_dword v14, v[2:3], off
	v_cmp_lt_i32_e64 s[4:5], 20, v10
	s_and_saveexec_b64 s[20:21], s[4:5]
	s_xor_b64 s[20:21], exec, s[20:21]
	s_cbranch_execnz .LBB6_215
; %bb.35:
	s_andn2_saveexec_b64 s[4:5], s[20:21]
	s_cbranch_execnz .LBB6_218
.LBB6_36:
	s_or_b64 exec, exec, s[4:5]
	s_and_saveexec_b64 s[4:5], s[18:19]
	s_xor_b64 s[4:5], exec, s[4:5]
	s_cbranch_execnz .LBB6_219
.LBB6_37:
	s_or_b64 exec, exec, s[4:5]
	s_and_saveexec_b64 s[4:5], s[14:15]
	s_cbranch_execz .LBB6_39
.LBB6_38:
	global_load_dword v2, v[2:3], off offset:4
	s_waitcnt vmcnt(0)
	v_alignbit_b32 v2, v2, v14, 30
	v_and_b32_e32 v15, 7, v2
.LBB6_39:
	s_or_b64 exec, exec, s[4:5]
	v_bfe_u32 v2, v12, 12, 3
	v_sub_u32_e32 v3, s24, v15
	v_add_u32_e32 v2, v3, v2
	v_cvt_f32_i32_e32 v2, v2
	v_mov_b32_e32 v3, s9
	v_add_co_u32_e64 v0, s[4:5], s8, v0
	v_addc_co_u32_e64 v1, s[4:5], v1, v3, s[4:5]
	s_load_dword s4, s[6:7], 0x14
	v_cvt_f16_f32_e32 v2, v2
	s_waitcnt vmcnt(0)
	v_mov_b32_e32 v14, s13
	s_mov_b64 s[18:19], 0
                                        ; implicit-def: $vgpr15
	v_mul_f16_e32 v2, v13, v2
	s_waitcnt lgkmcnt(0)
	s_mul_i32 s5, s4, s16
	global_store_short v[0:1], v2, off
	v_add_u32_e32 v2, s5, v5
	v_ashrrev_i32_e32 v3, 31, v2
	v_lshlrev_b64 v[2:3], 1, v[2:3]
	v_mov_b32_e32 v13, s11
	s_mul_i32 s14, s26, s4
	v_add_co_u32_e64 v2, s[4:5], s10, v2
	v_addc_co_u32_e64 v3, s[4:5], v13, v3, s[4:5]
	s_ashr_i32 s4, s14, 31
	s_lshr_b32 s4, s4, 27
	s_add_i32 s14, s14, s4
	s_ashr_i32 s4, s14, 5
	global_load_ushort v13, v[2:3], off
	v_add_u32_e32 v2, s4, v8
	v_ashrrev_i32_e32 v3, 31, v2
	v_lshlrev_b64 v[2:3], 2, v[2:3]
	s_mov_b64 s[14:15], 0
	v_add_co_u32_e64 v2, s[4:5], s12, v2
	v_addc_co_u32_e64 v3, s[4:5], v14, v3, s[4:5]
	global_load_dword v14, v[2:3], off
	v_cmp_lt_i32_e64 s[4:5], 20, v10
	s_and_saveexec_b64 s[20:21], s[4:5]
	s_xor_b64 s[20:21], exec, s[20:21]
	s_cbranch_execnz .LBB6_228
; %bb.40:
	s_andn2_saveexec_b64 s[4:5], s[20:21]
	s_cbranch_execnz .LBB6_231
.LBB6_41:
	s_or_b64 exec, exec, s[4:5]
	s_and_saveexec_b64 s[4:5], s[18:19]
	s_xor_b64 s[4:5], exec, s[4:5]
	s_cbranch_execnz .LBB6_232
.LBB6_42:
	s_or_b64 exec, exec, s[4:5]
	s_and_saveexec_b64 s[4:5], s[14:15]
	s_cbranch_execz .LBB6_44
.LBB6_43:
	global_load_dword v2, v[2:3], off offset:4
	s_waitcnt vmcnt(0)
	v_alignbit_b32 v2, v2, v14, 30
	v_and_b32_e32 v15, 7, v2
.LBB6_44:
	s_or_b64 exec, exec, s[4:5]
	v_bfe_u32 v2, v12, 15, 3
	v_sub_u32_e32 v3, s24, v15
	v_add_u32_e32 v2, v3, v2
	v_cvt_f32_i32_e32 v2, v2
	v_mov_b32_e32 v3, s9
	v_add_co_u32_e64 v0, s[4:5], s8, v0
	v_addc_co_u32_e64 v1, s[4:5], v1, v3, s[4:5]
	s_load_dword s4, s[6:7], 0x18
	v_cvt_f16_f32_e32 v2, v2
	s_waitcnt vmcnt(0)
	v_mov_b32_e32 v14, s13
	s_mov_b64 s[18:19], 0
                                        ; implicit-def: $vgpr15
	v_mul_f16_e32 v2, v13, v2
	s_waitcnt lgkmcnt(0)
	s_mul_i32 s5, s4, s16
	global_store_short v[0:1], v2, off
	v_add_u32_e32 v2, s5, v5
	v_ashrrev_i32_e32 v3, 31, v2
	v_lshlrev_b64 v[2:3], 1, v[2:3]
	v_mov_b32_e32 v13, s11
	s_mul_i32 s14, s26, s4
	v_add_co_u32_e64 v2, s[4:5], s10, v2
	v_addc_co_u32_e64 v3, s[4:5], v13, v3, s[4:5]
	s_ashr_i32 s4, s14, 31
	s_lshr_b32 s4, s4, 27
	s_add_i32 s14, s14, s4
	s_ashr_i32 s4, s14, 5
	global_load_ushort v13, v[2:3], off
	v_add_u32_e32 v2, s4, v8
	v_ashrrev_i32_e32 v3, 31, v2
	v_lshlrev_b64 v[2:3], 2, v[2:3]
	s_mov_b64 s[14:15], 0
	v_add_co_u32_e64 v2, s[4:5], s12, v2
	v_addc_co_u32_e64 v3, s[4:5], v14, v3, s[4:5]
	global_load_dword v14, v[2:3], off
	v_cmp_lt_i32_e64 s[4:5], 20, v10
	s_and_saveexec_b64 s[20:21], s[4:5]
	s_xor_b64 s[20:21], exec, s[20:21]
	s_cbranch_execnz .LBB6_241
; %bb.45:
	s_andn2_saveexec_b64 s[4:5], s[20:21]
	s_cbranch_execnz .LBB6_244
.LBB6_46:
	s_or_b64 exec, exec, s[4:5]
	s_and_saveexec_b64 s[4:5], s[18:19]
	s_xor_b64 s[4:5], exec, s[4:5]
	s_cbranch_execnz .LBB6_245
.LBB6_47:
	s_or_b64 exec, exec, s[4:5]
	s_and_saveexec_b64 s[4:5], s[14:15]
	s_cbranch_execz .LBB6_49
.LBB6_48:
	global_load_dword v2, v[2:3], off offset:4
	s_waitcnt vmcnt(0)
	v_alignbit_b32 v2, v2, v14, 30
	v_and_b32_e32 v15, 7, v2
.LBB6_49:
	s_or_b64 exec, exec, s[4:5]
	v_bfe_u32 v2, v12, 18, 3
	v_sub_u32_e32 v3, s24, v15
	v_add_u32_e32 v2, v3, v2
	v_cvt_f32_i32_e32 v2, v2
	v_mov_b32_e32 v3, s9
	v_add_co_u32_e64 v0, s[4:5], s8, v0
	v_addc_co_u32_e64 v1, s[4:5], v1, v3, s[4:5]
	s_load_dword s4, s[6:7], 0x1c
	v_cvt_f16_f32_e32 v2, v2
	s_waitcnt vmcnt(0)
	v_mov_b32_e32 v14, s13
	s_mov_b64 s[18:19], 0
                                        ; implicit-def: $vgpr15
	v_mul_f16_e32 v2, v13, v2
	s_waitcnt lgkmcnt(0)
	s_mul_i32 s5, s4, s16
	global_store_short v[0:1], v2, off
	v_add_u32_e32 v2, s5, v5
	v_ashrrev_i32_e32 v3, 31, v2
	v_lshlrev_b64 v[2:3], 1, v[2:3]
	v_mov_b32_e32 v13, s11
	s_mul_i32 s14, s26, s4
	v_add_co_u32_e64 v2, s[4:5], s10, v2
	v_addc_co_u32_e64 v3, s[4:5], v13, v3, s[4:5]
	s_ashr_i32 s4, s14, 31
	s_lshr_b32 s4, s4, 27
	s_add_i32 s14, s14, s4
	s_ashr_i32 s4, s14, 5
	global_load_ushort v13, v[2:3], off
	v_add_u32_e32 v2, s4, v8
	v_ashrrev_i32_e32 v3, 31, v2
	v_lshlrev_b64 v[2:3], 2, v[2:3]
	s_mov_b64 s[14:15], 0
	v_add_co_u32_e64 v2, s[4:5], s12, v2
	v_addc_co_u32_e64 v3, s[4:5], v14, v3, s[4:5]
	global_load_dword v14, v[2:3], off
	v_cmp_lt_i32_e64 s[4:5], 20, v10
	s_and_saveexec_b64 s[20:21], s[4:5]
	s_xor_b64 s[20:21], exec, s[20:21]
	s_cbranch_execnz .LBB6_254
; %bb.50:
	s_andn2_saveexec_b64 s[4:5], s[20:21]
	s_cbranch_execnz .LBB6_257
.LBB6_51:
	s_or_b64 exec, exec, s[4:5]
	s_and_saveexec_b64 s[4:5], s[18:19]
	s_xor_b64 s[4:5], exec, s[4:5]
	s_cbranch_execnz .LBB6_258
.LBB6_52:
	s_or_b64 exec, exec, s[4:5]
	s_and_saveexec_b64 s[4:5], s[14:15]
	s_cbranch_execz .LBB6_54
.LBB6_53:
	global_load_dword v2, v[2:3], off offset:4
	s_waitcnt vmcnt(0)
	v_alignbit_b32 v2, v2, v14, 30
	v_and_b32_e32 v15, 7, v2
.LBB6_54:
	s_or_b64 exec, exec, s[4:5]
	v_bfe_u32 v2, v12, 21, 3
	v_sub_u32_e32 v3, s24, v15
	v_add_u32_e32 v2, v3, v2
	v_cvt_f32_i32_e32 v2, v2
	v_mov_b32_e32 v3, s9
	v_add_co_u32_e64 v0, s[4:5], s8, v0
	v_addc_co_u32_e64 v1, s[4:5], v1, v3, s[4:5]
	s_load_dword s4, s[6:7], 0x20
	v_cvt_f16_f32_e32 v2, v2
	s_waitcnt vmcnt(0)
	v_mov_b32_e32 v14, s13
	s_mov_b64 s[18:19], 0
                                        ; implicit-def: $vgpr15
	v_mul_f16_e32 v2, v13, v2
	s_waitcnt lgkmcnt(0)
	s_mul_i32 s5, s4, s16
	global_store_short v[0:1], v2, off
	v_add_u32_e32 v2, s5, v5
	v_ashrrev_i32_e32 v3, 31, v2
	v_lshlrev_b64 v[2:3], 1, v[2:3]
	v_mov_b32_e32 v13, s11
	s_mul_i32 s14, s26, s4
	v_add_co_u32_e64 v2, s[4:5], s10, v2
	v_addc_co_u32_e64 v3, s[4:5], v13, v3, s[4:5]
	s_ashr_i32 s4, s14, 31
	s_lshr_b32 s4, s4, 27
	s_add_i32 s14, s14, s4
	s_ashr_i32 s4, s14, 5
	global_load_ushort v13, v[2:3], off
	v_add_u32_e32 v2, s4, v8
	v_ashrrev_i32_e32 v3, 31, v2
	v_lshlrev_b64 v[2:3], 2, v[2:3]
	s_mov_b64 s[14:15], 0
	v_add_co_u32_e64 v2, s[4:5], s12, v2
	v_addc_co_u32_e64 v3, s[4:5], v14, v3, s[4:5]
	global_load_dword v14, v[2:3], off
	v_cmp_lt_i32_e64 s[4:5], 20, v10
	s_and_saveexec_b64 s[20:21], s[4:5]
	s_xor_b64 s[20:21], exec, s[20:21]
	s_cbranch_execnz .LBB6_267
; %bb.55:
	s_andn2_saveexec_b64 s[4:5], s[20:21]
	s_cbranch_execnz .LBB6_270
.LBB6_56:
	s_or_b64 exec, exec, s[4:5]
	s_and_saveexec_b64 s[4:5], s[18:19]
	s_xor_b64 s[4:5], exec, s[4:5]
	s_cbranch_execnz .LBB6_271
.LBB6_57:
	s_or_b64 exec, exec, s[4:5]
	s_and_saveexec_b64 s[4:5], s[14:15]
	s_cbranch_execz .LBB6_59
.LBB6_58:
	global_load_dword v2, v[2:3], off offset:4
	s_waitcnt vmcnt(0)
	v_alignbit_b32 v2, v2, v14, 30
	v_and_b32_e32 v15, 7, v2
.LBB6_59:
	s_or_b64 exec, exec, s[4:5]
	v_bfe_u32 v2, v12, 24, 3
	v_sub_u32_e32 v3, s24, v15
	v_add_u32_e32 v2, v3, v2
	v_cvt_f32_i32_e32 v2, v2
	v_mov_b32_e32 v3, s9
	v_add_co_u32_e64 v0, s[4:5], s8, v0
	v_addc_co_u32_e64 v1, s[4:5], v1, v3, s[4:5]
	s_load_dword s4, s[6:7], 0x24
	v_cvt_f16_f32_e32 v2, v2
	s_waitcnt vmcnt(0)
	v_mov_b32_e32 v14, s13
	s_mov_b64 s[18:19], 0
                                        ; implicit-def: $vgpr15
	v_mul_f16_e32 v2, v13, v2
	s_waitcnt lgkmcnt(0)
	s_mul_i32 s5, s4, s16
	global_store_short v[0:1], v2, off
	v_add_u32_e32 v2, s5, v5
	v_ashrrev_i32_e32 v3, 31, v2
	v_lshlrev_b64 v[2:3], 1, v[2:3]
	v_mov_b32_e32 v13, s11
	s_mul_i32 s14, s26, s4
	v_add_co_u32_e64 v2, s[4:5], s10, v2
	v_addc_co_u32_e64 v3, s[4:5], v13, v3, s[4:5]
	s_ashr_i32 s4, s14, 31
	s_lshr_b32 s4, s4, 27
	s_add_i32 s14, s14, s4
	s_ashr_i32 s4, s14, 5
	global_load_ushort v13, v[2:3], off
	v_add_u32_e32 v2, s4, v8
	v_ashrrev_i32_e32 v3, 31, v2
	v_lshlrev_b64 v[2:3], 2, v[2:3]
	s_mov_b64 s[14:15], 0
	v_add_co_u32_e64 v2, s[4:5], s12, v2
	v_addc_co_u32_e64 v3, s[4:5], v14, v3, s[4:5]
	global_load_dword v14, v[2:3], off
	v_cmp_lt_i32_e64 s[4:5], 20, v10
	s_and_saveexec_b64 s[20:21], s[4:5]
	s_xor_b64 s[20:21], exec, s[20:21]
	s_cbranch_execnz .LBB6_280
; %bb.60:
	s_andn2_saveexec_b64 s[4:5], s[20:21]
	s_cbranch_execnz .LBB6_283
.LBB6_61:
	s_or_b64 exec, exec, s[4:5]
	s_and_saveexec_b64 s[4:5], s[18:19]
	s_xor_b64 s[4:5], exec, s[4:5]
	s_cbranch_execnz .LBB6_284
.LBB6_62:
	s_or_b64 exec, exec, s[4:5]
	s_and_saveexec_b64 s[4:5], s[14:15]
	s_cbranch_execz .LBB6_64
.LBB6_63:
	global_load_dword v2, v[2:3], off offset:4
	s_waitcnt vmcnt(0)
	v_alignbit_b32 v2, v2, v14, 30
	v_and_b32_e32 v15, 7, v2
.LBB6_64:
	s_or_b64 exec, exec, s[4:5]
	v_bfe_u32 v2, v12, 27, 3
	v_sub_u32_e32 v3, s24, v15
	v_add_u32_e32 v2, v3, v2
	v_cvt_f32_i32_e32 v2, v2
	v_mov_b32_e32 v3, s9
	v_add_co_u32_e64 v0, s[4:5], s8, v0
	v_addc_co_u32_e64 v1, s[4:5], v1, v3, s[4:5]
	s_load_dword s4, s[6:7], 0x28
	v_cvt_f16_f32_e32 v2, v2
	s_waitcnt vmcnt(0)
	v_mov_b32_e32 v14, s13
	s_mov_b64 s[18:19], 0
                                        ; implicit-def: $vgpr15
	v_mul_f16_e32 v2, v13, v2
	s_waitcnt lgkmcnt(0)
	s_mul_i32 s5, s4, s16
	global_store_short v[0:1], v2, off
	v_add_u32_e32 v2, s5, v5
	v_ashrrev_i32_e32 v3, 31, v2
	v_lshlrev_b64 v[2:3], 1, v[2:3]
	v_mov_b32_e32 v13, s11
	s_mul_i32 s14, s26, s4
	v_add_co_u32_e64 v2, s[4:5], s10, v2
	v_addc_co_u32_e64 v3, s[4:5], v13, v3, s[4:5]
	s_ashr_i32 s4, s14, 31
	s_lshr_b32 s4, s4, 27
	s_add_i32 s14, s14, s4
	s_ashr_i32 s4, s14, 5
	global_load_ushort v13, v[2:3], off
	v_add_u32_e32 v2, s4, v8
	v_ashrrev_i32_e32 v3, 31, v2
	v_lshlrev_b64 v[2:3], 2, v[2:3]
	s_mov_b64 s[14:15], 0
	v_add_co_u32_e64 v2, s[4:5], s12, v2
	v_addc_co_u32_e64 v3, s[4:5], v14, v3, s[4:5]
	global_load_dword v14, v[2:3], off
	v_cmp_lt_i32_e64 s[4:5], 20, v10
	s_and_saveexec_b64 s[20:21], s[4:5]
	s_xor_b64 s[20:21], exec, s[20:21]
	s_cbranch_execnz .LBB6_293
; %bb.65:
	s_andn2_saveexec_b64 s[4:5], s[20:21]
	s_cbranch_execnz .LBB6_296
.LBB6_66:
	s_or_b64 exec, exec, s[4:5]
	s_and_saveexec_b64 s[4:5], s[18:19]
	s_xor_b64 s[4:5], exec, s[4:5]
	s_cbranch_execnz .LBB6_297
.LBB6_67:
	s_or_b64 exec, exec, s[4:5]
	s_and_saveexec_b64 s[4:5], s[14:15]
	s_cbranch_execz .LBB6_69
.LBB6_68:
	global_load_dword v2, v[2:3], off offset:4
	s_waitcnt vmcnt(0)
	v_alignbit_b32 v2, v2, v14, 30
	v_and_b32_e32 v15, 7, v2
.LBB6_69:
	s_or_b64 exec, exec, s[4:5]
	v_alignbit_b32 v2, v11, v12, 30
	v_and_b32_e32 v2, 7, v2
	v_sub_u32_e32 v3, s24, v15
	v_add_u32_e32 v2, v3, v2
	v_cvt_f32_i32_e32 v2, v2
	v_mov_b32_e32 v3, s9
	v_add_co_u32_e64 v0, s[4:5], s8, v0
	v_addc_co_u32_e64 v1, s[4:5], v1, v3, s[4:5]
	s_load_dword s4, s[6:7], 0x2c
	v_cvt_f16_f32_e32 v2, v2
	v_mov_b32_e32 v12, s11
	s_mov_b64 s[18:19], 0
                                        ; implicit-def: $vgpr14
	s_waitcnt vmcnt(1)
	v_mul_f16_e32 v2, v13, v2
	s_waitcnt lgkmcnt(0)
	s_mul_i32 s5, s4, s16
	global_store_short v[0:1], v2, off
	v_add_u32_e32 v2, s5, v5
	v_ashrrev_i32_e32 v3, 31, v2
	v_lshlrev_b64 v[2:3], 1, v[2:3]
	s_mul_i32 s14, s26, s4
	v_add_co_u32_e64 v2, s[4:5], s10, v2
	v_addc_co_u32_e64 v3, s[4:5], v12, v3, s[4:5]
	s_ashr_i32 s4, s14, 31
	s_lshr_b32 s4, s4, 27
	s_add_i32 s14, s14, s4
	s_ashr_i32 s4, s14, 5
	global_load_ushort v12, v[2:3], off
	v_add_u32_e32 v2, s4, v8
	v_ashrrev_i32_e32 v3, 31, v2
	v_lshlrev_b64 v[2:3], 2, v[2:3]
	v_mov_b32_e32 v13, s13
	v_add_co_u32_e64 v2, s[4:5], s12, v2
	v_addc_co_u32_e64 v3, s[4:5], v13, v3, s[4:5]
	global_load_dword v13, v[2:3], off
	v_cmp_lt_i32_e64 s[4:5], 20, v10
	s_mov_b64 s[14:15], 0
	s_and_saveexec_b64 s[20:21], s[4:5]
	s_xor_b64 s[20:21], exec, s[20:21]
	s_cbranch_execnz .LBB6_306
; %bb.70:
	s_andn2_saveexec_b64 s[4:5], s[20:21]
	s_cbranch_execnz .LBB6_309
.LBB6_71:
	s_or_b64 exec, exec, s[4:5]
	s_and_saveexec_b64 s[4:5], s[18:19]
	s_xor_b64 s[4:5], exec, s[4:5]
	s_cbranch_execnz .LBB6_310
.LBB6_72:
	s_or_b64 exec, exec, s[4:5]
	s_and_saveexec_b64 s[4:5], s[14:15]
	s_cbranch_execz .LBB6_74
.LBB6_73:
	global_load_dword v2, v[2:3], off offset:4
	s_waitcnt vmcnt(0)
	v_alignbit_b32 v2, v2, v13, 30
	v_and_b32_e32 v14, 7, v2
.LBB6_74:
	s_or_b64 exec, exec, s[4:5]
	v_bfe_u32 v2, v11, 1, 3
	s_waitcnt vmcnt(3)
	v_sub_u32_e32 v3, s24, v14
	v_add_u32_e32 v2, v3, v2
	v_cvt_f32_i32_e32 v2, v2
	v_mov_b32_e32 v3, s9
	v_add_co_u32_e64 v0, s[4:5], s8, v0
	v_addc_co_u32_e64 v1, s[4:5], v1, v3, s[4:5]
	s_load_dword s4, s[6:7], 0x30
	v_cvt_f16_f32_e32 v2, v2
	s_waitcnt vmcnt(0)
	v_mov_b32_e32 v13, s13
	s_mov_b64 s[18:19], 0
                                        ; implicit-def: $vgpr14
	v_mul_f16_e32 v2, v12, v2
	s_waitcnt lgkmcnt(0)
	s_mul_i32 s5, s4, s16
	global_store_short v[0:1], v2, off
	v_add_u32_e32 v2, s5, v5
	v_ashrrev_i32_e32 v3, 31, v2
	v_lshlrev_b64 v[2:3], 1, v[2:3]
	v_mov_b32_e32 v12, s11
	s_mul_i32 s14, s26, s4
	v_add_co_u32_e64 v2, s[4:5], s10, v2
	v_addc_co_u32_e64 v3, s[4:5], v12, v3, s[4:5]
	s_ashr_i32 s4, s14, 31
	s_lshr_b32 s4, s4, 27
	s_add_i32 s14, s14, s4
	s_ashr_i32 s4, s14, 5
	global_load_ushort v12, v[2:3], off
	v_add_u32_e32 v2, s4, v8
	v_ashrrev_i32_e32 v3, 31, v2
	v_lshlrev_b64 v[2:3], 2, v[2:3]
	s_mov_b64 s[14:15], 0
	v_add_co_u32_e64 v2, s[4:5], s12, v2
	v_addc_co_u32_e64 v3, s[4:5], v13, v3, s[4:5]
	global_load_dword v13, v[2:3], off
	v_cmp_lt_i32_e64 s[4:5], 20, v10
	s_and_saveexec_b64 s[20:21], s[4:5]
	s_xor_b64 s[20:21], exec, s[20:21]
	s_cbranch_execnz .LBB6_319
; %bb.75:
	s_andn2_saveexec_b64 s[4:5], s[20:21]
	s_cbranch_execnz .LBB6_322
.LBB6_76:
	s_or_b64 exec, exec, s[4:5]
	s_and_saveexec_b64 s[4:5], s[18:19]
	s_xor_b64 s[4:5], exec, s[4:5]
	s_cbranch_execnz .LBB6_323
.LBB6_77:
	s_or_b64 exec, exec, s[4:5]
	s_and_saveexec_b64 s[4:5], s[14:15]
	s_cbranch_execz .LBB6_79
.LBB6_78:
	global_load_dword v2, v[2:3], off offset:4
	s_waitcnt vmcnt(0)
	v_alignbit_b32 v2, v2, v13, 30
	v_and_b32_e32 v14, 7, v2
.LBB6_79:
	s_or_b64 exec, exec, s[4:5]
	v_bfe_u32 v2, v11, 4, 3
	v_sub_u32_e32 v3, s24, v14
	v_add_u32_e32 v2, v3, v2
	v_cvt_f32_i32_e32 v2, v2
	v_mov_b32_e32 v3, s9
	v_add_co_u32_e64 v0, s[4:5], s8, v0
	v_addc_co_u32_e64 v1, s[4:5], v1, v3, s[4:5]
	s_load_dword s4, s[6:7], 0x34
	v_cvt_f16_f32_e32 v2, v2
	s_waitcnt vmcnt(0)
	v_mov_b32_e32 v13, s13
	s_mov_b64 s[18:19], 0
                                        ; implicit-def: $vgpr14
	v_mul_f16_e32 v2, v12, v2
	s_waitcnt lgkmcnt(0)
	s_mul_i32 s5, s4, s16
	global_store_short v[0:1], v2, off
	v_add_u32_e32 v2, s5, v5
	v_ashrrev_i32_e32 v3, 31, v2
	v_lshlrev_b64 v[2:3], 1, v[2:3]
	v_mov_b32_e32 v12, s11
	s_mul_i32 s14, s26, s4
	v_add_co_u32_e64 v2, s[4:5], s10, v2
	v_addc_co_u32_e64 v3, s[4:5], v12, v3, s[4:5]
	s_ashr_i32 s4, s14, 31
	s_lshr_b32 s4, s4, 27
	s_add_i32 s14, s14, s4
	s_ashr_i32 s4, s14, 5
	global_load_ushort v12, v[2:3], off
	v_add_u32_e32 v2, s4, v8
	v_ashrrev_i32_e32 v3, 31, v2
	v_lshlrev_b64 v[2:3], 2, v[2:3]
	s_mov_b64 s[14:15], 0
	v_add_co_u32_e64 v2, s[4:5], s12, v2
	v_addc_co_u32_e64 v3, s[4:5], v13, v3, s[4:5]
	global_load_dword v13, v[2:3], off
	v_cmp_lt_i32_e64 s[4:5], 20, v10
	s_and_saveexec_b64 s[20:21], s[4:5]
	s_xor_b64 s[20:21], exec, s[20:21]
	s_cbranch_execnz .LBB6_332
; %bb.80:
	s_andn2_saveexec_b64 s[4:5], s[20:21]
	s_cbranch_execnz .LBB6_335
.LBB6_81:
	s_or_b64 exec, exec, s[4:5]
	s_and_saveexec_b64 s[4:5], s[18:19]
	s_xor_b64 s[4:5], exec, s[4:5]
	s_cbranch_execnz .LBB6_336
.LBB6_82:
	s_or_b64 exec, exec, s[4:5]
	s_and_saveexec_b64 s[4:5], s[14:15]
	s_cbranch_execz .LBB6_84
.LBB6_83:
	global_load_dword v2, v[2:3], off offset:4
	s_waitcnt vmcnt(0)
	v_alignbit_b32 v2, v2, v13, 30
	v_and_b32_e32 v14, 7, v2
.LBB6_84:
	s_or_b64 exec, exec, s[4:5]
	v_bfe_u32 v2, v11, 7, 3
	v_sub_u32_e32 v3, s24, v14
	v_add_u32_e32 v2, v3, v2
	v_cvt_f32_i32_e32 v2, v2
	v_mov_b32_e32 v3, s9
	v_add_co_u32_e64 v0, s[4:5], s8, v0
	v_addc_co_u32_e64 v1, s[4:5], v1, v3, s[4:5]
	s_load_dword s4, s[6:7], 0x38
	v_cvt_f16_f32_e32 v2, v2
	s_waitcnt vmcnt(0)
	v_mov_b32_e32 v13, s13
	s_mov_b64 s[18:19], 0
                                        ; implicit-def: $vgpr14
	v_mul_f16_e32 v2, v12, v2
	s_waitcnt lgkmcnt(0)
	s_mul_i32 s5, s4, s16
	global_store_short v[0:1], v2, off
	v_add_u32_e32 v2, s5, v5
	v_ashrrev_i32_e32 v3, 31, v2
	v_lshlrev_b64 v[2:3], 1, v[2:3]
	v_mov_b32_e32 v12, s11
	s_mul_i32 s14, s26, s4
	v_add_co_u32_e64 v2, s[4:5], s10, v2
	v_addc_co_u32_e64 v3, s[4:5], v12, v3, s[4:5]
	s_ashr_i32 s4, s14, 31
	s_lshr_b32 s4, s4, 27
	s_add_i32 s14, s14, s4
	s_ashr_i32 s4, s14, 5
	global_load_ushort v12, v[2:3], off
	v_add_u32_e32 v2, s4, v8
	v_ashrrev_i32_e32 v3, 31, v2
	v_lshlrev_b64 v[2:3], 2, v[2:3]
	s_mov_b64 s[14:15], 0
	v_add_co_u32_e64 v2, s[4:5], s12, v2
	v_addc_co_u32_e64 v3, s[4:5], v13, v3, s[4:5]
	global_load_dword v13, v[2:3], off
	v_cmp_lt_i32_e64 s[4:5], 20, v10
	s_and_saveexec_b64 s[20:21], s[4:5]
	s_xor_b64 s[20:21], exec, s[20:21]
	s_cbranch_execnz .LBB6_345
; %bb.85:
	s_andn2_saveexec_b64 s[4:5], s[20:21]
	s_cbranch_execnz .LBB6_348
.LBB6_86:
	s_or_b64 exec, exec, s[4:5]
	s_and_saveexec_b64 s[4:5], s[18:19]
	s_xor_b64 s[4:5], exec, s[4:5]
	s_cbranch_execnz .LBB6_349
.LBB6_87:
	s_or_b64 exec, exec, s[4:5]
	s_and_saveexec_b64 s[4:5], s[14:15]
	s_cbranch_execz .LBB6_89
.LBB6_88:
	global_load_dword v2, v[2:3], off offset:4
	s_waitcnt vmcnt(0)
	v_alignbit_b32 v2, v2, v13, 30
	v_and_b32_e32 v14, 7, v2
.LBB6_89:
	s_or_b64 exec, exec, s[4:5]
	v_bfe_u32 v2, v11, 10, 3
	v_sub_u32_e32 v3, s24, v14
	v_add_u32_e32 v2, v3, v2
	v_cvt_f32_i32_e32 v2, v2
	v_mov_b32_e32 v3, s9
	v_add_co_u32_e64 v0, s[4:5], s8, v0
	v_addc_co_u32_e64 v1, s[4:5], v1, v3, s[4:5]
	s_load_dword s4, s[6:7], 0x3c
	v_cvt_f16_f32_e32 v2, v2
	s_waitcnt vmcnt(0)
	v_mov_b32_e32 v13, s13
	s_mov_b64 s[18:19], 0
                                        ; implicit-def: $vgpr14
	v_mul_f16_e32 v2, v12, v2
	s_waitcnt lgkmcnt(0)
	s_mul_i32 s5, s4, s16
	global_store_short v[0:1], v2, off
	v_add_u32_e32 v2, s5, v5
	v_ashrrev_i32_e32 v3, 31, v2
	v_lshlrev_b64 v[2:3], 1, v[2:3]
	v_mov_b32_e32 v12, s11
	s_mul_i32 s14, s26, s4
	v_add_co_u32_e64 v2, s[4:5], s10, v2
	v_addc_co_u32_e64 v3, s[4:5], v12, v3, s[4:5]
	s_ashr_i32 s4, s14, 31
	s_lshr_b32 s4, s4, 27
	s_add_i32 s14, s14, s4
	s_ashr_i32 s4, s14, 5
	global_load_ushort v12, v[2:3], off
	v_add_u32_e32 v2, s4, v8
	v_ashrrev_i32_e32 v3, 31, v2
	v_lshlrev_b64 v[2:3], 2, v[2:3]
	s_mov_b64 s[14:15], 0
	v_add_co_u32_e64 v2, s[4:5], s12, v2
	v_addc_co_u32_e64 v3, s[4:5], v13, v3, s[4:5]
	global_load_dword v13, v[2:3], off
	v_cmp_lt_i32_e64 s[4:5], 20, v10
	s_and_saveexec_b64 s[20:21], s[4:5]
	s_xor_b64 s[20:21], exec, s[20:21]
	s_cbranch_execnz .LBB6_358
; %bb.90:
	s_andn2_saveexec_b64 s[4:5], s[20:21]
	s_cbranch_execnz .LBB6_361
.LBB6_91:
	s_or_b64 exec, exec, s[4:5]
	s_and_saveexec_b64 s[4:5], s[18:19]
	s_xor_b64 s[4:5], exec, s[4:5]
	s_cbranch_execnz .LBB6_362
.LBB6_92:
	s_or_b64 exec, exec, s[4:5]
	s_and_saveexec_b64 s[4:5], s[14:15]
	s_cbranch_execz .LBB6_94
.LBB6_93:
	global_load_dword v2, v[2:3], off offset:4
	s_waitcnt vmcnt(0)
	v_alignbit_b32 v2, v2, v13, 30
	v_and_b32_e32 v14, 7, v2
.LBB6_94:
	s_or_b64 exec, exec, s[4:5]
	v_bfe_u32 v2, v11, 13, 3
	v_sub_u32_e32 v3, s24, v14
	v_add_u32_e32 v2, v3, v2
	v_cvt_f32_i32_e32 v2, v2
	v_mov_b32_e32 v3, s9
	v_add_co_u32_e64 v0, s[4:5], s8, v0
	v_addc_co_u32_e64 v1, s[4:5], v1, v3, s[4:5]
	s_load_dword s4, s[6:7], 0x40
	v_cvt_f16_f32_e32 v2, v2
	s_waitcnt vmcnt(0)
	v_mov_b32_e32 v13, s13
	s_mov_b64 s[18:19], 0
                                        ; implicit-def: $vgpr14
	v_mul_f16_e32 v2, v12, v2
	s_waitcnt lgkmcnt(0)
	s_mul_i32 s5, s4, s16
	global_store_short v[0:1], v2, off
	v_add_u32_e32 v2, s5, v5
	v_ashrrev_i32_e32 v3, 31, v2
	v_lshlrev_b64 v[2:3], 1, v[2:3]
	v_mov_b32_e32 v12, s11
	s_mul_i32 s14, s26, s4
	v_add_co_u32_e64 v2, s[4:5], s10, v2
	v_addc_co_u32_e64 v3, s[4:5], v12, v3, s[4:5]
	s_ashr_i32 s4, s14, 31
	s_lshr_b32 s4, s4, 27
	s_add_i32 s14, s14, s4
	s_ashr_i32 s4, s14, 5
	global_load_ushort v12, v[2:3], off
	v_add_u32_e32 v2, s4, v8
	v_ashrrev_i32_e32 v3, 31, v2
	v_lshlrev_b64 v[2:3], 2, v[2:3]
	s_mov_b64 s[14:15], 0
	v_add_co_u32_e64 v2, s[4:5], s12, v2
	v_addc_co_u32_e64 v3, s[4:5], v13, v3, s[4:5]
	global_load_dword v13, v[2:3], off
	v_cmp_lt_i32_e64 s[4:5], 20, v10
	s_and_saveexec_b64 s[20:21], s[4:5]
	s_xor_b64 s[20:21], exec, s[20:21]
	s_cbranch_execnz .LBB6_371
; %bb.95:
	s_andn2_saveexec_b64 s[4:5], s[20:21]
	s_cbranch_execnz .LBB6_374
.LBB6_96:
	s_or_b64 exec, exec, s[4:5]
	s_and_saveexec_b64 s[4:5], s[18:19]
	s_xor_b64 s[4:5], exec, s[4:5]
	s_cbranch_execnz .LBB6_375
.LBB6_97:
	s_or_b64 exec, exec, s[4:5]
	s_and_saveexec_b64 s[4:5], s[14:15]
	s_cbranch_execz .LBB6_99
.LBB6_98:
	global_load_dword v2, v[2:3], off offset:4
	s_waitcnt vmcnt(0)
	v_alignbit_b32 v2, v2, v13, 30
	v_and_b32_e32 v14, 7, v2
.LBB6_99:
	s_or_b64 exec, exec, s[4:5]
	v_bfe_u32 v2, v11, 16, 3
	v_sub_u32_e32 v3, s24, v14
	v_add_u32_e32 v2, v3, v2
	v_cvt_f32_i32_e32 v2, v2
	v_mov_b32_e32 v3, s9
	v_add_co_u32_e64 v0, s[4:5], s8, v0
	v_addc_co_u32_e64 v1, s[4:5], v1, v3, s[4:5]
	s_load_dword s4, s[6:7], 0x44
	v_cvt_f16_f32_e32 v2, v2
	s_waitcnt vmcnt(0)
	v_mov_b32_e32 v13, s13
	s_mov_b64 s[18:19], 0
                                        ; implicit-def: $vgpr14
	v_mul_f16_e32 v2, v12, v2
	s_waitcnt lgkmcnt(0)
	s_mul_i32 s5, s4, s16
	global_store_short v[0:1], v2, off
	v_add_u32_e32 v2, s5, v5
	v_ashrrev_i32_e32 v3, 31, v2
	v_lshlrev_b64 v[2:3], 1, v[2:3]
	v_mov_b32_e32 v12, s11
	s_mul_i32 s14, s26, s4
	v_add_co_u32_e64 v2, s[4:5], s10, v2
	v_addc_co_u32_e64 v3, s[4:5], v12, v3, s[4:5]
	s_ashr_i32 s4, s14, 31
	s_lshr_b32 s4, s4, 27
	s_add_i32 s14, s14, s4
	s_ashr_i32 s4, s14, 5
	global_load_ushort v12, v[2:3], off
	v_add_u32_e32 v2, s4, v8
	v_ashrrev_i32_e32 v3, 31, v2
	v_lshlrev_b64 v[2:3], 2, v[2:3]
	s_mov_b64 s[14:15], 0
	v_add_co_u32_e64 v2, s[4:5], s12, v2
	v_addc_co_u32_e64 v3, s[4:5], v13, v3, s[4:5]
	global_load_dword v13, v[2:3], off
	v_cmp_lt_i32_e64 s[4:5], 20, v10
	s_and_saveexec_b64 s[20:21], s[4:5]
	s_xor_b64 s[20:21], exec, s[20:21]
	s_cbranch_execnz .LBB6_384
; %bb.100:
	s_andn2_saveexec_b64 s[4:5], s[20:21]
	s_cbranch_execnz .LBB6_387
.LBB6_101:
	s_or_b64 exec, exec, s[4:5]
	s_and_saveexec_b64 s[4:5], s[18:19]
	s_xor_b64 s[4:5], exec, s[4:5]
	s_cbranch_execnz .LBB6_388
.LBB6_102:
	s_or_b64 exec, exec, s[4:5]
	s_and_saveexec_b64 s[4:5], s[14:15]
	s_cbranch_execz .LBB6_104
.LBB6_103:
	global_load_dword v2, v[2:3], off offset:4
	s_waitcnt vmcnt(0)
	v_alignbit_b32 v2, v2, v13, 30
	v_and_b32_e32 v14, 7, v2
.LBB6_104:
	s_or_b64 exec, exec, s[4:5]
	v_bfe_u32 v2, v11, 19, 3
	v_sub_u32_e32 v3, s24, v14
	v_add_u32_e32 v2, v3, v2
	v_cvt_f32_i32_e32 v2, v2
	v_mov_b32_e32 v3, s9
	v_add_co_u32_e64 v0, s[4:5], s8, v0
	v_addc_co_u32_e64 v1, s[4:5], v1, v3, s[4:5]
	s_load_dword s4, s[6:7], 0x48
	v_cvt_f16_f32_e32 v2, v2
	s_waitcnt vmcnt(0)
	v_mov_b32_e32 v13, s13
	s_mov_b64 s[18:19], 0
                                        ; implicit-def: $vgpr14
	v_mul_f16_e32 v2, v12, v2
	s_waitcnt lgkmcnt(0)
	s_mul_i32 s5, s4, s16
	global_store_short v[0:1], v2, off
	v_add_u32_e32 v2, s5, v5
	v_ashrrev_i32_e32 v3, 31, v2
	v_lshlrev_b64 v[2:3], 1, v[2:3]
	v_mov_b32_e32 v12, s11
	s_mul_i32 s14, s26, s4
	v_add_co_u32_e64 v2, s[4:5], s10, v2
	v_addc_co_u32_e64 v3, s[4:5], v12, v3, s[4:5]
	s_ashr_i32 s4, s14, 31
	s_lshr_b32 s4, s4, 27
	s_add_i32 s14, s14, s4
	s_ashr_i32 s4, s14, 5
	global_load_ushort v12, v[2:3], off
	v_add_u32_e32 v2, s4, v8
	v_ashrrev_i32_e32 v3, 31, v2
	v_lshlrev_b64 v[2:3], 2, v[2:3]
	s_mov_b64 s[14:15], 0
	v_add_co_u32_e64 v2, s[4:5], s12, v2
	v_addc_co_u32_e64 v3, s[4:5], v13, v3, s[4:5]
	global_load_dword v13, v[2:3], off
	v_cmp_lt_i32_e64 s[4:5], 20, v10
	s_and_saveexec_b64 s[20:21], s[4:5]
	s_xor_b64 s[20:21], exec, s[20:21]
	s_cbranch_execnz .LBB6_397
; %bb.105:
	s_andn2_saveexec_b64 s[4:5], s[20:21]
	s_cbranch_execnz .LBB6_400
.LBB6_106:
	s_or_b64 exec, exec, s[4:5]
	s_and_saveexec_b64 s[4:5], s[18:19]
	s_xor_b64 s[4:5], exec, s[4:5]
	s_cbranch_execnz .LBB6_401
.LBB6_107:
	s_or_b64 exec, exec, s[4:5]
	s_and_saveexec_b64 s[4:5], s[14:15]
	s_cbranch_execz .LBB6_109
.LBB6_108:
	global_load_dword v2, v[2:3], off offset:4
	s_waitcnt vmcnt(0)
	v_alignbit_b32 v2, v2, v13, 30
	v_and_b32_e32 v14, 7, v2
.LBB6_109:
	s_or_b64 exec, exec, s[4:5]
	v_bfe_u32 v2, v11, 22, 3
	v_sub_u32_e32 v3, s24, v14
	v_add_u32_e32 v2, v3, v2
	v_cvt_f32_i32_e32 v2, v2
	v_mov_b32_e32 v3, s9
	v_add_co_u32_e64 v0, s[4:5], s8, v0
	v_addc_co_u32_e64 v1, s[4:5], v1, v3, s[4:5]
	s_load_dword s4, s[6:7], 0x4c
	v_cvt_f16_f32_e32 v2, v2
	s_waitcnt vmcnt(0)
	v_mov_b32_e32 v13, s13
	s_mov_b64 s[18:19], 0
                                        ; implicit-def: $vgpr14
	v_mul_f16_e32 v2, v12, v2
	s_waitcnt lgkmcnt(0)
	s_mul_i32 s5, s4, s16
	global_store_short v[0:1], v2, off
	v_add_u32_e32 v2, s5, v5
	v_ashrrev_i32_e32 v3, 31, v2
	v_lshlrev_b64 v[2:3], 1, v[2:3]
	v_mov_b32_e32 v12, s11
	s_mul_i32 s14, s26, s4
	v_add_co_u32_e64 v2, s[4:5], s10, v2
	v_addc_co_u32_e64 v3, s[4:5], v12, v3, s[4:5]
	s_ashr_i32 s4, s14, 31
	s_lshr_b32 s4, s4, 27
	s_add_i32 s14, s14, s4
	s_ashr_i32 s4, s14, 5
	global_load_ushort v12, v[2:3], off
	v_add_u32_e32 v2, s4, v8
	v_ashrrev_i32_e32 v3, 31, v2
	v_lshlrev_b64 v[2:3], 2, v[2:3]
	s_mov_b64 s[14:15], 0
	v_add_co_u32_e64 v2, s[4:5], s12, v2
	v_addc_co_u32_e64 v3, s[4:5], v13, v3, s[4:5]
	global_load_dword v13, v[2:3], off
	v_cmp_lt_i32_e64 s[4:5], 20, v10
	s_and_saveexec_b64 s[20:21], s[4:5]
	s_xor_b64 s[20:21], exec, s[20:21]
	s_cbranch_execnz .LBB6_410
; %bb.110:
	s_andn2_saveexec_b64 s[4:5], s[20:21]
	s_cbranch_execnz .LBB6_413
.LBB6_111:
	s_or_b64 exec, exec, s[4:5]
	s_and_saveexec_b64 s[4:5], s[18:19]
	s_xor_b64 s[4:5], exec, s[4:5]
	s_cbranch_execnz .LBB6_414
.LBB6_112:
	s_or_b64 exec, exec, s[4:5]
	s_and_saveexec_b64 s[4:5], s[14:15]
	s_cbranch_execz .LBB6_114
.LBB6_113:
	global_load_dword v2, v[2:3], off offset:4
	s_waitcnt vmcnt(0)
	v_alignbit_b32 v2, v2, v13, 30
	v_and_b32_e32 v14, 7, v2
.LBB6_114:
	s_or_b64 exec, exec, s[4:5]
	v_bfe_u32 v2, v11, 25, 3
	v_sub_u32_e32 v3, s24, v14
	v_add_u32_e32 v2, v3, v2
	v_cvt_f32_i32_e32 v2, v2
	v_mov_b32_e32 v3, s9
	v_add_co_u32_e64 v0, s[4:5], s8, v0
	v_addc_co_u32_e64 v1, s[4:5], v1, v3, s[4:5]
	s_load_dword s4, s[6:7], 0x50
	v_cvt_f16_f32_e32 v2, v2
	s_waitcnt vmcnt(0)
	v_mov_b32_e32 v13, s13
	s_mov_b64 s[18:19], 0
                                        ; implicit-def: $vgpr14
	v_mul_f16_e32 v2, v12, v2
	s_waitcnt lgkmcnt(0)
	s_mul_i32 s5, s4, s16
	global_store_short v[0:1], v2, off
	v_add_u32_e32 v2, s5, v5
	v_ashrrev_i32_e32 v3, 31, v2
	v_lshlrev_b64 v[2:3], 1, v[2:3]
	v_mov_b32_e32 v12, s11
	s_mul_i32 s14, s26, s4
	v_add_co_u32_e64 v2, s[4:5], s10, v2
	v_addc_co_u32_e64 v3, s[4:5], v12, v3, s[4:5]
	s_ashr_i32 s4, s14, 31
	s_lshr_b32 s4, s4, 27
	s_add_i32 s14, s14, s4
	s_ashr_i32 s4, s14, 5
	global_load_ushort v12, v[2:3], off
	v_add_u32_e32 v2, s4, v8
	v_ashrrev_i32_e32 v3, 31, v2
	v_lshlrev_b64 v[2:3], 2, v[2:3]
	s_mov_b64 s[14:15], 0
	v_add_co_u32_e64 v2, s[4:5], s12, v2
	v_addc_co_u32_e64 v3, s[4:5], v13, v3, s[4:5]
	global_load_dword v13, v[2:3], off
	v_cmp_lt_i32_e64 s[4:5], 20, v10
	s_and_saveexec_b64 s[20:21], s[4:5]
	s_xor_b64 s[20:21], exec, s[20:21]
	s_cbranch_execnz .LBB6_423
; %bb.115:
	s_andn2_saveexec_b64 s[4:5], s[20:21]
	s_cbranch_execnz .LBB6_426
.LBB6_116:
	s_or_b64 exec, exec, s[4:5]
	s_and_saveexec_b64 s[4:5], s[18:19]
	s_xor_b64 s[4:5], exec, s[4:5]
	s_cbranch_execnz .LBB6_427
.LBB6_117:
	s_or_b64 exec, exec, s[4:5]
	s_and_saveexec_b64 s[4:5], s[14:15]
	s_cbranch_execz .LBB6_119
.LBB6_118:
	global_load_dword v2, v[2:3], off offset:4
	s_waitcnt vmcnt(0)
	v_alignbit_b32 v2, v2, v13, 30
	v_and_b32_e32 v14, 7, v2
.LBB6_119:
	s_or_b64 exec, exec, s[4:5]
	v_bfe_u32 v2, v11, 28, 3
	v_sub_u32_e32 v3, s24, v14
	v_add_u32_e32 v2, v3, v2
	v_cvt_f32_i32_e32 v2, v2
	v_mov_b32_e32 v3, s9
	v_add_co_u32_e64 v0, s[4:5], s8, v0
	v_cvt_f16_f32_e32 v2, v2
	v_addc_co_u32_e64 v1, s[4:5], v1, v3, s[4:5]
	s_waitcnt vmcnt(0)
	v_mov_b32_e32 v13, s13
	v_mul_f16_e32 v2, v12, v2
	global_store_short v[0:1], v2, off
	s_load_dword s4, s[6:7], 0x54
	v_mov_b32_e32 v12, s11
	s_mov_b64 s[18:19], 0
                                        ; implicit-def: $vgpr14
	s_waitcnt lgkmcnt(0)
	s_mul_i32 s5, s4, s16
	v_add_u32_e32 v2, s5, v5
	v_ashrrev_i32_e32 v3, 31, v2
	v_lshlrev_b64 v[2:3], 1, v[2:3]
	s_mul_i32 s14, s26, s4
	v_add_co_u32_e64 v2, s[4:5], s10, v2
	v_addc_co_u32_e64 v3, s[4:5], v12, v3, s[4:5]
	s_ashr_i32 s4, s14, 31
	s_lshr_b32 s4, s4, 27
	s_add_i32 s14, s14, s4
	s_ashr_i32 s4, s14, 5
	global_load_ushort v12, v[2:3], off
	v_add_u32_e32 v2, s4, v8
	v_ashrrev_i32_e32 v3, 31, v2
	v_lshlrev_b64 v[2:3], 2, v[2:3]
	s_mov_b64 s[14:15], 0
	v_add_co_u32_e64 v2, s[4:5], s12, v2
	v_addc_co_u32_e64 v3, s[4:5], v13, v3, s[4:5]
	global_load_dword v13, v[2:3], off
	v_cmp_lt_i32_e64 s[4:5], 20, v10
	s_and_saveexec_b64 s[20:21], s[4:5]
	s_xor_b64 s[20:21], exec, s[20:21]
	s_cbranch_execnz .LBB6_436
; %bb.120:
	s_andn2_saveexec_b64 s[4:5], s[20:21]
	s_cbranch_execnz .LBB6_439
.LBB6_121:
	s_or_b64 exec, exec, s[4:5]
	s_and_saveexec_b64 s[4:5], s[18:19]
	s_xor_b64 s[4:5], exec, s[4:5]
	s_cbranch_execnz .LBB6_440
.LBB6_122:
	s_or_b64 exec, exec, s[4:5]
	s_and_saveexec_b64 s[4:5], s[14:15]
	s_cbranch_execz .LBB6_124
.LBB6_123:
	global_load_dword v2, v[2:3], off offset:4
	s_waitcnt vmcnt(0)
	v_alignbit_b32 v2, v2, v13, 30
	v_and_b32_e32 v14, 7, v2
.LBB6_124:
	s_or_b64 exec, exec, s[4:5]
	v_alignbit_b32 v2, v4, v11, 31
	v_and_b32_e32 v2, 7, v2
	v_sub_u32_e32 v3, s24, v14
	v_add_u32_e32 v2, v3, v2
	v_cvt_f32_i32_e32 v2, v2
	v_mov_b32_e32 v3, s9
	v_add_co_u32_e64 v0, s[4:5], s8, v0
	v_cvt_f16_f32_e32 v2, v2
	v_addc_co_u32_e64 v1, s[4:5], v1, v3, s[4:5]
	v_mov_b32_e32 v11, s11
	s_waitcnt vmcnt(1)
	v_mul_f16_e32 v2, v12, v2
	global_store_short v[0:1], v2, off
	s_load_dword s4, s[6:7], 0x58
	v_mov_b32_e32 v12, s13
	s_mov_b64 s[18:19], 0
                                        ; implicit-def: $vgpr13
	s_waitcnt lgkmcnt(0)
	s_mul_i32 s5, s4, s16
	v_add_u32_e32 v2, s5, v5
	v_ashrrev_i32_e32 v3, 31, v2
	v_lshlrev_b64 v[2:3], 1, v[2:3]
	s_mul_i32 s14, s26, s4
	v_add_co_u32_e64 v2, s[4:5], s10, v2
	v_addc_co_u32_e64 v3, s[4:5], v11, v3, s[4:5]
	s_ashr_i32 s4, s14, 31
	s_lshr_b32 s4, s4, 27
	s_add_i32 s14, s14, s4
	s_ashr_i32 s4, s14, 5
	global_load_ushort v11, v[2:3], off
	v_add_u32_e32 v2, s4, v8
	v_ashrrev_i32_e32 v3, 31, v2
	v_lshlrev_b64 v[2:3], 2, v[2:3]
	s_mov_b64 s[14:15], 0
	v_add_co_u32_e64 v2, s[4:5], s12, v2
	v_addc_co_u32_e64 v3, s[4:5], v12, v3, s[4:5]
	global_load_dword v12, v[2:3], off
	v_cmp_lt_i32_e64 s[4:5], 20, v10
	s_and_saveexec_b64 s[20:21], s[4:5]
	s_xor_b64 s[20:21], exec, s[20:21]
	s_cbranch_execnz .LBB6_449
; %bb.125:
	s_andn2_saveexec_b64 s[4:5], s[20:21]
	s_cbranch_execnz .LBB6_452
.LBB6_126:
	s_or_b64 exec, exec, s[4:5]
	s_and_saveexec_b64 s[4:5], s[18:19]
	s_xor_b64 s[4:5], exec, s[4:5]
	s_cbranch_execnz .LBB6_453
.LBB6_127:
	s_or_b64 exec, exec, s[4:5]
	s_and_saveexec_b64 s[4:5], s[14:15]
	s_cbranch_execz .LBB6_129
.LBB6_128:
	global_load_dword v2, v[2:3], off offset:4
	s_waitcnt vmcnt(0)
	v_alignbit_b32 v2, v2, v12, 30
	v_and_b32_e32 v13, 7, v2
.LBB6_129:
	s_or_b64 exec, exec, s[4:5]
	v_bfe_u32 v2, v4, 2, 3
	s_waitcnt vmcnt(3)
	v_sub_u32_e32 v3, s24, v13
	v_add_u32_e32 v2, v3, v2
	v_cvt_f32_i32_e32 v2, v2
	v_mov_b32_e32 v3, s9
	v_add_co_u32_e64 v0, s[4:5], s8, v0
	v_cvt_f16_f32_e32 v2, v2
	v_addc_co_u32_e64 v1, s[4:5], v1, v3, s[4:5]
	s_waitcnt vmcnt(0)
	v_mov_b32_e32 v12, s13
	v_mul_f16_e32 v2, v11, v2
	global_store_short v[0:1], v2, off
	s_load_dword s4, s[6:7], 0x5c
	v_mov_b32_e32 v11, s11
	s_mov_b64 s[18:19], 0
                                        ; implicit-def: $vgpr13
	s_waitcnt lgkmcnt(0)
	s_mul_i32 s5, s4, s16
	v_add_u32_e32 v2, s5, v5
	v_ashrrev_i32_e32 v3, 31, v2
	v_lshlrev_b64 v[2:3], 1, v[2:3]
	s_mul_i32 s14, s26, s4
	v_add_co_u32_e64 v2, s[4:5], s10, v2
	v_addc_co_u32_e64 v3, s[4:5], v11, v3, s[4:5]
	s_ashr_i32 s4, s14, 31
	s_lshr_b32 s4, s4, 27
	s_add_i32 s14, s14, s4
	s_ashr_i32 s4, s14, 5
	global_load_ushort v11, v[2:3], off
	v_add_u32_e32 v2, s4, v8
	v_ashrrev_i32_e32 v3, 31, v2
	v_lshlrev_b64 v[2:3], 2, v[2:3]
	s_mov_b64 s[14:15], 0
	v_add_co_u32_e64 v2, s[4:5], s12, v2
	v_addc_co_u32_e64 v3, s[4:5], v12, v3, s[4:5]
	global_load_dword v12, v[2:3], off
	v_cmp_lt_i32_e64 s[4:5], 20, v10
	s_and_saveexec_b64 s[20:21], s[4:5]
	s_xor_b64 s[20:21], exec, s[20:21]
	s_cbranch_execnz .LBB6_462
; %bb.130:
	s_andn2_saveexec_b64 s[4:5], s[20:21]
	s_cbranch_execnz .LBB6_465
.LBB6_131:
	s_or_b64 exec, exec, s[4:5]
	s_and_saveexec_b64 s[4:5], s[18:19]
	s_xor_b64 s[4:5], exec, s[4:5]
	s_cbranch_execnz .LBB6_466
.LBB6_132:
	s_or_b64 exec, exec, s[4:5]
	s_and_saveexec_b64 s[4:5], s[14:15]
	s_cbranch_execz .LBB6_134
.LBB6_133:
	global_load_dword v2, v[2:3], off offset:4
	s_waitcnt vmcnt(0)
	v_alignbit_b32 v2, v2, v12, 30
	v_and_b32_e32 v13, 7, v2
.LBB6_134:
	s_or_b64 exec, exec, s[4:5]
	v_bfe_u32 v2, v4, 5, 3
	v_sub_u32_e32 v3, s24, v13
	v_add_u32_e32 v2, v3, v2
	v_cvt_f32_i32_e32 v2, v2
	v_mov_b32_e32 v3, s9
	v_add_co_u32_e64 v0, s[4:5], s8, v0
	v_cvt_f16_f32_e32 v2, v2
	v_addc_co_u32_e64 v1, s[4:5], v1, v3, s[4:5]
	s_waitcnt vmcnt(0)
	v_mov_b32_e32 v12, s13
	v_mul_f16_e32 v2, v11, v2
	global_store_short v[0:1], v2, off
	s_load_dword s4, s[6:7], 0x60
	v_mov_b32_e32 v11, s11
	s_mov_b64 s[18:19], 0
                                        ; implicit-def: $vgpr13
	s_waitcnt lgkmcnt(0)
	s_mul_i32 s5, s4, s16
	v_add_u32_e32 v2, s5, v5
	v_ashrrev_i32_e32 v3, 31, v2
	v_lshlrev_b64 v[2:3], 1, v[2:3]
	s_mul_i32 s14, s26, s4
	v_add_co_u32_e64 v2, s[4:5], s10, v2
	v_addc_co_u32_e64 v3, s[4:5], v11, v3, s[4:5]
	s_ashr_i32 s4, s14, 31
	s_lshr_b32 s4, s4, 27
	s_add_i32 s14, s14, s4
	s_ashr_i32 s4, s14, 5
	global_load_ushort v11, v[2:3], off
	v_add_u32_e32 v2, s4, v8
	v_ashrrev_i32_e32 v3, 31, v2
	v_lshlrev_b64 v[2:3], 2, v[2:3]
	s_mov_b64 s[14:15], 0
	v_add_co_u32_e64 v2, s[4:5], s12, v2
	v_addc_co_u32_e64 v3, s[4:5], v12, v3, s[4:5]
	global_load_dword v12, v[2:3], off
	v_cmp_lt_i32_e64 s[4:5], 20, v10
	s_and_saveexec_b64 s[20:21], s[4:5]
	s_xor_b64 s[20:21], exec, s[20:21]
	s_cbranch_execnz .LBB6_475
; %bb.135:
	s_andn2_saveexec_b64 s[4:5], s[20:21]
	s_cbranch_execnz .LBB6_478
.LBB6_136:
	s_or_b64 exec, exec, s[4:5]
	s_and_saveexec_b64 s[4:5], s[18:19]
	s_xor_b64 s[4:5], exec, s[4:5]
	s_cbranch_execnz .LBB6_479
.LBB6_137:
	s_or_b64 exec, exec, s[4:5]
	s_and_saveexec_b64 s[4:5], s[14:15]
	s_cbranch_execz .LBB6_139
.LBB6_138:
	global_load_dword v2, v[2:3], off offset:4
	s_waitcnt vmcnt(0)
	v_alignbit_b32 v2, v2, v12, 30
	v_and_b32_e32 v13, 7, v2
.LBB6_139:
	s_or_b64 exec, exec, s[4:5]
	v_bfe_u32 v2, v4, 8, 3
	v_sub_u32_e32 v3, s24, v13
	v_add_u32_e32 v2, v3, v2
	v_cvt_f32_i32_e32 v2, v2
	v_mov_b32_e32 v3, s9
	v_add_co_u32_e64 v0, s[4:5], s8, v0
	v_cvt_f16_f32_e32 v2, v2
	v_addc_co_u32_e64 v1, s[4:5], v1, v3, s[4:5]
	s_waitcnt vmcnt(0)
	v_mov_b32_e32 v12, s13
	v_mul_f16_e32 v2, v11, v2
	global_store_short v[0:1], v2, off
	s_load_dword s4, s[6:7], 0x64
	v_mov_b32_e32 v11, s11
	s_mov_b64 s[18:19], 0
                                        ; implicit-def: $vgpr13
	s_waitcnt lgkmcnt(0)
	s_mul_i32 s5, s4, s16
	v_add_u32_e32 v2, s5, v5
	v_ashrrev_i32_e32 v3, 31, v2
	v_lshlrev_b64 v[2:3], 1, v[2:3]
	s_mul_i32 s14, s26, s4
	v_add_co_u32_e64 v2, s[4:5], s10, v2
	v_addc_co_u32_e64 v3, s[4:5], v11, v3, s[4:5]
	s_ashr_i32 s4, s14, 31
	s_lshr_b32 s4, s4, 27
	s_add_i32 s14, s14, s4
	s_ashr_i32 s4, s14, 5
	global_load_ushort v11, v[2:3], off
	v_add_u32_e32 v2, s4, v8
	v_ashrrev_i32_e32 v3, 31, v2
	v_lshlrev_b64 v[2:3], 2, v[2:3]
	s_mov_b64 s[14:15], 0
	v_add_co_u32_e64 v2, s[4:5], s12, v2
	v_addc_co_u32_e64 v3, s[4:5], v12, v3, s[4:5]
	global_load_dword v12, v[2:3], off
	v_cmp_lt_i32_e64 s[4:5], 20, v10
	s_and_saveexec_b64 s[20:21], s[4:5]
	s_xor_b64 s[20:21], exec, s[20:21]
	s_cbranch_execnz .LBB6_488
; %bb.140:
	s_andn2_saveexec_b64 s[4:5], s[20:21]
	s_cbranch_execnz .LBB6_491
.LBB6_141:
	s_or_b64 exec, exec, s[4:5]
	s_and_saveexec_b64 s[4:5], s[18:19]
	s_xor_b64 s[4:5], exec, s[4:5]
	s_cbranch_execnz .LBB6_492
.LBB6_142:
	s_or_b64 exec, exec, s[4:5]
	s_and_saveexec_b64 s[4:5], s[14:15]
	s_cbranch_execz .LBB6_144
.LBB6_143:
	global_load_dword v2, v[2:3], off offset:4
	s_waitcnt vmcnt(0)
	v_alignbit_b32 v2, v2, v12, 30
	v_and_b32_e32 v13, 7, v2
.LBB6_144:
	s_or_b64 exec, exec, s[4:5]
	v_bfe_u32 v2, v4, 11, 3
	v_sub_u32_e32 v3, s24, v13
	v_add_u32_e32 v2, v3, v2
	v_cvt_f32_i32_e32 v2, v2
	v_mov_b32_e32 v3, s9
	v_add_co_u32_e64 v0, s[4:5], s8, v0
	v_cvt_f16_f32_e32 v2, v2
	v_addc_co_u32_e64 v1, s[4:5], v1, v3, s[4:5]
	s_waitcnt vmcnt(0)
	v_mov_b32_e32 v12, s13
	v_mul_f16_e32 v2, v11, v2
	global_store_short v[0:1], v2, off
	s_load_dword s4, s[6:7], 0x68
	v_mov_b32_e32 v11, s11
	s_mov_b64 s[18:19], 0
                                        ; implicit-def: $vgpr13
	s_waitcnt lgkmcnt(0)
	s_mul_i32 s5, s4, s16
	v_add_u32_e32 v2, s5, v5
	v_ashrrev_i32_e32 v3, 31, v2
	v_lshlrev_b64 v[2:3], 1, v[2:3]
	s_mul_i32 s14, s26, s4
	v_add_co_u32_e64 v2, s[4:5], s10, v2
	v_addc_co_u32_e64 v3, s[4:5], v11, v3, s[4:5]
	s_ashr_i32 s4, s14, 31
	s_lshr_b32 s4, s4, 27
	s_add_i32 s14, s14, s4
	s_ashr_i32 s4, s14, 5
	global_load_ushort v11, v[2:3], off
	v_add_u32_e32 v2, s4, v8
	v_ashrrev_i32_e32 v3, 31, v2
	v_lshlrev_b64 v[2:3], 2, v[2:3]
	s_mov_b64 s[14:15], 0
	v_add_co_u32_e64 v2, s[4:5], s12, v2
	v_addc_co_u32_e64 v3, s[4:5], v12, v3, s[4:5]
	global_load_dword v12, v[2:3], off
	v_cmp_lt_i32_e64 s[4:5], 20, v10
	s_and_saveexec_b64 s[20:21], s[4:5]
	s_xor_b64 s[20:21], exec, s[20:21]
	s_cbranch_execnz .LBB6_501
; %bb.145:
	s_andn2_saveexec_b64 s[4:5], s[20:21]
	s_cbranch_execnz .LBB6_504
.LBB6_146:
	s_or_b64 exec, exec, s[4:5]
	s_and_saveexec_b64 s[4:5], s[18:19]
	s_xor_b64 s[4:5], exec, s[4:5]
	s_cbranch_execnz .LBB6_505
.LBB6_147:
	s_or_b64 exec, exec, s[4:5]
	s_and_saveexec_b64 s[4:5], s[14:15]
	s_cbranch_execz .LBB6_149
.LBB6_148:
	global_load_dword v2, v[2:3], off offset:4
	s_waitcnt vmcnt(0)
	v_alignbit_b32 v2, v2, v12, 30
	v_and_b32_e32 v13, 7, v2
.LBB6_149:
	s_or_b64 exec, exec, s[4:5]
	v_bfe_u32 v2, v4, 14, 3
	v_sub_u32_e32 v3, s24, v13
	v_add_u32_e32 v2, v3, v2
	v_cvt_f32_i32_e32 v2, v2
	v_mov_b32_e32 v3, s9
	v_add_co_u32_e64 v0, s[4:5], s8, v0
	v_cvt_f16_f32_e32 v2, v2
	v_addc_co_u32_e64 v1, s[4:5], v1, v3, s[4:5]
	s_waitcnt vmcnt(0)
	v_mov_b32_e32 v12, s13
	v_mul_f16_e32 v2, v11, v2
	global_store_short v[0:1], v2, off
	s_load_dword s4, s[6:7], 0x6c
	v_mov_b32_e32 v11, s11
	s_mov_b64 s[18:19], 0
                                        ; implicit-def: $vgpr13
	s_waitcnt lgkmcnt(0)
	s_mul_i32 s5, s4, s16
	v_add_u32_e32 v2, s5, v5
	v_ashrrev_i32_e32 v3, 31, v2
	v_lshlrev_b64 v[2:3], 1, v[2:3]
	s_mul_i32 s14, s26, s4
	v_add_co_u32_e64 v2, s[4:5], s10, v2
	v_addc_co_u32_e64 v3, s[4:5], v11, v3, s[4:5]
	s_ashr_i32 s4, s14, 31
	s_lshr_b32 s4, s4, 27
	s_add_i32 s14, s14, s4
	s_ashr_i32 s4, s14, 5
	global_load_ushort v11, v[2:3], off
	v_add_u32_e32 v2, s4, v8
	v_ashrrev_i32_e32 v3, 31, v2
	v_lshlrev_b64 v[2:3], 2, v[2:3]
	s_mov_b64 s[14:15], 0
	v_add_co_u32_e64 v2, s[4:5], s12, v2
	v_addc_co_u32_e64 v3, s[4:5], v12, v3, s[4:5]
	global_load_dword v12, v[2:3], off
	v_cmp_lt_i32_e64 s[4:5], 20, v10
	s_and_saveexec_b64 s[20:21], s[4:5]
	s_xor_b64 s[20:21], exec, s[20:21]
	s_cbranch_execnz .LBB6_514
; %bb.150:
	s_andn2_saveexec_b64 s[4:5], s[20:21]
	s_cbranch_execnz .LBB6_517
.LBB6_151:
	s_or_b64 exec, exec, s[4:5]
	s_and_saveexec_b64 s[4:5], s[18:19]
	s_xor_b64 s[4:5], exec, s[4:5]
	s_cbranch_execnz .LBB6_518
.LBB6_152:
	s_or_b64 exec, exec, s[4:5]
	s_and_saveexec_b64 s[4:5], s[14:15]
	s_cbranch_execz .LBB6_154
.LBB6_153:
	global_load_dword v2, v[2:3], off offset:4
	s_waitcnt vmcnt(0)
	v_alignbit_b32 v2, v2, v12, 30
	v_and_b32_e32 v13, 7, v2
.LBB6_154:
	s_or_b64 exec, exec, s[4:5]
	v_bfe_u32 v2, v4, 17, 3
	v_sub_u32_e32 v3, s24, v13
	v_add_u32_e32 v2, v3, v2
	v_cvt_f32_i32_e32 v2, v2
	v_mov_b32_e32 v3, s9
	v_add_co_u32_e64 v0, s[4:5], s8, v0
	v_cvt_f16_f32_e32 v2, v2
	v_addc_co_u32_e64 v1, s[4:5], v1, v3, s[4:5]
	s_waitcnt vmcnt(0)
	v_mov_b32_e32 v12, s13
	v_mul_f16_e32 v2, v11, v2
	global_store_short v[0:1], v2, off
	s_load_dword s4, s[6:7], 0x70
	v_mov_b32_e32 v11, s11
	s_mov_b64 s[18:19], 0
                                        ; implicit-def: $vgpr13
	s_waitcnt lgkmcnt(0)
	s_mul_i32 s5, s4, s16
	v_add_u32_e32 v2, s5, v5
	v_ashrrev_i32_e32 v3, 31, v2
	v_lshlrev_b64 v[2:3], 1, v[2:3]
	s_mul_i32 s14, s26, s4
	v_add_co_u32_e64 v2, s[4:5], s10, v2
	v_addc_co_u32_e64 v3, s[4:5], v11, v3, s[4:5]
	s_ashr_i32 s4, s14, 31
	s_lshr_b32 s4, s4, 27
	s_add_i32 s14, s14, s4
	s_ashr_i32 s4, s14, 5
	global_load_ushort v11, v[2:3], off
	v_add_u32_e32 v2, s4, v8
	v_ashrrev_i32_e32 v3, 31, v2
	v_lshlrev_b64 v[2:3], 2, v[2:3]
	s_mov_b64 s[14:15], 0
	v_add_co_u32_e64 v2, s[4:5], s12, v2
	v_addc_co_u32_e64 v3, s[4:5], v12, v3, s[4:5]
	global_load_dword v12, v[2:3], off
	v_cmp_lt_i32_e64 s[4:5], 20, v10
	s_and_saveexec_b64 s[20:21], s[4:5]
	s_xor_b64 s[20:21], exec, s[20:21]
	s_cbranch_execnz .LBB6_527
; %bb.155:
	s_andn2_saveexec_b64 s[4:5], s[20:21]
	s_cbranch_execnz .LBB6_530
.LBB6_156:
	s_or_b64 exec, exec, s[4:5]
	s_and_saveexec_b64 s[4:5], s[18:19]
	s_xor_b64 s[4:5], exec, s[4:5]
	s_cbranch_execnz .LBB6_531
.LBB6_157:
	s_or_b64 exec, exec, s[4:5]
	s_and_saveexec_b64 s[4:5], s[14:15]
	s_cbranch_execz .LBB6_159
.LBB6_158:
	global_load_dword v2, v[2:3], off offset:4
	s_waitcnt vmcnt(0)
	v_alignbit_b32 v2, v2, v12, 30
	v_and_b32_e32 v13, 7, v2
.LBB6_159:
	s_or_b64 exec, exec, s[4:5]
	v_bfe_u32 v2, v4, 20, 3
	v_sub_u32_e32 v3, s24, v13
	v_add_u32_e32 v2, v3, v2
	v_cvt_f32_i32_e32 v2, v2
	v_mov_b32_e32 v3, s9
	v_add_co_u32_e64 v0, s[4:5], s8, v0
	v_cvt_f16_f32_e32 v2, v2
	v_addc_co_u32_e64 v1, s[4:5], v1, v3, s[4:5]
	s_waitcnt vmcnt(0)
	v_mov_b32_e32 v12, s13
	v_mul_f16_e32 v2, v11, v2
	global_store_short v[0:1], v2, off
	s_load_dword s4, s[6:7], 0x74
	v_mov_b32_e32 v11, s11
	s_mov_b64 s[18:19], 0
                                        ; implicit-def: $vgpr13
	s_waitcnt lgkmcnt(0)
	s_mul_i32 s5, s4, s16
	v_add_u32_e32 v2, s5, v5
	v_ashrrev_i32_e32 v3, 31, v2
	v_lshlrev_b64 v[2:3], 1, v[2:3]
	s_mul_i32 s14, s26, s4
	v_add_co_u32_e64 v2, s[4:5], s10, v2
	v_addc_co_u32_e64 v3, s[4:5], v11, v3, s[4:5]
	s_ashr_i32 s4, s14, 31
	s_lshr_b32 s4, s4, 27
	s_add_i32 s14, s14, s4
	s_ashr_i32 s4, s14, 5
	global_load_ushort v11, v[2:3], off
	v_add_u32_e32 v2, s4, v8
	v_ashrrev_i32_e32 v3, 31, v2
	v_lshlrev_b64 v[2:3], 2, v[2:3]
	s_mov_b64 s[14:15], 0
	v_add_co_u32_e64 v2, s[4:5], s12, v2
	v_addc_co_u32_e64 v3, s[4:5], v12, v3, s[4:5]
	global_load_dword v12, v[2:3], off
	v_cmp_lt_i32_e64 s[4:5], 20, v10
	s_and_saveexec_b64 s[20:21], s[4:5]
	s_xor_b64 s[20:21], exec, s[20:21]
	s_cbranch_execnz .LBB6_540
; %bb.160:
	s_andn2_saveexec_b64 s[4:5], s[20:21]
	s_cbranch_execnz .LBB6_543
.LBB6_161:
	s_or_b64 exec, exec, s[4:5]
	s_and_saveexec_b64 s[4:5], s[18:19]
	s_xor_b64 s[4:5], exec, s[4:5]
	s_cbranch_execnz .LBB6_544
.LBB6_162:
	s_or_b64 exec, exec, s[4:5]
	s_and_saveexec_b64 s[4:5], s[14:15]
	s_cbranch_execz .LBB6_164
.LBB6_163:
	global_load_dword v2, v[2:3], off offset:4
	s_waitcnt vmcnt(0)
	v_alignbit_b32 v2, v2, v12, 30
	v_and_b32_e32 v13, 7, v2
.LBB6_164:
	s_or_b64 exec, exec, s[4:5]
	v_bfe_u32 v2, v4, 23, 3
	v_sub_u32_e32 v3, s24, v13
	v_add_u32_e32 v2, v3, v2
	v_cvt_f32_i32_e32 v2, v2
	v_mov_b32_e32 v3, s9
	v_add_co_u32_e64 v0, s[4:5], s8, v0
	v_cvt_f16_f32_e32 v2, v2
	v_addc_co_u32_e64 v1, s[4:5], v1, v3, s[4:5]
	s_waitcnt vmcnt(0)
	v_mov_b32_e32 v12, s13
	v_mul_f16_e32 v2, v11, v2
	global_store_short v[0:1], v2, off
	s_load_dword s4, s[6:7], 0x78
	v_mov_b32_e32 v11, s11
	s_mov_b64 s[18:19], 0
                                        ; implicit-def: $vgpr13
	s_waitcnt lgkmcnt(0)
	s_mul_i32 s5, s4, s16
	v_add_u32_e32 v2, s5, v5
	v_ashrrev_i32_e32 v3, 31, v2
	v_lshlrev_b64 v[2:3], 1, v[2:3]
	s_mul_i32 s14, s26, s4
	v_add_co_u32_e64 v2, s[4:5], s10, v2
	v_addc_co_u32_e64 v3, s[4:5], v11, v3, s[4:5]
	s_ashr_i32 s4, s14, 31
	s_lshr_b32 s4, s4, 27
	s_add_i32 s14, s14, s4
	s_ashr_i32 s4, s14, 5
	global_load_ushort v11, v[2:3], off
	v_add_u32_e32 v2, s4, v8
	v_ashrrev_i32_e32 v3, 31, v2
	v_lshlrev_b64 v[2:3], 2, v[2:3]
	s_mov_b64 s[14:15], 0
	v_add_co_u32_e64 v2, s[4:5], s12, v2
	v_addc_co_u32_e64 v3, s[4:5], v12, v3, s[4:5]
	global_load_dword v12, v[2:3], off
	v_cmp_lt_i32_e64 s[4:5], 20, v10
	s_and_saveexec_b64 s[20:21], s[4:5]
	s_xor_b64 s[20:21], exec, s[20:21]
	s_cbranch_execnz .LBB6_553
; %bb.165:
	s_andn2_saveexec_b64 s[4:5], s[20:21]
	s_cbranch_execnz .LBB6_556
.LBB6_166:
	s_or_b64 exec, exec, s[4:5]
	s_and_saveexec_b64 s[4:5], s[18:19]
	s_xor_b64 s[4:5], exec, s[4:5]
	s_cbranch_execnz .LBB6_557
.LBB6_167:
	s_or_b64 exec, exec, s[4:5]
	s_and_saveexec_b64 s[4:5], s[14:15]
	s_cbranch_execz .LBB6_169
.LBB6_168:
	global_load_dword v2, v[2:3], off offset:4
	s_waitcnt vmcnt(0)
	v_alignbit_b32 v2, v2, v12, 30
	v_and_b32_e32 v13, 7, v2
.LBB6_169:
	s_or_b64 exec, exec, s[4:5]
	v_bfe_u32 v2, v4, 26, 3
	v_sub_u32_e32 v3, s24, v13
	v_add_u32_e32 v2, v3, v2
	v_cvt_f32_i32_e32 v2, v2
	v_mov_b32_e32 v3, s9
	v_add_co_u32_e64 v0, s[4:5], s8, v0
	v_cvt_f16_f32_e32 v2, v2
	v_addc_co_u32_e64 v1, s[4:5], v1, v3, s[4:5]
	s_waitcnt vmcnt(1)
	v_mul_f16_e32 v2, v11, v2
	global_store_short v[0:1], v2, off
	s_load_dword s4, s[6:7], 0x7c
	v_mov_b32_e32 v11, s11
	s_waitcnt lgkmcnt(0)
	s_mul_i32 s5, s4, s16
	v_add_u32_e32 v2, s5, v5
	v_ashrrev_i32_e32 v3, 31, v2
	v_lshlrev_b64 v[2:3], 1, v[2:3]
	s_mul_i32 s6, s26, s4
	v_add_co_u32_e64 v2, s[4:5], s10, v2
	v_addc_co_u32_e64 v3, s[4:5], v11, v3, s[4:5]
	s_ashr_i32 s4, s6, 31
	s_lshr_b32 s4, s4, 27
	s_add_i32 s6, s6, s4
	s_ashr_i32 s4, s6, 5
	global_load_ushort v5, v[2:3], off
	v_add_u32_e32 v2, s4, v8
	v_ashrrev_i32_e32 v3, 31, v2
	v_lshlrev_b64 v[2:3], 2, v[2:3]
	v_mov_b32_e32 v8, s13
	v_add_co_u32_e64 v2, s[4:5], s12, v2
	v_addc_co_u32_e64 v3, s[4:5], v8, v3, s[4:5]
	global_load_dword v8, v[2:3], off
	v_cmp_lt_i32_e64 s[4:5], 20, v10
	s_mov_b64 s[6:7], 0
	s_mov_b64 s[10:11], 0
                                        ; implicit-def: $vgpr11
	s_and_saveexec_b64 s[12:13], s[4:5]
	s_xor_b64 s[12:13], exec, s[12:13]
	s_cbranch_execnz .LBB6_566
; %bb.170:
	s_andn2_saveexec_b64 s[4:5], s[12:13]
	s_cbranch_execnz .LBB6_569
.LBB6_171:
	s_or_b64 exec, exec, s[4:5]
	s_and_saveexec_b64 s[2:3], s[10:11]
	s_xor_b64 s[2:3], exec, s[2:3]
	s_cbranch_execnz .LBB6_570
.LBB6_172:
	s_or_b64 exec, exec, s[2:3]
	s_and_saveexec_b64 s[0:1], s[6:7]
	s_cbranch_execz .LBB6_174
.LBB6_173:
	global_load_dword v2, v[2:3], off offset:4
	s_waitcnt vmcnt(0)
	v_alignbit_b32 v2, v2, v8, 30
	v_and_b32_e32 v11, 7, v2
.LBB6_174:
	s_or_b64 exec, exec, s[0:1]
	v_lshrrev_b32_e32 v2, 29, v4
	v_sub_u32_e32 v3, s24, v11
	v_add_u32_e32 v2, v3, v2
	v_cvt_f32_i32_e32 v2, v2
	v_mov_b32_e32 v3, s9
	v_add_co_u32_e32 v0, vcc, s8, v0
	v_cvt_f16_f32_e32 v2, v2
	v_addc_co_u32_e32 v1, vcc, v1, v3, vcc
	s_waitcnt vmcnt(1)
	v_mul_f16_e32 v2, v5, v2
	global_store_short v[0:1], v2, off
.LBB6_175:
	s_endpgm
.LBB6_176:
	v_cmp_eq_u32_e64 s[4:5], 21, v10
	s_mov_b64 s[14:15], -1
                                        ; implicit-def: $vgpr15
	s_and_saveexec_b64 s[20:21], s[4:5]
	s_cbranch_execz .LBB6_178
; %bb.177:
	global_load_dword v15, v[2:3], off offset:4
	s_xor_b64 s[14:15], exec, -1
	s_waitcnt vmcnt(0)
	v_alignbit_b32 v15, v15, v14, 31
	v_and_b32_e32 v15, 7, v15
.LBB6_178:
	s_or_b64 exec, exec, s[20:21]
	s_and_b64 s[14:15], s[14:15], exec
	s_andn2_saveexec_b64 s[4:5], s[18:19]
	s_cbranch_execz .LBB6_21
.LBB6_179:
	s_andn2_b64 s[14:15], s[14:15], exec
	s_and_b64 s[18:19], s[2:3], exec
	s_mov_b64 s[8:9], exec
	s_or_b64 s[14:15], s[14:15], s[18:19]
	s_or_b64 exec, exec, s[4:5]
	s_and_saveexec_b64 s[4:5], s[14:15]
	s_xor_b64 s[4:5], exec, s[4:5]
	s_cbranch_execz .LBB6_22
.LBB6_180:
                                        ; implicit-def: $vgpr15
	s_and_saveexec_b64 s[14:15], s[0:1]
	s_xor_b64 s[14:15], exec, s[14:15]
	s_cbranch_execz .LBB6_186
; %bb.181:
                                        ; implicit-def: $vgpr15
	s_and_saveexec_b64 s[18:19], vcc
	s_xor_b64 s[18:19], exec, s[18:19]
	s_cbranch_execz .LBB6_183
; %bb.182:
	s_waitcnt vmcnt(0)
	v_bfe_u32 v15, v14, v9, 3
.LBB6_183:
	s_andn2_saveexec_b64 s[18:19], s[18:19]
	s_cbranch_execz .LBB6_185
; %bb.184:
	s_waitcnt vmcnt(0)
	v_bfe_u32 v15, v14, v6, 3
.LBB6_185:
	s_or_b64 exec, exec, s[18:19]
.LBB6_186:
	s_andn2_saveexec_b64 s[14:15], s[14:15]
	s_cbranch_execz .LBB6_188
; %bb.187:
	s_waitcnt vmcnt(0)
	v_bfe_u32 v15, v14, v7, 3
.LBB6_188:
	s_or_b64 exec, exec, s[14:15]
	s_andn2_b64 s[8:9], s[8:9], exec
	s_or_b64 exec, exec, s[4:5]
	s_and_saveexec_b64 s[4:5], s[8:9]
	s_cbranch_execnz .LBB6_23
	s_branch .LBB6_24
.LBB6_189:
	v_cmp_eq_u32_e64 s[4:5], 21, v10
	s_mov_b64 s[18:19], -1
                                        ; implicit-def: $vgpr15
	s_and_saveexec_b64 s[22:23], s[4:5]
	s_cbranch_execz .LBB6_191
; %bb.190:
	global_load_dword v15, v[2:3], off offset:4
	s_xor_b64 s[18:19], exec, -1
	s_waitcnt vmcnt(0)
	v_alignbit_b32 v15, v15, v14, 31
	v_and_b32_e32 v15, 7, v15
.LBB6_191:
	s_or_b64 exec, exec, s[22:23]
	s_and_b64 s[18:19], s[18:19], exec
	s_andn2_saveexec_b64 s[4:5], s[20:21]
	s_cbranch_execz .LBB6_26
.LBB6_192:
	s_andn2_b64 s[18:19], s[18:19], exec
	s_and_b64 s[20:21], s[2:3], exec
	s_mov_b64 s[14:15], exec
	s_or_b64 s[18:19], s[18:19], s[20:21]
	s_or_b64 exec, exec, s[4:5]
	s_and_saveexec_b64 s[4:5], s[18:19]
	s_xor_b64 s[4:5], exec, s[4:5]
	s_cbranch_execz .LBB6_27
.LBB6_193:
                                        ; implicit-def: $vgpr15
	s_and_saveexec_b64 s[18:19], s[0:1]
	s_xor_b64 s[18:19], exec, s[18:19]
	s_cbranch_execz .LBB6_199
; %bb.194:
                                        ; implicit-def: $vgpr15
	s_and_saveexec_b64 s[20:21], vcc
	s_xor_b64 s[20:21], exec, s[20:21]
	s_cbranch_execz .LBB6_196
; %bb.195:
	s_waitcnt vmcnt(0)
	v_bfe_u32 v15, v14, v9, 3
.LBB6_196:
	s_andn2_saveexec_b64 s[20:21], s[20:21]
	s_cbranch_execz .LBB6_198
; %bb.197:
	s_waitcnt vmcnt(0)
	v_bfe_u32 v15, v14, v6, 3
.LBB6_198:
	s_or_b64 exec, exec, s[20:21]
.LBB6_199:
	s_andn2_saveexec_b64 s[18:19], s[18:19]
	s_cbranch_execz .LBB6_201
; %bb.200:
	s_waitcnt vmcnt(0)
	v_bfe_u32 v15, v14, v7, 3
.LBB6_201:
	s_or_b64 exec, exec, s[18:19]
	s_andn2_b64 s[14:15], s[14:15], exec
	s_or_b64 exec, exec, s[4:5]
	s_and_saveexec_b64 s[4:5], s[14:15]
	s_cbranch_execnz .LBB6_28
	s_branch .LBB6_29
.LBB6_202:
	v_cmp_eq_u32_e64 s[4:5], 21, v10
	s_mov_b64 s[18:19], -1
                                        ; implicit-def: $vgpr15
	s_and_saveexec_b64 s[22:23], s[4:5]
	s_cbranch_execz .LBB6_204
; %bb.203:
	global_load_dword v15, v[2:3], off offset:4
	s_xor_b64 s[18:19], exec, -1
	s_waitcnt vmcnt(0)
	v_alignbit_b32 v15, v15, v14, 31
	v_and_b32_e32 v15, 7, v15
.LBB6_204:
	s_or_b64 exec, exec, s[22:23]
	s_and_b64 s[18:19], s[18:19], exec
	s_andn2_saveexec_b64 s[4:5], s[20:21]
	s_cbranch_execz .LBB6_31
.LBB6_205:
	s_andn2_b64 s[18:19], s[18:19], exec
	s_and_b64 s[20:21], s[2:3], exec
	s_mov_b64 s[14:15], exec
	s_or_b64 s[18:19], s[18:19], s[20:21]
	s_or_b64 exec, exec, s[4:5]
	s_and_saveexec_b64 s[4:5], s[18:19]
	s_xor_b64 s[4:5], exec, s[4:5]
	s_cbranch_execz .LBB6_32
.LBB6_206:
                                        ; implicit-def: $vgpr15
	s_and_saveexec_b64 s[18:19], s[0:1]
	s_xor_b64 s[18:19], exec, s[18:19]
	s_cbranch_execz .LBB6_212
; %bb.207:
                                        ; implicit-def: $vgpr15
	s_and_saveexec_b64 s[20:21], vcc
	s_xor_b64 s[20:21], exec, s[20:21]
	s_cbranch_execz .LBB6_209
; %bb.208:
	s_waitcnt vmcnt(0)
	v_bfe_u32 v15, v14, v9, 3
.LBB6_209:
	s_andn2_saveexec_b64 s[20:21], s[20:21]
	s_cbranch_execz .LBB6_211
; %bb.210:
	s_waitcnt vmcnt(0)
	v_bfe_u32 v15, v14, v6, 3
.LBB6_211:
	s_or_b64 exec, exec, s[20:21]
.LBB6_212:
	s_andn2_saveexec_b64 s[18:19], s[18:19]
	s_cbranch_execz .LBB6_214
; %bb.213:
	s_waitcnt vmcnt(0)
	v_bfe_u32 v15, v14, v7, 3
.LBB6_214:
	s_or_b64 exec, exec, s[18:19]
	s_andn2_b64 s[14:15], s[14:15], exec
	s_or_b64 exec, exec, s[4:5]
	s_and_saveexec_b64 s[4:5], s[14:15]
	s_cbranch_execnz .LBB6_33
	s_branch .LBB6_34
.LBB6_215:
	v_cmp_eq_u32_e64 s[4:5], 21, v10
	s_mov_b64 s[18:19], -1
                                        ; implicit-def: $vgpr15
	s_and_saveexec_b64 s[22:23], s[4:5]
	s_cbranch_execz .LBB6_217
; %bb.216:
	global_load_dword v15, v[2:3], off offset:4
	s_xor_b64 s[18:19], exec, -1
	s_waitcnt vmcnt(0)
	v_alignbit_b32 v15, v15, v14, 31
	v_and_b32_e32 v15, 7, v15
.LBB6_217:
	s_or_b64 exec, exec, s[22:23]
	s_and_b64 s[18:19], s[18:19], exec
	s_andn2_saveexec_b64 s[4:5], s[20:21]
	s_cbranch_execz .LBB6_36
.LBB6_218:
	s_andn2_b64 s[18:19], s[18:19], exec
	s_and_b64 s[20:21], s[2:3], exec
	s_mov_b64 s[14:15], exec
	s_or_b64 s[18:19], s[18:19], s[20:21]
	s_or_b64 exec, exec, s[4:5]
	s_and_saveexec_b64 s[4:5], s[18:19]
	s_xor_b64 s[4:5], exec, s[4:5]
	s_cbranch_execz .LBB6_37
.LBB6_219:
                                        ; implicit-def: $vgpr15
	s_and_saveexec_b64 s[18:19], s[0:1]
	s_xor_b64 s[18:19], exec, s[18:19]
	s_cbranch_execz .LBB6_225
; %bb.220:
                                        ; implicit-def: $vgpr15
	s_and_saveexec_b64 s[20:21], vcc
	s_xor_b64 s[20:21], exec, s[20:21]
	s_cbranch_execz .LBB6_222
; %bb.221:
	s_waitcnt vmcnt(0)
	v_bfe_u32 v15, v14, v9, 3
.LBB6_222:
	s_andn2_saveexec_b64 s[20:21], s[20:21]
	s_cbranch_execz .LBB6_224
; %bb.223:
	s_waitcnt vmcnt(0)
	v_bfe_u32 v15, v14, v6, 3
.LBB6_224:
	s_or_b64 exec, exec, s[20:21]
.LBB6_225:
	s_andn2_saveexec_b64 s[18:19], s[18:19]
	s_cbranch_execz .LBB6_227
; %bb.226:
	s_waitcnt vmcnt(0)
	v_bfe_u32 v15, v14, v7, 3
.LBB6_227:
	s_or_b64 exec, exec, s[18:19]
	s_andn2_b64 s[14:15], s[14:15], exec
	s_or_b64 exec, exec, s[4:5]
	s_and_saveexec_b64 s[4:5], s[14:15]
	s_cbranch_execnz .LBB6_38
	s_branch .LBB6_39
.LBB6_228:
	v_cmp_eq_u32_e64 s[4:5], 21, v10
	s_mov_b64 s[18:19], -1
                                        ; implicit-def: $vgpr15
	s_and_saveexec_b64 s[22:23], s[4:5]
	s_cbranch_execz .LBB6_230
; %bb.229:
	global_load_dword v15, v[2:3], off offset:4
	s_xor_b64 s[18:19], exec, -1
	s_waitcnt vmcnt(0)
	v_alignbit_b32 v15, v15, v14, 31
	v_and_b32_e32 v15, 7, v15
.LBB6_230:
	s_or_b64 exec, exec, s[22:23]
	s_and_b64 s[18:19], s[18:19], exec
	s_andn2_saveexec_b64 s[4:5], s[20:21]
	s_cbranch_execz .LBB6_41
.LBB6_231:
	s_andn2_b64 s[18:19], s[18:19], exec
	s_and_b64 s[20:21], s[2:3], exec
	s_mov_b64 s[14:15], exec
	s_or_b64 s[18:19], s[18:19], s[20:21]
	s_or_b64 exec, exec, s[4:5]
	s_and_saveexec_b64 s[4:5], s[18:19]
	s_xor_b64 s[4:5], exec, s[4:5]
	s_cbranch_execz .LBB6_42
.LBB6_232:
                                        ; implicit-def: $vgpr15
	s_and_saveexec_b64 s[18:19], s[0:1]
	s_xor_b64 s[18:19], exec, s[18:19]
	s_cbranch_execz .LBB6_238
; %bb.233:
                                        ; implicit-def: $vgpr15
	s_and_saveexec_b64 s[20:21], vcc
	s_xor_b64 s[20:21], exec, s[20:21]
	s_cbranch_execz .LBB6_235
; %bb.234:
	s_waitcnt vmcnt(0)
	v_bfe_u32 v15, v14, v9, 3
.LBB6_235:
	s_andn2_saveexec_b64 s[20:21], s[20:21]
	s_cbranch_execz .LBB6_237
; %bb.236:
	s_waitcnt vmcnt(0)
	v_bfe_u32 v15, v14, v6, 3
.LBB6_237:
	s_or_b64 exec, exec, s[20:21]
.LBB6_238:
	s_andn2_saveexec_b64 s[18:19], s[18:19]
	s_cbranch_execz .LBB6_240
; %bb.239:
	s_waitcnt vmcnt(0)
	v_bfe_u32 v15, v14, v7, 3
.LBB6_240:
	s_or_b64 exec, exec, s[18:19]
	s_andn2_b64 s[14:15], s[14:15], exec
	s_or_b64 exec, exec, s[4:5]
	s_and_saveexec_b64 s[4:5], s[14:15]
	s_cbranch_execnz .LBB6_43
	s_branch .LBB6_44
.LBB6_241:
	v_cmp_eq_u32_e64 s[4:5], 21, v10
	s_mov_b64 s[18:19], -1
                                        ; implicit-def: $vgpr15
	s_and_saveexec_b64 s[22:23], s[4:5]
	s_cbranch_execz .LBB6_243
; %bb.242:
	global_load_dword v15, v[2:3], off offset:4
	s_xor_b64 s[18:19], exec, -1
	s_waitcnt vmcnt(0)
	v_alignbit_b32 v15, v15, v14, 31
	v_and_b32_e32 v15, 7, v15
.LBB6_243:
	s_or_b64 exec, exec, s[22:23]
	s_and_b64 s[18:19], s[18:19], exec
	s_andn2_saveexec_b64 s[4:5], s[20:21]
	s_cbranch_execz .LBB6_46
.LBB6_244:
	s_andn2_b64 s[18:19], s[18:19], exec
	s_and_b64 s[20:21], s[2:3], exec
	s_mov_b64 s[14:15], exec
	s_or_b64 s[18:19], s[18:19], s[20:21]
	s_or_b64 exec, exec, s[4:5]
	s_and_saveexec_b64 s[4:5], s[18:19]
	s_xor_b64 s[4:5], exec, s[4:5]
	s_cbranch_execz .LBB6_47
.LBB6_245:
                                        ; implicit-def: $vgpr15
	s_and_saveexec_b64 s[18:19], s[0:1]
	s_xor_b64 s[18:19], exec, s[18:19]
	s_cbranch_execz .LBB6_251
; %bb.246:
                                        ; implicit-def: $vgpr15
	s_and_saveexec_b64 s[20:21], vcc
	s_xor_b64 s[20:21], exec, s[20:21]
	s_cbranch_execz .LBB6_248
; %bb.247:
	s_waitcnt vmcnt(0)
	v_bfe_u32 v15, v14, v9, 3
.LBB6_248:
	s_andn2_saveexec_b64 s[20:21], s[20:21]
	s_cbranch_execz .LBB6_250
; %bb.249:
	s_waitcnt vmcnt(0)
	v_bfe_u32 v15, v14, v6, 3
.LBB6_250:
	s_or_b64 exec, exec, s[20:21]
.LBB6_251:
	s_andn2_saveexec_b64 s[18:19], s[18:19]
	s_cbranch_execz .LBB6_253
; %bb.252:
	s_waitcnt vmcnt(0)
	v_bfe_u32 v15, v14, v7, 3
.LBB6_253:
	s_or_b64 exec, exec, s[18:19]
	s_andn2_b64 s[14:15], s[14:15], exec
	s_or_b64 exec, exec, s[4:5]
	s_and_saveexec_b64 s[4:5], s[14:15]
	s_cbranch_execnz .LBB6_48
	s_branch .LBB6_49
.LBB6_254:
	v_cmp_eq_u32_e64 s[4:5], 21, v10
	s_mov_b64 s[18:19], -1
                                        ; implicit-def: $vgpr15
	s_and_saveexec_b64 s[22:23], s[4:5]
	s_cbranch_execz .LBB6_256
; %bb.255:
	global_load_dword v15, v[2:3], off offset:4
	s_xor_b64 s[18:19], exec, -1
	s_waitcnt vmcnt(0)
	v_alignbit_b32 v15, v15, v14, 31
	v_and_b32_e32 v15, 7, v15
.LBB6_256:
	s_or_b64 exec, exec, s[22:23]
	s_and_b64 s[18:19], s[18:19], exec
	s_andn2_saveexec_b64 s[4:5], s[20:21]
	s_cbranch_execz .LBB6_51
.LBB6_257:
	s_andn2_b64 s[18:19], s[18:19], exec
	s_and_b64 s[20:21], s[2:3], exec
	s_mov_b64 s[14:15], exec
	s_or_b64 s[18:19], s[18:19], s[20:21]
	s_or_b64 exec, exec, s[4:5]
	s_and_saveexec_b64 s[4:5], s[18:19]
	s_xor_b64 s[4:5], exec, s[4:5]
	s_cbranch_execz .LBB6_52
.LBB6_258:
                                        ; implicit-def: $vgpr15
	s_and_saveexec_b64 s[18:19], s[0:1]
	s_xor_b64 s[18:19], exec, s[18:19]
	s_cbranch_execz .LBB6_264
; %bb.259:
                                        ; implicit-def: $vgpr15
	s_and_saveexec_b64 s[20:21], vcc
	s_xor_b64 s[20:21], exec, s[20:21]
	s_cbranch_execz .LBB6_261
; %bb.260:
	s_waitcnt vmcnt(0)
	v_bfe_u32 v15, v14, v9, 3
.LBB6_261:
	s_andn2_saveexec_b64 s[20:21], s[20:21]
	s_cbranch_execz .LBB6_263
; %bb.262:
	s_waitcnt vmcnt(0)
	v_bfe_u32 v15, v14, v6, 3
.LBB6_263:
	s_or_b64 exec, exec, s[20:21]
.LBB6_264:
	s_andn2_saveexec_b64 s[18:19], s[18:19]
	s_cbranch_execz .LBB6_266
; %bb.265:
	s_waitcnt vmcnt(0)
	v_bfe_u32 v15, v14, v7, 3
.LBB6_266:
	s_or_b64 exec, exec, s[18:19]
	s_andn2_b64 s[14:15], s[14:15], exec
	s_or_b64 exec, exec, s[4:5]
	s_and_saveexec_b64 s[4:5], s[14:15]
	s_cbranch_execnz .LBB6_53
	s_branch .LBB6_54
.LBB6_267:
	v_cmp_eq_u32_e64 s[4:5], 21, v10
	s_mov_b64 s[18:19], -1
                                        ; implicit-def: $vgpr15
	s_and_saveexec_b64 s[22:23], s[4:5]
	s_cbranch_execz .LBB6_269
; %bb.268:
	global_load_dword v15, v[2:3], off offset:4
	s_xor_b64 s[18:19], exec, -1
	s_waitcnt vmcnt(0)
	v_alignbit_b32 v15, v15, v14, 31
	v_and_b32_e32 v15, 7, v15
.LBB6_269:
	s_or_b64 exec, exec, s[22:23]
	s_and_b64 s[18:19], s[18:19], exec
	s_andn2_saveexec_b64 s[4:5], s[20:21]
	s_cbranch_execz .LBB6_56
.LBB6_270:
	s_andn2_b64 s[18:19], s[18:19], exec
	s_and_b64 s[20:21], s[2:3], exec
	s_mov_b64 s[14:15], exec
	s_or_b64 s[18:19], s[18:19], s[20:21]
	s_or_b64 exec, exec, s[4:5]
	s_and_saveexec_b64 s[4:5], s[18:19]
	s_xor_b64 s[4:5], exec, s[4:5]
	s_cbranch_execz .LBB6_57
.LBB6_271:
                                        ; implicit-def: $vgpr15
	s_and_saveexec_b64 s[18:19], s[0:1]
	s_xor_b64 s[18:19], exec, s[18:19]
	s_cbranch_execz .LBB6_277
; %bb.272:
                                        ; implicit-def: $vgpr15
	s_and_saveexec_b64 s[20:21], vcc
	s_xor_b64 s[20:21], exec, s[20:21]
	s_cbranch_execz .LBB6_274
; %bb.273:
	s_waitcnt vmcnt(0)
	v_bfe_u32 v15, v14, v9, 3
.LBB6_274:
	s_andn2_saveexec_b64 s[20:21], s[20:21]
	s_cbranch_execz .LBB6_276
; %bb.275:
	s_waitcnt vmcnt(0)
	v_bfe_u32 v15, v14, v6, 3
.LBB6_276:
	s_or_b64 exec, exec, s[20:21]
.LBB6_277:
	s_andn2_saveexec_b64 s[18:19], s[18:19]
	s_cbranch_execz .LBB6_279
; %bb.278:
	s_waitcnt vmcnt(0)
	v_bfe_u32 v15, v14, v7, 3
.LBB6_279:
	s_or_b64 exec, exec, s[18:19]
	s_andn2_b64 s[14:15], s[14:15], exec
	s_or_b64 exec, exec, s[4:5]
	s_and_saveexec_b64 s[4:5], s[14:15]
	s_cbranch_execnz .LBB6_58
	s_branch .LBB6_59
.LBB6_280:
	v_cmp_eq_u32_e64 s[4:5], 21, v10
	s_mov_b64 s[18:19], -1
                                        ; implicit-def: $vgpr15
	s_and_saveexec_b64 s[22:23], s[4:5]
	s_cbranch_execz .LBB6_282
; %bb.281:
	global_load_dword v15, v[2:3], off offset:4
	s_xor_b64 s[18:19], exec, -1
	s_waitcnt vmcnt(0)
	v_alignbit_b32 v15, v15, v14, 31
	v_and_b32_e32 v15, 7, v15
.LBB6_282:
	s_or_b64 exec, exec, s[22:23]
	s_and_b64 s[18:19], s[18:19], exec
	s_andn2_saveexec_b64 s[4:5], s[20:21]
	s_cbranch_execz .LBB6_61
.LBB6_283:
	s_andn2_b64 s[18:19], s[18:19], exec
	s_and_b64 s[20:21], s[2:3], exec
	s_mov_b64 s[14:15], exec
	s_or_b64 s[18:19], s[18:19], s[20:21]
	s_or_b64 exec, exec, s[4:5]
	s_and_saveexec_b64 s[4:5], s[18:19]
	s_xor_b64 s[4:5], exec, s[4:5]
	s_cbranch_execz .LBB6_62
.LBB6_284:
                                        ; implicit-def: $vgpr15
	s_and_saveexec_b64 s[18:19], s[0:1]
	s_xor_b64 s[18:19], exec, s[18:19]
	s_cbranch_execz .LBB6_290
; %bb.285:
                                        ; implicit-def: $vgpr15
	s_and_saveexec_b64 s[20:21], vcc
	s_xor_b64 s[20:21], exec, s[20:21]
	s_cbranch_execz .LBB6_287
; %bb.286:
	s_waitcnt vmcnt(0)
	v_bfe_u32 v15, v14, v9, 3
.LBB6_287:
	s_andn2_saveexec_b64 s[20:21], s[20:21]
	s_cbranch_execz .LBB6_289
; %bb.288:
	s_waitcnt vmcnt(0)
	v_bfe_u32 v15, v14, v6, 3
.LBB6_289:
	s_or_b64 exec, exec, s[20:21]
.LBB6_290:
	s_andn2_saveexec_b64 s[18:19], s[18:19]
	s_cbranch_execz .LBB6_292
; %bb.291:
	s_waitcnt vmcnt(0)
	v_bfe_u32 v15, v14, v7, 3
.LBB6_292:
	s_or_b64 exec, exec, s[18:19]
	s_andn2_b64 s[14:15], s[14:15], exec
	s_or_b64 exec, exec, s[4:5]
	s_and_saveexec_b64 s[4:5], s[14:15]
	s_cbranch_execnz .LBB6_63
	s_branch .LBB6_64
.LBB6_293:
	v_cmp_eq_u32_e64 s[4:5], 21, v10
	s_mov_b64 s[18:19], -1
                                        ; implicit-def: $vgpr15
	s_and_saveexec_b64 s[22:23], s[4:5]
	s_cbranch_execz .LBB6_295
; %bb.294:
	global_load_dword v15, v[2:3], off offset:4
	s_xor_b64 s[18:19], exec, -1
	s_waitcnt vmcnt(0)
	v_alignbit_b32 v15, v15, v14, 31
	v_and_b32_e32 v15, 7, v15
.LBB6_295:
	s_or_b64 exec, exec, s[22:23]
	s_and_b64 s[18:19], s[18:19], exec
	s_andn2_saveexec_b64 s[4:5], s[20:21]
	s_cbranch_execz .LBB6_66
.LBB6_296:
	s_andn2_b64 s[18:19], s[18:19], exec
	s_and_b64 s[20:21], s[2:3], exec
	s_mov_b64 s[14:15], exec
	s_or_b64 s[18:19], s[18:19], s[20:21]
	s_or_b64 exec, exec, s[4:5]
	s_and_saveexec_b64 s[4:5], s[18:19]
	s_xor_b64 s[4:5], exec, s[4:5]
	s_cbranch_execz .LBB6_67
.LBB6_297:
                                        ; implicit-def: $vgpr15
	s_and_saveexec_b64 s[18:19], s[0:1]
	s_xor_b64 s[18:19], exec, s[18:19]
	s_cbranch_execz .LBB6_303
; %bb.298:
                                        ; implicit-def: $vgpr15
	s_and_saveexec_b64 s[20:21], vcc
	s_xor_b64 s[20:21], exec, s[20:21]
	s_cbranch_execz .LBB6_300
; %bb.299:
	s_waitcnt vmcnt(0)
	v_bfe_u32 v15, v14, v9, 3
.LBB6_300:
	s_andn2_saveexec_b64 s[20:21], s[20:21]
	s_cbranch_execz .LBB6_302
; %bb.301:
	s_waitcnt vmcnt(0)
	v_bfe_u32 v15, v14, v6, 3
.LBB6_302:
	s_or_b64 exec, exec, s[20:21]
.LBB6_303:
	s_andn2_saveexec_b64 s[18:19], s[18:19]
	s_cbranch_execz .LBB6_305
; %bb.304:
	s_waitcnt vmcnt(0)
	v_bfe_u32 v15, v14, v7, 3
.LBB6_305:
	s_or_b64 exec, exec, s[18:19]
	s_andn2_b64 s[14:15], s[14:15], exec
	s_or_b64 exec, exec, s[4:5]
	s_and_saveexec_b64 s[4:5], s[14:15]
	s_cbranch_execnz .LBB6_68
	s_branch .LBB6_69
.LBB6_306:
	v_cmp_eq_u32_e64 s[4:5], 21, v10
	s_mov_b64 s[18:19], -1
                                        ; implicit-def: $vgpr14
	s_and_saveexec_b64 s[22:23], s[4:5]
	s_cbranch_execz .LBB6_308
; %bb.307:
	global_load_dword v14, v[2:3], off offset:4
	s_xor_b64 s[18:19], exec, -1
	s_waitcnt vmcnt(0)
	v_alignbit_b32 v14, v14, v13, 31
	v_and_b32_e32 v14, 7, v14
.LBB6_308:
	s_or_b64 exec, exec, s[22:23]
	s_and_b64 s[18:19], s[18:19], exec
	s_andn2_saveexec_b64 s[4:5], s[20:21]
	s_cbranch_execz .LBB6_71
.LBB6_309:
	s_andn2_b64 s[18:19], s[18:19], exec
	s_and_b64 s[20:21], s[2:3], exec
	s_mov_b64 s[14:15], exec
	s_or_b64 s[18:19], s[18:19], s[20:21]
	s_or_b64 exec, exec, s[4:5]
	s_and_saveexec_b64 s[4:5], s[18:19]
	s_xor_b64 s[4:5], exec, s[4:5]
	s_cbranch_execz .LBB6_72
.LBB6_310:
                                        ; implicit-def: $vgpr14
	s_and_saveexec_b64 s[18:19], s[0:1]
	s_xor_b64 s[18:19], exec, s[18:19]
	s_cbranch_execz .LBB6_316
; %bb.311:
                                        ; implicit-def: $vgpr14
	s_and_saveexec_b64 s[20:21], vcc
	s_xor_b64 s[20:21], exec, s[20:21]
	s_cbranch_execz .LBB6_313
; %bb.312:
	s_waitcnt vmcnt(0)
	v_bfe_u32 v14, v13, v9, 3
.LBB6_313:
	s_andn2_saveexec_b64 s[20:21], s[20:21]
	s_cbranch_execz .LBB6_315
; %bb.314:
	s_waitcnt vmcnt(0)
	v_bfe_u32 v14, v13, v6, 3
.LBB6_315:
	s_or_b64 exec, exec, s[20:21]
.LBB6_316:
	s_andn2_saveexec_b64 s[18:19], s[18:19]
	s_cbranch_execz .LBB6_318
; %bb.317:
	s_waitcnt vmcnt(0)
	v_bfe_u32 v14, v13, v7, 3
.LBB6_318:
	s_or_b64 exec, exec, s[18:19]
	s_andn2_b64 s[14:15], s[14:15], exec
	s_or_b64 exec, exec, s[4:5]
	s_and_saveexec_b64 s[4:5], s[14:15]
	s_cbranch_execnz .LBB6_73
	s_branch .LBB6_74
.LBB6_319:
	v_cmp_eq_u32_e64 s[4:5], 21, v10
	s_mov_b64 s[18:19], -1
                                        ; implicit-def: $vgpr14
	s_and_saveexec_b64 s[22:23], s[4:5]
	s_cbranch_execz .LBB6_321
; %bb.320:
	global_load_dword v14, v[2:3], off offset:4
	s_xor_b64 s[18:19], exec, -1
	s_waitcnt vmcnt(0)
	v_alignbit_b32 v14, v14, v13, 31
	v_and_b32_e32 v14, 7, v14
.LBB6_321:
	s_or_b64 exec, exec, s[22:23]
	s_and_b64 s[18:19], s[18:19], exec
	s_andn2_saveexec_b64 s[4:5], s[20:21]
	s_cbranch_execz .LBB6_76
.LBB6_322:
	s_andn2_b64 s[18:19], s[18:19], exec
	s_and_b64 s[20:21], s[2:3], exec
	s_mov_b64 s[14:15], exec
	s_or_b64 s[18:19], s[18:19], s[20:21]
	s_or_b64 exec, exec, s[4:5]
	s_and_saveexec_b64 s[4:5], s[18:19]
	s_xor_b64 s[4:5], exec, s[4:5]
	s_cbranch_execz .LBB6_77
.LBB6_323:
                                        ; implicit-def: $vgpr14
	s_and_saveexec_b64 s[18:19], s[0:1]
	s_xor_b64 s[18:19], exec, s[18:19]
	s_cbranch_execz .LBB6_329
; %bb.324:
                                        ; implicit-def: $vgpr14
	s_and_saveexec_b64 s[20:21], vcc
	s_xor_b64 s[20:21], exec, s[20:21]
	s_cbranch_execz .LBB6_326
; %bb.325:
	s_waitcnt vmcnt(0)
	v_bfe_u32 v14, v13, v9, 3
.LBB6_326:
	s_andn2_saveexec_b64 s[20:21], s[20:21]
	s_cbranch_execz .LBB6_328
; %bb.327:
	s_waitcnt vmcnt(0)
	v_bfe_u32 v14, v13, v6, 3
.LBB6_328:
	s_or_b64 exec, exec, s[20:21]
.LBB6_329:
	s_andn2_saveexec_b64 s[18:19], s[18:19]
	s_cbranch_execz .LBB6_331
; %bb.330:
	s_waitcnt vmcnt(0)
	v_bfe_u32 v14, v13, v7, 3
.LBB6_331:
	s_or_b64 exec, exec, s[18:19]
	s_andn2_b64 s[14:15], s[14:15], exec
	s_or_b64 exec, exec, s[4:5]
	s_and_saveexec_b64 s[4:5], s[14:15]
	s_cbranch_execnz .LBB6_78
	s_branch .LBB6_79
.LBB6_332:
	v_cmp_eq_u32_e64 s[4:5], 21, v10
	s_mov_b64 s[18:19], -1
                                        ; implicit-def: $vgpr14
	s_and_saveexec_b64 s[22:23], s[4:5]
	s_cbranch_execz .LBB6_334
; %bb.333:
	global_load_dword v14, v[2:3], off offset:4
	s_xor_b64 s[18:19], exec, -1
	s_waitcnt vmcnt(0)
	v_alignbit_b32 v14, v14, v13, 31
	v_and_b32_e32 v14, 7, v14
.LBB6_334:
	s_or_b64 exec, exec, s[22:23]
	s_and_b64 s[18:19], s[18:19], exec
	s_andn2_saveexec_b64 s[4:5], s[20:21]
	s_cbranch_execz .LBB6_81
.LBB6_335:
	s_andn2_b64 s[18:19], s[18:19], exec
	s_and_b64 s[20:21], s[2:3], exec
	s_mov_b64 s[14:15], exec
	s_or_b64 s[18:19], s[18:19], s[20:21]
	s_or_b64 exec, exec, s[4:5]
	s_and_saveexec_b64 s[4:5], s[18:19]
	s_xor_b64 s[4:5], exec, s[4:5]
	s_cbranch_execz .LBB6_82
.LBB6_336:
                                        ; implicit-def: $vgpr14
	s_and_saveexec_b64 s[18:19], s[0:1]
	s_xor_b64 s[18:19], exec, s[18:19]
	s_cbranch_execz .LBB6_342
; %bb.337:
                                        ; implicit-def: $vgpr14
	s_and_saveexec_b64 s[20:21], vcc
	s_xor_b64 s[20:21], exec, s[20:21]
	s_cbranch_execz .LBB6_339
; %bb.338:
	s_waitcnt vmcnt(0)
	v_bfe_u32 v14, v13, v9, 3
.LBB6_339:
	s_andn2_saveexec_b64 s[20:21], s[20:21]
	s_cbranch_execz .LBB6_341
; %bb.340:
	s_waitcnt vmcnt(0)
	v_bfe_u32 v14, v13, v6, 3
.LBB6_341:
	s_or_b64 exec, exec, s[20:21]
.LBB6_342:
	s_andn2_saveexec_b64 s[18:19], s[18:19]
	s_cbranch_execz .LBB6_344
; %bb.343:
	s_waitcnt vmcnt(0)
	v_bfe_u32 v14, v13, v7, 3
.LBB6_344:
	s_or_b64 exec, exec, s[18:19]
	s_andn2_b64 s[14:15], s[14:15], exec
	s_or_b64 exec, exec, s[4:5]
	s_and_saveexec_b64 s[4:5], s[14:15]
	s_cbranch_execnz .LBB6_83
	s_branch .LBB6_84
.LBB6_345:
	v_cmp_eq_u32_e64 s[4:5], 21, v10
	s_mov_b64 s[18:19], -1
                                        ; implicit-def: $vgpr14
	s_and_saveexec_b64 s[22:23], s[4:5]
	s_cbranch_execz .LBB6_347
; %bb.346:
	global_load_dword v14, v[2:3], off offset:4
	s_xor_b64 s[18:19], exec, -1
	s_waitcnt vmcnt(0)
	v_alignbit_b32 v14, v14, v13, 31
	v_and_b32_e32 v14, 7, v14
.LBB6_347:
	s_or_b64 exec, exec, s[22:23]
	s_and_b64 s[18:19], s[18:19], exec
	s_andn2_saveexec_b64 s[4:5], s[20:21]
	s_cbranch_execz .LBB6_86
.LBB6_348:
	s_andn2_b64 s[18:19], s[18:19], exec
	s_and_b64 s[20:21], s[2:3], exec
	s_mov_b64 s[14:15], exec
	s_or_b64 s[18:19], s[18:19], s[20:21]
	s_or_b64 exec, exec, s[4:5]
	s_and_saveexec_b64 s[4:5], s[18:19]
	s_xor_b64 s[4:5], exec, s[4:5]
	s_cbranch_execz .LBB6_87
.LBB6_349:
                                        ; implicit-def: $vgpr14
	s_and_saveexec_b64 s[18:19], s[0:1]
	s_xor_b64 s[18:19], exec, s[18:19]
	s_cbranch_execz .LBB6_355
; %bb.350:
                                        ; implicit-def: $vgpr14
	s_and_saveexec_b64 s[20:21], vcc
	s_xor_b64 s[20:21], exec, s[20:21]
	s_cbranch_execz .LBB6_352
; %bb.351:
	s_waitcnt vmcnt(0)
	v_bfe_u32 v14, v13, v9, 3
.LBB6_352:
	s_andn2_saveexec_b64 s[20:21], s[20:21]
	s_cbranch_execz .LBB6_354
; %bb.353:
	s_waitcnt vmcnt(0)
	v_bfe_u32 v14, v13, v6, 3
.LBB6_354:
	s_or_b64 exec, exec, s[20:21]
.LBB6_355:
	s_andn2_saveexec_b64 s[18:19], s[18:19]
	s_cbranch_execz .LBB6_357
; %bb.356:
	s_waitcnt vmcnt(0)
	v_bfe_u32 v14, v13, v7, 3
.LBB6_357:
	s_or_b64 exec, exec, s[18:19]
	s_andn2_b64 s[14:15], s[14:15], exec
	s_or_b64 exec, exec, s[4:5]
	s_and_saveexec_b64 s[4:5], s[14:15]
	s_cbranch_execnz .LBB6_88
	s_branch .LBB6_89
.LBB6_358:
	v_cmp_eq_u32_e64 s[4:5], 21, v10
	s_mov_b64 s[18:19], -1
                                        ; implicit-def: $vgpr14
	s_and_saveexec_b64 s[22:23], s[4:5]
	s_cbranch_execz .LBB6_360
; %bb.359:
	global_load_dword v14, v[2:3], off offset:4
	s_xor_b64 s[18:19], exec, -1
	s_waitcnt vmcnt(0)
	v_alignbit_b32 v14, v14, v13, 31
	v_and_b32_e32 v14, 7, v14
.LBB6_360:
	s_or_b64 exec, exec, s[22:23]
	s_and_b64 s[18:19], s[18:19], exec
	s_andn2_saveexec_b64 s[4:5], s[20:21]
	s_cbranch_execz .LBB6_91
.LBB6_361:
	s_andn2_b64 s[18:19], s[18:19], exec
	s_and_b64 s[20:21], s[2:3], exec
	s_mov_b64 s[14:15], exec
	s_or_b64 s[18:19], s[18:19], s[20:21]
	s_or_b64 exec, exec, s[4:5]
	s_and_saveexec_b64 s[4:5], s[18:19]
	s_xor_b64 s[4:5], exec, s[4:5]
	s_cbranch_execz .LBB6_92
.LBB6_362:
                                        ; implicit-def: $vgpr14
	s_and_saveexec_b64 s[18:19], s[0:1]
	s_xor_b64 s[18:19], exec, s[18:19]
	s_cbranch_execz .LBB6_368
; %bb.363:
                                        ; implicit-def: $vgpr14
	s_and_saveexec_b64 s[20:21], vcc
	s_xor_b64 s[20:21], exec, s[20:21]
	s_cbranch_execz .LBB6_365
; %bb.364:
	s_waitcnt vmcnt(0)
	v_bfe_u32 v14, v13, v9, 3
.LBB6_365:
	s_andn2_saveexec_b64 s[20:21], s[20:21]
	s_cbranch_execz .LBB6_367
; %bb.366:
	s_waitcnt vmcnt(0)
	v_bfe_u32 v14, v13, v6, 3
.LBB6_367:
	s_or_b64 exec, exec, s[20:21]
.LBB6_368:
	s_andn2_saveexec_b64 s[18:19], s[18:19]
	s_cbranch_execz .LBB6_370
; %bb.369:
	s_waitcnt vmcnt(0)
	v_bfe_u32 v14, v13, v7, 3
.LBB6_370:
	s_or_b64 exec, exec, s[18:19]
	s_andn2_b64 s[14:15], s[14:15], exec
	s_or_b64 exec, exec, s[4:5]
	s_and_saveexec_b64 s[4:5], s[14:15]
	s_cbranch_execnz .LBB6_93
	s_branch .LBB6_94
.LBB6_371:
	v_cmp_eq_u32_e64 s[4:5], 21, v10
	s_mov_b64 s[18:19], -1
                                        ; implicit-def: $vgpr14
	s_and_saveexec_b64 s[22:23], s[4:5]
	s_cbranch_execz .LBB6_373
; %bb.372:
	global_load_dword v14, v[2:3], off offset:4
	s_xor_b64 s[18:19], exec, -1
	s_waitcnt vmcnt(0)
	v_alignbit_b32 v14, v14, v13, 31
	v_and_b32_e32 v14, 7, v14
.LBB6_373:
	s_or_b64 exec, exec, s[22:23]
	s_and_b64 s[18:19], s[18:19], exec
	s_andn2_saveexec_b64 s[4:5], s[20:21]
	s_cbranch_execz .LBB6_96
.LBB6_374:
	s_andn2_b64 s[18:19], s[18:19], exec
	s_and_b64 s[20:21], s[2:3], exec
	s_mov_b64 s[14:15], exec
	s_or_b64 s[18:19], s[18:19], s[20:21]
	s_or_b64 exec, exec, s[4:5]
	s_and_saveexec_b64 s[4:5], s[18:19]
	s_xor_b64 s[4:5], exec, s[4:5]
	s_cbranch_execz .LBB6_97
.LBB6_375:
                                        ; implicit-def: $vgpr14
	s_and_saveexec_b64 s[18:19], s[0:1]
	s_xor_b64 s[18:19], exec, s[18:19]
	s_cbranch_execz .LBB6_381
; %bb.376:
                                        ; implicit-def: $vgpr14
	s_and_saveexec_b64 s[20:21], vcc
	s_xor_b64 s[20:21], exec, s[20:21]
	s_cbranch_execz .LBB6_378
; %bb.377:
	s_waitcnt vmcnt(0)
	v_bfe_u32 v14, v13, v9, 3
.LBB6_378:
	s_andn2_saveexec_b64 s[20:21], s[20:21]
	s_cbranch_execz .LBB6_380
; %bb.379:
	s_waitcnt vmcnt(0)
	v_bfe_u32 v14, v13, v6, 3
.LBB6_380:
	s_or_b64 exec, exec, s[20:21]
.LBB6_381:
	s_andn2_saveexec_b64 s[18:19], s[18:19]
	s_cbranch_execz .LBB6_383
; %bb.382:
	s_waitcnt vmcnt(0)
	v_bfe_u32 v14, v13, v7, 3
.LBB6_383:
	s_or_b64 exec, exec, s[18:19]
	s_andn2_b64 s[14:15], s[14:15], exec
	s_or_b64 exec, exec, s[4:5]
	s_and_saveexec_b64 s[4:5], s[14:15]
	s_cbranch_execnz .LBB6_98
	s_branch .LBB6_99
.LBB6_384:
	v_cmp_eq_u32_e64 s[4:5], 21, v10
	s_mov_b64 s[18:19], -1
                                        ; implicit-def: $vgpr14
	s_and_saveexec_b64 s[22:23], s[4:5]
	s_cbranch_execz .LBB6_386
; %bb.385:
	global_load_dword v14, v[2:3], off offset:4
	s_xor_b64 s[18:19], exec, -1
	s_waitcnt vmcnt(0)
	v_alignbit_b32 v14, v14, v13, 31
	v_and_b32_e32 v14, 7, v14
.LBB6_386:
	s_or_b64 exec, exec, s[22:23]
	s_and_b64 s[18:19], s[18:19], exec
	s_andn2_saveexec_b64 s[4:5], s[20:21]
	s_cbranch_execz .LBB6_101
.LBB6_387:
	s_andn2_b64 s[18:19], s[18:19], exec
	s_and_b64 s[20:21], s[2:3], exec
	s_mov_b64 s[14:15], exec
	s_or_b64 s[18:19], s[18:19], s[20:21]
	s_or_b64 exec, exec, s[4:5]
	s_and_saveexec_b64 s[4:5], s[18:19]
	s_xor_b64 s[4:5], exec, s[4:5]
	s_cbranch_execz .LBB6_102
.LBB6_388:
                                        ; implicit-def: $vgpr14
	s_and_saveexec_b64 s[18:19], s[0:1]
	s_xor_b64 s[18:19], exec, s[18:19]
	s_cbranch_execz .LBB6_394
; %bb.389:
                                        ; implicit-def: $vgpr14
	s_and_saveexec_b64 s[20:21], vcc
	s_xor_b64 s[20:21], exec, s[20:21]
	s_cbranch_execz .LBB6_391
; %bb.390:
	s_waitcnt vmcnt(0)
	v_bfe_u32 v14, v13, v9, 3
.LBB6_391:
	s_andn2_saveexec_b64 s[20:21], s[20:21]
	s_cbranch_execz .LBB6_393
; %bb.392:
	s_waitcnt vmcnt(0)
	v_bfe_u32 v14, v13, v6, 3
.LBB6_393:
	s_or_b64 exec, exec, s[20:21]
.LBB6_394:
	s_andn2_saveexec_b64 s[18:19], s[18:19]
	s_cbranch_execz .LBB6_396
; %bb.395:
	s_waitcnt vmcnt(0)
	v_bfe_u32 v14, v13, v7, 3
.LBB6_396:
	s_or_b64 exec, exec, s[18:19]
	s_andn2_b64 s[14:15], s[14:15], exec
	s_or_b64 exec, exec, s[4:5]
	s_and_saveexec_b64 s[4:5], s[14:15]
	s_cbranch_execnz .LBB6_103
	s_branch .LBB6_104
.LBB6_397:
	v_cmp_eq_u32_e64 s[4:5], 21, v10
	s_mov_b64 s[18:19], -1
                                        ; implicit-def: $vgpr14
	s_and_saveexec_b64 s[22:23], s[4:5]
	s_cbranch_execz .LBB6_399
; %bb.398:
	global_load_dword v14, v[2:3], off offset:4
	s_xor_b64 s[18:19], exec, -1
	s_waitcnt vmcnt(0)
	v_alignbit_b32 v14, v14, v13, 31
	v_and_b32_e32 v14, 7, v14
.LBB6_399:
	s_or_b64 exec, exec, s[22:23]
	s_and_b64 s[18:19], s[18:19], exec
	s_andn2_saveexec_b64 s[4:5], s[20:21]
	s_cbranch_execz .LBB6_106
.LBB6_400:
	s_andn2_b64 s[18:19], s[18:19], exec
	s_and_b64 s[20:21], s[2:3], exec
	s_mov_b64 s[14:15], exec
	s_or_b64 s[18:19], s[18:19], s[20:21]
	s_or_b64 exec, exec, s[4:5]
	s_and_saveexec_b64 s[4:5], s[18:19]
	s_xor_b64 s[4:5], exec, s[4:5]
	s_cbranch_execz .LBB6_107
.LBB6_401:
                                        ; implicit-def: $vgpr14
	s_and_saveexec_b64 s[18:19], s[0:1]
	s_xor_b64 s[18:19], exec, s[18:19]
	s_cbranch_execz .LBB6_407
; %bb.402:
                                        ; implicit-def: $vgpr14
	s_and_saveexec_b64 s[20:21], vcc
	s_xor_b64 s[20:21], exec, s[20:21]
	s_cbranch_execz .LBB6_404
; %bb.403:
	s_waitcnt vmcnt(0)
	v_bfe_u32 v14, v13, v9, 3
.LBB6_404:
	s_andn2_saveexec_b64 s[20:21], s[20:21]
	s_cbranch_execz .LBB6_406
; %bb.405:
	s_waitcnt vmcnt(0)
	v_bfe_u32 v14, v13, v6, 3
.LBB6_406:
	s_or_b64 exec, exec, s[20:21]
.LBB6_407:
	s_andn2_saveexec_b64 s[18:19], s[18:19]
	s_cbranch_execz .LBB6_409
; %bb.408:
	s_waitcnt vmcnt(0)
	v_bfe_u32 v14, v13, v7, 3
.LBB6_409:
	s_or_b64 exec, exec, s[18:19]
	s_andn2_b64 s[14:15], s[14:15], exec
	s_or_b64 exec, exec, s[4:5]
	s_and_saveexec_b64 s[4:5], s[14:15]
	s_cbranch_execnz .LBB6_108
	s_branch .LBB6_109
.LBB6_410:
	v_cmp_eq_u32_e64 s[4:5], 21, v10
	s_mov_b64 s[18:19], -1
                                        ; implicit-def: $vgpr14
	s_and_saveexec_b64 s[22:23], s[4:5]
	s_cbranch_execz .LBB6_412
; %bb.411:
	global_load_dword v14, v[2:3], off offset:4
	s_xor_b64 s[18:19], exec, -1
	s_waitcnt vmcnt(0)
	v_alignbit_b32 v14, v14, v13, 31
	v_and_b32_e32 v14, 7, v14
.LBB6_412:
	s_or_b64 exec, exec, s[22:23]
	s_and_b64 s[18:19], s[18:19], exec
	s_andn2_saveexec_b64 s[4:5], s[20:21]
	s_cbranch_execz .LBB6_111
.LBB6_413:
	s_andn2_b64 s[18:19], s[18:19], exec
	s_and_b64 s[20:21], s[2:3], exec
	s_mov_b64 s[14:15], exec
	s_or_b64 s[18:19], s[18:19], s[20:21]
	s_or_b64 exec, exec, s[4:5]
	s_and_saveexec_b64 s[4:5], s[18:19]
	s_xor_b64 s[4:5], exec, s[4:5]
	s_cbranch_execz .LBB6_112
.LBB6_414:
                                        ; implicit-def: $vgpr14
	s_and_saveexec_b64 s[18:19], s[0:1]
	s_xor_b64 s[18:19], exec, s[18:19]
	s_cbranch_execz .LBB6_420
; %bb.415:
                                        ; implicit-def: $vgpr14
	s_and_saveexec_b64 s[20:21], vcc
	s_xor_b64 s[20:21], exec, s[20:21]
	s_cbranch_execz .LBB6_417
; %bb.416:
	s_waitcnt vmcnt(0)
	v_bfe_u32 v14, v13, v9, 3
.LBB6_417:
	s_andn2_saveexec_b64 s[20:21], s[20:21]
	s_cbranch_execz .LBB6_419
; %bb.418:
	s_waitcnt vmcnt(0)
	v_bfe_u32 v14, v13, v6, 3
.LBB6_419:
	s_or_b64 exec, exec, s[20:21]
.LBB6_420:
	s_andn2_saveexec_b64 s[18:19], s[18:19]
	s_cbranch_execz .LBB6_422
; %bb.421:
	s_waitcnt vmcnt(0)
	v_bfe_u32 v14, v13, v7, 3
.LBB6_422:
	s_or_b64 exec, exec, s[18:19]
	s_andn2_b64 s[14:15], s[14:15], exec
	s_or_b64 exec, exec, s[4:5]
	s_and_saveexec_b64 s[4:5], s[14:15]
	s_cbranch_execnz .LBB6_113
	s_branch .LBB6_114
.LBB6_423:
	v_cmp_eq_u32_e64 s[4:5], 21, v10
	s_mov_b64 s[18:19], -1
                                        ; implicit-def: $vgpr14
	s_and_saveexec_b64 s[22:23], s[4:5]
	s_cbranch_execz .LBB6_425
; %bb.424:
	global_load_dword v14, v[2:3], off offset:4
	s_xor_b64 s[18:19], exec, -1
	s_waitcnt vmcnt(0)
	v_alignbit_b32 v14, v14, v13, 31
	v_and_b32_e32 v14, 7, v14
.LBB6_425:
	s_or_b64 exec, exec, s[22:23]
	s_and_b64 s[18:19], s[18:19], exec
	s_andn2_saveexec_b64 s[4:5], s[20:21]
	s_cbranch_execz .LBB6_116
.LBB6_426:
	s_andn2_b64 s[18:19], s[18:19], exec
	s_and_b64 s[20:21], s[2:3], exec
	s_mov_b64 s[14:15], exec
	s_or_b64 s[18:19], s[18:19], s[20:21]
	s_or_b64 exec, exec, s[4:5]
	s_and_saveexec_b64 s[4:5], s[18:19]
	s_xor_b64 s[4:5], exec, s[4:5]
	s_cbranch_execz .LBB6_117
.LBB6_427:
                                        ; implicit-def: $vgpr14
	s_and_saveexec_b64 s[18:19], s[0:1]
	s_xor_b64 s[18:19], exec, s[18:19]
	s_cbranch_execz .LBB6_433
; %bb.428:
                                        ; implicit-def: $vgpr14
	s_and_saveexec_b64 s[20:21], vcc
	s_xor_b64 s[20:21], exec, s[20:21]
	s_cbranch_execz .LBB6_430
; %bb.429:
	s_waitcnt vmcnt(0)
	v_bfe_u32 v14, v13, v9, 3
.LBB6_430:
	s_andn2_saveexec_b64 s[20:21], s[20:21]
	s_cbranch_execz .LBB6_432
; %bb.431:
	s_waitcnt vmcnt(0)
	v_bfe_u32 v14, v13, v6, 3
.LBB6_432:
	s_or_b64 exec, exec, s[20:21]
.LBB6_433:
	s_andn2_saveexec_b64 s[18:19], s[18:19]
	s_cbranch_execz .LBB6_435
; %bb.434:
	s_waitcnt vmcnt(0)
	v_bfe_u32 v14, v13, v7, 3
.LBB6_435:
	s_or_b64 exec, exec, s[18:19]
	s_andn2_b64 s[14:15], s[14:15], exec
	s_or_b64 exec, exec, s[4:5]
	s_and_saveexec_b64 s[4:5], s[14:15]
	s_cbranch_execnz .LBB6_118
	s_branch .LBB6_119
.LBB6_436:
	v_cmp_eq_u32_e64 s[4:5], 21, v10
	s_mov_b64 s[18:19], -1
                                        ; implicit-def: $vgpr14
	s_and_saveexec_b64 s[22:23], s[4:5]
	s_cbranch_execz .LBB6_438
; %bb.437:
	global_load_dword v14, v[2:3], off offset:4
	s_xor_b64 s[18:19], exec, -1
	s_waitcnt vmcnt(0)
	v_alignbit_b32 v14, v14, v13, 31
	v_and_b32_e32 v14, 7, v14
.LBB6_438:
	s_or_b64 exec, exec, s[22:23]
	s_and_b64 s[18:19], s[18:19], exec
	s_andn2_saveexec_b64 s[4:5], s[20:21]
	s_cbranch_execz .LBB6_121
.LBB6_439:
	s_andn2_b64 s[18:19], s[18:19], exec
	s_and_b64 s[20:21], s[2:3], exec
	s_mov_b64 s[14:15], exec
	s_or_b64 s[18:19], s[18:19], s[20:21]
	s_or_b64 exec, exec, s[4:5]
	s_and_saveexec_b64 s[4:5], s[18:19]
	s_xor_b64 s[4:5], exec, s[4:5]
	s_cbranch_execz .LBB6_122
.LBB6_440:
                                        ; implicit-def: $vgpr14
	s_and_saveexec_b64 s[18:19], s[0:1]
	s_xor_b64 s[18:19], exec, s[18:19]
	s_cbranch_execz .LBB6_446
; %bb.441:
                                        ; implicit-def: $vgpr14
	s_and_saveexec_b64 s[20:21], vcc
	s_xor_b64 s[20:21], exec, s[20:21]
	s_cbranch_execz .LBB6_443
; %bb.442:
	s_waitcnt vmcnt(0)
	v_bfe_u32 v14, v13, v9, 3
.LBB6_443:
	s_andn2_saveexec_b64 s[20:21], s[20:21]
	s_cbranch_execz .LBB6_445
; %bb.444:
	s_waitcnt vmcnt(0)
	v_bfe_u32 v14, v13, v6, 3
.LBB6_445:
	s_or_b64 exec, exec, s[20:21]
.LBB6_446:
	s_andn2_saveexec_b64 s[18:19], s[18:19]
	s_cbranch_execz .LBB6_448
; %bb.447:
	s_waitcnt vmcnt(0)
	v_bfe_u32 v14, v13, v7, 3
.LBB6_448:
	s_or_b64 exec, exec, s[18:19]
	s_andn2_b64 s[14:15], s[14:15], exec
	s_or_b64 exec, exec, s[4:5]
	s_and_saveexec_b64 s[4:5], s[14:15]
	s_cbranch_execnz .LBB6_123
	s_branch .LBB6_124
.LBB6_449:
	v_cmp_eq_u32_e64 s[4:5], 21, v10
	s_mov_b64 s[18:19], -1
                                        ; implicit-def: $vgpr13
	s_and_saveexec_b64 s[22:23], s[4:5]
	s_cbranch_execz .LBB6_451
; %bb.450:
	global_load_dword v13, v[2:3], off offset:4
	s_xor_b64 s[18:19], exec, -1
	s_waitcnt vmcnt(0)
	v_alignbit_b32 v13, v13, v12, 31
	v_and_b32_e32 v13, 7, v13
.LBB6_451:
	s_or_b64 exec, exec, s[22:23]
	s_and_b64 s[18:19], s[18:19], exec
	s_andn2_saveexec_b64 s[4:5], s[20:21]
	s_cbranch_execz .LBB6_126
.LBB6_452:
	s_andn2_b64 s[18:19], s[18:19], exec
	s_and_b64 s[20:21], s[2:3], exec
	s_mov_b64 s[14:15], exec
	s_or_b64 s[18:19], s[18:19], s[20:21]
	s_or_b64 exec, exec, s[4:5]
	s_and_saveexec_b64 s[4:5], s[18:19]
	s_xor_b64 s[4:5], exec, s[4:5]
	s_cbranch_execz .LBB6_127
.LBB6_453:
                                        ; implicit-def: $vgpr13
	s_and_saveexec_b64 s[18:19], s[0:1]
	s_xor_b64 s[18:19], exec, s[18:19]
	s_cbranch_execz .LBB6_459
; %bb.454:
                                        ; implicit-def: $vgpr13
	s_and_saveexec_b64 s[20:21], vcc
	s_xor_b64 s[20:21], exec, s[20:21]
	s_cbranch_execz .LBB6_456
; %bb.455:
	s_waitcnt vmcnt(0)
	v_bfe_u32 v13, v12, v9, 3
.LBB6_456:
	s_andn2_saveexec_b64 s[20:21], s[20:21]
	s_cbranch_execz .LBB6_458
; %bb.457:
	s_waitcnt vmcnt(0)
	v_bfe_u32 v13, v12, v6, 3
.LBB6_458:
	s_or_b64 exec, exec, s[20:21]
.LBB6_459:
	s_andn2_saveexec_b64 s[18:19], s[18:19]
	s_cbranch_execz .LBB6_461
; %bb.460:
	s_waitcnt vmcnt(0)
	v_bfe_u32 v13, v12, v7, 3
.LBB6_461:
	s_or_b64 exec, exec, s[18:19]
	s_andn2_b64 s[14:15], s[14:15], exec
	s_or_b64 exec, exec, s[4:5]
	s_and_saveexec_b64 s[4:5], s[14:15]
	s_cbranch_execnz .LBB6_128
	s_branch .LBB6_129
.LBB6_462:
	v_cmp_eq_u32_e64 s[4:5], 21, v10
	s_mov_b64 s[18:19], -1
                                        ; implicit-def: $vgpr13
	s_and_saveexec_b64 s[22:23], s[4:5]
	s_cbranch_execz .LBB6_464
; %bb.463:
	global_load_dword v13, v[2:3], off offset:4
	s_xor_b64 s[18:19], exec, -1
	s_waitcnt vmcnt(0)
	v_alignbit_b32 v13, v13, v12, 31
	v_and_b32_e32 v13, 7, v13
.LBB6_464:
	s_or_b64 exec, exec, s[22:23]
	s_and_b64 s[18:19], s[18:19], exec
	s_andn2_saveexec_b64 s[4:5], s[20:21]
	s_cbranch_execz .LBB6_131
.LBB6_465:
	s_andn2_b64 s[18:19], s[18:19], exec
	s_and_b64 s[20:21], s[2:3], exec
	s_mov_b64 s[14:15], exec
	s_or_b64 s[18:19], s[18:19], s[20:21]
	s_or_b64 exec, exec, s[4:5]
	s_and_saveexec_b64 s[4:5], s[18:19]
	s_xor_b64 s[4:5], exec, s[4:5]
	s_cbranch_execz .LBB6_132
.LBB6_466:
                                        ; implicit-def: $vgpr13
	s_and_saveexec_b64 s[18:19], s[0:1]
	s_xor_b64 s[18:19], exec, s[18:19]
	s_cbranch_execz .LBB6_472
; %bb.467:
                                        ; implicit-def: $vgpr13
	s_and_saveexec_b64 s[20:21], vcc
	s_xor_b64 s[20:21], exec, s[20:21]
	s_cbranch_execz .LBB6_469
; %bb.468:
	s_waitcnt vmcnt(0)
	v_bfe_u32 v13, v12, v9, 3
.LBB6_469:
	s_andn2_saveexec_b64 s[20:21], s[20:21]
	s_cbranch_execz .LBB6_471
; %bb.470:
	s_waitcnt vmcnt(0)
	v_bfe_u32 v13, v12, v6, 3
.LBB6_471:
	s_or_b64 exec, exec, s[20:21]
.LBB6_472:
	s_andn2_saveexec_b64 s[18:19], s[18:19]
	s_cbranch_execz .LBB6_474
; %bb.473:
	s_waitcnt vmcnt(0)
	v_bfe_u32 v13, v12, v7, 3
.LBB6_474:
	s_or_b64 exec, exec, s[18:19]
	s_andn2_b64 s[14:15], s[14:15], exec
	s_or_b64 exec, exec, s[4:5]
	s_and_saveexec_b64 s[4:5], s[14:15]
	s_cbranch_execnz .LBB6_133
	s_branch .LBB6_134
.LBB6_475:
	v_cmp_eq_u32_e64 s[4:5], 21, v10
	s_mov_b64 s[18:19], -1
                                        ; implicit-def: $vgpr13
	s_and_saveexec_b64 s[22:23], s[4:5]
	s_cbranch_execz .LBB6_477
; %bb.476:
	global_load_dword v13, v[2:3], off offset:4
	s_xor_b64 s[18:19], exec, -1
	s_waitcnt vmcnt(0)
	v_alignbit_b32 v13, v13, v12, 31
	v_and_b32_e32 v13, 7, v13
.LBB6_477:
	s_or_b64 exec, exec, s[22:23]
	s_and_b64 s[18:19], s[18:19], exec
	s_andn2_saveexec_b64 s[4:5], s[20:21]
	s_cbranch_execz .LBB6_136
.LBB6_478:
	s_andn2_b64 s[18:19], s[18:19], exec
	s_and_b64 s[20:21], s[2:3], exec
	s_mov_b64 s[14:15], exec
	s_or_b64 s[18:19], s[18:19], s[20:21]
	s_or_b64 exec, exec, s[4:5]
	s_and_saveexec_b64 s[4:5], s[18:19]
	s_xor_b64 s[4:5], exec, s[4:5]
	s_cbranch_execz .LBB6_137
.LBB6_479:
                                        ; implicit-def: $vgpr13
	s_and_saveexec_b64 s[18:19], s[0:1]
	s_xor_b64 s[18:19], exec, s[18:19]
	s_cbranch_execz .LBB6_485
; %bb.480:
                                        ; implicit-def: $vgpr13
	s_and_saveexec_b64 s[20:21], vcc
	s_xor_b64 s[20:21], exec, s[20:21]
	s_cbranch_execz .LBB6_482
; %bb.481:
	s_waitcnt vmcnt(0)
	v_bfe_u32 v13, v12, v9, 3
.LBB6_482:
	s_andn2_saveexec_b64 s[20:21], s[20:21]
	s_cbranch_execz .LBB6_484
; %bb.483:
	s_waitcnt vmcnt(0)
	v_bfe_u32 v13, v12, v6, 3
.LBB6_484:
	s_or_b64 exec, exec, s[20:21]
.LBB6_485:
	s_andn2_saveexec_b64 s[18:19], s[18:19]
	s_cbranch_execz .LBB6_487
; %bb.486:
	s_waitcnt vmcnt(0)
	v_bfe_u32 v13, v12, v7, 3
.LBB6_487:
	s_or_b64 exec, exec, s[18:19]
	s_andn2_b64 s[14:15], s[14:15], exec
	s_or_b64 exec, exec, s[4:5]
	s_and_saveexec_b64 s[4:5], s[14:15]
	s_cbranch_execnz .LBB6_138
	s_branch .LBB6_139
.LBB6_488:
	v_cmp_eq_u32_e64 s[4:5], 21, v10
	s_mov_b64 s[18:19], -1
                                        ; implicit-def: $vgpr13
	s_and_saveexec_b64 s[22:23], s[4:5]
	s_cbranch_execz .LBB6_490
; %bb.489:
	global_load_dword v13, v[2:3], off offset:4
	s_xor_b64 s[18:19], exec, -1
	s_waitcnt vmcnt(0)
	v_alignbit_b32 v13, v13, v12, 31
	v_and_b32_e32 v13, 7, v13
.LBB6_490:
	s_or_b64 exec, exec, s[22:23]
	s_and_b64 s[18:19], s[18:19], exec
	s_andn2_saveexec_b64 s[4:5], s[20:21]
	s_cbranch_execz .LBB6_141
.LBB6_491:
	s_andn2_b64 s[18:19], s[18:19], exec
	s_and_b64 s[20:21], s[2:3], exec
	s_mov_b64 s[14:15], exec
	s_or_b64 s[18:19], s[18:19], s[20:21]
	s_or_b64 exec, exec, s[4:5]
	s_and_saveexec_b64 s[4:5], s[18:19]
	s_xor_b64 s[4:5], exec, s[4:5]
	s_cbranch_execz .LBB6_142
.LBB6_492:
                                        ; implicit-def: $vgpr13
	s_and_saveexec_b64 s[18:19], s[0:1]
	s_xor_b64 s[18:19], exec, s[18:19]
	s_cbranch_execz .LBB6_498
; %bb.493:
                                        ; implicit-def: $vgpr13
	s_and_saveexec_b64 s[20:21], vcc
	s_xor_b64 s[20:21], exec, s[20:21]
	s_cbranch_execz .LBB6_495
; %bb.494:
	s_waitcnt vmcnt(0)
	v_bfe_u32 v13, v12, v9, 3
.LBB6_495:
	s_andn2_saveexec_b64 s[20:21], s[20:21]
	s_cbranch_execz .LBB6_497
; %bb.496:
	s_waitcnt vmcnt(0)
	v_bfe_u32 v13, v12, v6, 3
.LBB6_497:
	s_or_b64 exec, exec, s[20:21]
.LBB6_498:
	s_andn2_saveexec_b64 s[18:19], s[18:19]
	s_cbranch_execz .LBB6_500
; %bb.499:
	s_waitcnt vmcnt(0)
	v_bfe_u32 v13, v12, v7, 3
.LBB6_500:
	s_or_b64 exec, exec, s[18:19]
	s_andn2_b64 s[14:15], s[14:15], exec
	s_or_b64 exec, exec, s[4:5]
	s_and_saveexec_b64 s[4:5], s[14:15]
	s_cbranch_execnz .LBB6_143
	s_branch .LBB6_144
.LBB6_501:
	v_cmp_eq_u32_e64 s[4:5], 21, v10
	s_mov_b64 s[18:19], -1
                                        ; implicit-def: $vgpr13
	s_and_saveexec_b64 s[22:23], s[4:5]
	s_cbranch_execz .LBB6_503
; %bb.502:
	global_load_dword v13, v[2:3], off offset:4
	s_xor_b64 s[18:19], exec, -1
	s_waitcnt vmcnt(0)
	v_alignbit_b32 v13, v13, v12, 31
	v_and_b32_e32 v13, 7, v13
.LBB6_503:
	s_or_b64 exec, exec, s[22:23]
	s_and_b64 s[18:19], s[18:19], exec
	s_andn2_saveexec_b64 s[4:5], s[20:21]
	s_cbranch_execz .LBB6_146
.LBB6_504:
	s_andn2_b64 s[18:19], s[18:19], exec
	s_and_b64 s[20:21], s[2:3], exec
	s_mov_b64 s[14:15], exec
	s_or_b64 s[18:19], s[18:19], s[20:21]
	s_or_b64 exec, exec, s[4:5]
	s_and_saveexec_b64 s[4:5], s[18:19]
	s_xor_b64 s[4:5], exec, s[4:5]
	s_cbranch_execz .LBB6_147
.LBB6_505:
                                        ; implicit-def: $vgpr13
	s_and_saveexec_b64 s[18:19], s[0:1]
	s_xor_b64 s[18:19], exec, s[18:19]
	s_cbranch_execz .LBB6_511
; %bb.506:
                                        ; implicit-def: $vgpr13
	s_and_saveexec_b64 s[20:21], vcc
	s_xor_b64 s[20:21], exec, s[20:21]
	s_cbranch_execz .LBB6_508
; %bb.507:
	s_waitcnt vmcnt(0)
	v_bfe_u32 v13, v12, v9, 3
.LBB6_508:
	s_andn2_saveexec_b64 s[20:21], s[20:21]
	s_cbranch_execz .LBB6_510
; %bb.509:
	s_waitcnt vmcnt(0)
	v_bfe_u32 v13, v12, v6, 3
.LBB6_510:
	s_or_b64 exec, exec, s[20:21]
.LBB6_511:
	s_andn2_saveexec_b64 s[18:19], s[18:19]
	s_cbranch_execz .LBB6_513
; %bb.512:
	s_waitcnt vmcnt(0)
	v_bfe_u32 v13, v12, v7, 3
.LBB6_513:
	s_or_b64 exec, exec, s[18:19]
	s_andn2_b64 s[14:15], s[14:15], exec
	s_or_b64 exec, exec, s[4:5]
	s_and_saveexec_b64 s[4:5], s[14:15]
	s_cbranch_execnz .LBB6_148
	s_branch .LBB6_149
.LBB6_514:
	v_cmp_eq_u32_e64 s[4:5], 21, v10
	s_mov_b64 s[18:19], -1
                                        ; implicit-def: $vgpr13
	s_and_saveexec_b64 s[22:23], s[4:5]
	s_cbranch_execz .LBB6_516
; %bb.515:
	global_load_dword v13, v[2:3], off offset:4
	s_xor_b64 s[18:19], exec, -1
	s_waitcnt vmcnt(0)
	v_alignbit_b32 v13, v13, v12, 31
	v_and_b32_e32 v13, 7, v13
.LBB6_516:
	s_or_b64 exec, exec, s[22:23]
	s_and_b64 s[18:19], s[18:19], exec
	s_andn2_saveexec_b64 s[4:5], s[20:21]
	s_cbranch_execz .LBB6_151
.LBB6_517:
	s_andn2_b64 s[18:19], s[18:19], exec
	s_and_b64 s[20:21], s[2:3], exec
	s_mov_b64 s[14:15], exec
	s_or_b64 s[18:19], s[18:19], s[20:21]
	s_or_b64 exec, exec, s[4:5]
	s_and_saveexec_b64 s[4:5], s[18:19]
	s_xor_b64 s[4:5], exec, s[4:5]
	s_cbranch_execz .LBB6_152
.LBB6_518:
                                        ; implicit-def: $vgpr13
	s_and_saveexec_b64 s[18:19], s[0:1]
	s_xor_b64 s[18:19], exec, s[18:19]
	s_cbranch_execz .LBB6_524
; %bb.519:
                                        ; implicit-def: $vgpr13
	s_and_saveexec_b64 s[20:21], vcc
	s_xor_b64 s[20:21], exec, s[20:21]
	s_cbranch_execz .LBB6_521
; %bb.520:
	s_waitcnt vmcnt(0)
	v_bfe_u32 v13, v12, v9, 3
.LBB6_521:
	s_andn2_saveexec_b64 s[20:21], s[20:21]
	s_cbranch_execz .LBB6_523
; %bb.522:
	s_waitcnt vmcnt(0)
	v_bfe_u32 v13, v12, v6, 3
.LBB6_523:
	s_or_b64 exec, exec, s[20:21]
.LBB6_524:
	s_andn2_saveexec_b64 s[18:19], s[18:19]
	s_cbranch_execz .LBB6_526
; %bb.525:
	s_waitcnt vmcnt(0)
	v_bfe_u32 v13, v12, v7, 3
.LBB6_526:
	s_or_b64 exec, exec, s[18:19]
	s_andn2_b64 s[14:15], s[14:15], exec
	s_or_b64 exec, exec, s[4:5]
	s_and_saveexec_b64 s[4:5], s[14:15]
	s_cbranch_execnz .LBB6_153
	s_branch .LBB6_154
.LBB6_527:
	v_cmp_eq_u32_e64 s[4:5], 21, v10
	s_mov_b64 s[18:19], -1
                                        ; implicit-def: $vgpr13
	s_and_saveexec_b64 s[22:23], s[4:5]
	s_cbranch_execz .LBB6_529
; %bb.528:
	global_load_dword v13, v[2:3], off offset:4
	s_xor_b64 s[18:19], exec, -1
	s_waitcnt vmcnt(0)
	v_alignbit_b32 v13, v13, v12, 31
	v_and_b32_e32 v13, 7, v13
.LBB6_529:
	s_or_b64 exec, exec, s[22:23]
	s_and_b64 s[18:19], s[18:19], exec
	s_andn2_saveexec_b64 s[4:5], s[20:21]
	s_cbranch_execz .LBB6_156
.LBB6_530:
	s_andn2_b64 s[18:19], s[18:19], exec
	s_and_b64 s[20:21], s[2:3], exec
	s_mov_b64 s[14:15], exec
	s_or_b64 s[18:19], s[18:19], s[20:21]
	s_or_b64 exec, exec, s[4:5]
	s_and_saveexec_b64 s[4:5], s[18:19]
	s_xor_b64 s[4:5], exec, s[4:5]
	s_cbranch_execz .LBB6_157
.LBB6_531:
                                        ; implicit-def: $vgpr13
	s_and_saveexec_b64 s[18:19], s[0:1]
	s_xor_b64 s[18:19], exec, s[18:19]
	s_cbranch_execz .LBB6_537
; %bb.532:
                                        ; implicit-def: $vgpr13
	s_and_saveexec_b64 s[20:21], vcc
	s_xor_b64 s[20:21], exec, s[20:21]
	s_cbranch_execz .LBB6_534
; %bb.533:
	s_waitcnt vmcnt(0)
	v_bfe_u32 v13, v12, v9, 3
.LBB6_534:
	s_andn2_saveexec_b64 s[20:21], s[20:21]
	s_cbranch_execz .LBB6_536
; %bb.535:
	s_waitcnt vmcnt(0)
	v_bfe_u32 v13, v12, v6, 3
.LBB6_536:
	s_or_b64 exec, exec, s[20:21]
.LBB6_537:
	s_andn2_saveexec_b64 s[18:19], s[18:19]
	s_cbranch_execz .LBB6_539
; %bb.538:
	s_waitcnt vmcnt(0)
	v_bfe_u32 v13, v12, v7, 3
.LBB6_539:
	s_or_b64 exec, exec, s[18:19]
	s_andn2_b64 s[14:15], s[14:15], exec
	s_or_b64 exec, exec, s[4:5]
	s_and_saveexec_b64 s[4:5], s[14:15]
	s_cbranch_execnz .LBB6_158
	s_branch .LBB6_159
.LBB6_540:
	v_cmp_eq_u32_e64 s[4:5], 21, v10
	s_mov_b64 s[18:19], -1
                                        ; implicit-def: $vgpr13
	s_and_saveexec_b64 s[22:23], s[4:5]
	s_cbranch_execz .LBB6_542
; %bb.541:
	global_load_dword v13, v[2:3], off offset:4
	s_xor_b64 s[18:19], exec, -1
	s_waitcnt vmcnt(0)
	v_alignbit_b32 v13, v13, v12, 31
	v_and_b32_e32 v13, 7, v13
.LBB6_542:
	s_or_b64 exec, exec, s[22:23]
	s_and_b64 s[18:19], s[18:19], exec
	s_andn2_saveexec_b64 s[4:5], s[20:21]
	s_cbranch_execz .LBB6_161
.LBB6_543:
	s_andn2_b64 s[18:19], s[18:19], exec
	s_and_b64 s[20:21], s[2:3], exec
	s_mov_b64 s[14:15], exec
	s_or_b64 s[18:19], s[18:19], s[20:21]
	s_or_b64 exec, exec, s[4:5]
	s_and_saveexec_b64 s[4:5], s[18:19]
	s_xor_b64 s[4:5], exec, s[4:5]
	s_cbranch_execz .LBB6_162
.LBB6_544:
                                        ; implicit-def: $vgpr13
	s_and_saveexec_b64 s[18:19], s[0:1]
	s_xor_b64 s[18:19], exec, s[18:19]
	s_cbranch_execz .LBB6_550
; %bb.545:
                                        ; implicit-def: $vgpr13
	s_and_saveexec_b64 s[20:21], vcc
	s_xor_b64 s[20:21], exec, s[20:21]
	s_cbranch_execz .LBB6_547
; %bb.546:
	s_waitcnt vmcnt(0)
	v_bfe_u32 v13, v12, v9, 3
.LBB6_547:
	s_andn2_saveexec_b64 s[20:21], s[20:21]
	s_cbranch_execz .LBB6_549
; %bb.548:
	s_waitcnt vmcnt(0)
	v_bfe_u32 v13, v12, v6, 3
.LBB6_549:
	s_or_b64 exec, exec, s[20:21]
.LBB6_550:
	s_andn2_saveexec_b64 s[18:19], s[18:19]
	s_cbranch_execz .LBB6_552
; %bb.551:
	s_waitcnt vmcnt(0)
	v_bfe_u32 v13, v12, v7, 3
.LBB6_552:
	s_or_b64 exec, exec, s[18:19]
	s_andn2_b64 s[14:15], s[14:15], exec
	s_or_b64 exec, exec, s[4:5]
	s_and_saveexec_b64 s[4:5], s[14:15]
	s_cbranch_execnz .LBB6_163
	s_branch .LBB6_164
.LBB6_553:
	v_cmp_eq_u32_e64 s[4:5], 21, v10
	s_mov_b64 s[18:19], -1
                                        ; implicit-def: $vgpr13
	s_and_saveexec_b64 s[22:23], s[4:5]
	s_cbranch_execz .LBB6_555
; %bb.554:
	global_load_dword v13, v[2:3], off offset:4
	s_xor_b64 s[18:19], exec, -1
	s_waitcnt vmcnt(0)
	v_alignbit_b32 v13, v13, v12, 31
	v_and_b32_e32 v13, 7, v13
.LBB6_555:
	s_or_b64 exec, exec, s[22:23]
	s_and_b64 s[18:19], s[18:19], exec
	s_andn2_saveexec_b64 s[4:5], s[20:21]
	s_cbranch_execz .LBB6_166
.LBB6_556:
	s_andn2_b64 s[18:19], s[18:19], exec
	s_and_b64 s[20:21], s[2:3], exec
	s_mov_b64 s[14:15], exec
	s_or_b64 s[18:19], s[18:19], s[20:21]
	s_or_b64 exec, exec, s[4:5]
	s_and_saveexec_b64 s[4:5], s[18:19]
	s_xor_b64 s[4:5], exec, s[4:5]
	s_cbranch_execz .LBB6_167
.LBB6_557:
                                        ; implicit-def: $vgpr13
	s_and_saveexec_b64 s[18:19], s[0:1]
	s_xor_b64 s[18:19], exec, s[18:19]
	s_cbranch_execz .LBB6_563
; %bb.558:
                                        ; implicit-def: $vgpr13
	s_and_saveexec_b64 s[20:21], vcc
	s_xor_b64 s[20:21], exec, s[20:21]
	s_cbranch_execz .LBB6_560
; %bb.559:
	s_waitcnt vmcnt(0)
	v_bfe_u32 v13, v12, v9, 3
.LBB6_560:
	s_andn2_saveexec_b64 s[20:21], s[20:21]
	s_cbranch_execz .LBB6_562
; %bb.561:
	s_waitcnt vmcnt(0)
	v_bfe_u32 v13, v12, v6, 3
.LBB6_562:
	s_or_b64 exec, exec, s[20:21]
.LBB6_563:
	s_andn2_saveexec_b64 s[18:19], s[18:19]
	s_cbranch_execz .LBB6_565
; %bb.564:
	s_waitcnt vmcnt(0)
	v_bfe_u32 v13, v12, v7, 3
.LBB6_565:
	s_or_b64 exec, exec, s[18:19]
	s_andn2_b64 s[14:15], s[14:15], exec
	s_or_b64 exec, exec, s[4:5]
	s_and_saveexec_b64 s[4:5], s[14:15]
	s_cbranch_execnz .LBB6_168
	s_branch .LBB6_169
.LBB6_566:
	v_cmp_eq_u32_e64 s[4:5], 21, v10
	s_mov_b64 s[10:11], -1
                                        ; implicit-def: $vgpr11
	s_and_saveexec_b64 s[14:15], s[4:5]
	s_cbranch_execz .LBB6_568
; %bb.567:
	global_load_dword v10, v[2:3], off offset:4
	s_xor_b64 s[10:11], exec, -1
	s_waitcnt vmcnt(0)
	v_alignbit_b32 v10, v10, v8, 31
	v_and_b32_e32 v11, 7, v10
.LBB6_568:
	s_or_b64 exec, exec, s[14:15]
	s_and_b64 s[10:11], s[10:11], exec
	s_andn2_saveexec_b64 s[4:5], s[12:13]
	s_cbranch_execz .LBB6_171
.LBB6_569:
	s_andn2_b64 s[10:11], s[10:11], exec
	s_and_b64 s[2:3], s[2:3], exec
	s_mov_b64 s[6:7], exec
	s_or_b64 s[10:11], s[10:11], s[2:3]
	s_or_b64 exec, exec, s[4:5]
	s_and_saveexec_b64 s[2:3], s[10:11]
	s_xor_b64 s[2:3], exec, s[2:3]
	s_cbranch_execz .LBB6_172
.LBB6_570:
                                        ; implicit-def: $vgpr11
	s_and_saveexec_b64 s[4:5], s[0:1]
	s_xor_b64 s[0:1], exec, s[4:5]
	s_cbranch_execz .LBB6_576
; %bb.571:
                                        ; implicit-def: $vgpr11
	s_and_saveexec_b64 s[4:5], vcc
	s_xor_b64 s[4:5], exec, s[4:5]
	s_cbranch_execz .LBB6_573
; %bb.572:
	s_waitcnt vmcnt(0)
	v_bfe_u32 v11, v8, v9, 3
                                        ; implicit-def: $vgpr6
.LBB6_573:
	s_andn2_saveexec_b64 s[4:5], s[4:5]
	s_cbranch_execz .LBB6_575
; %bb.574:
	s_waitcnt vmcnt(0)
	v_bfe_u32 v11, v8, v6, 3
.LBB6_575:
	s_or_b64 exec, exec, s[4:5]
                                        ; implicit-def: $vgpr7
.LBB6_576:
	s_andn2_saveexec_b64 s[0:1], s[0:1]
	s_cbranch_execz .LBB6_578
; %bb.577:
	s_waitcnt vmcnt(0)
	v_bfe_u32 v11, v8, v7, 3
.LBB6_578:
	s_or_b64 exec, exec, s[0:1]
	s_andn2_b64 s[6:7], s[6:7], exec
	s_or_b64 exec, exec, s[2:3]
	s_and_saveexec_b64 s[0:1], s[6:7]
	s_cbranch_execnz .LBB6_173
	s_branch .LBB6_174
	.section	.rodata,"a",@progbits
	.p2align	6, 0x0
	.amdhsa_kernel _ZN4vllm4gptq28reconstruct_gptq_3bit_kernelEPKjPK6__halfS2_PKiiiibPS3_
		.amdhsa_group_segment_fixed_size 0
		.amdhsa_private_segment_fixed_size 0
		.amdhsa_kernarg_size 56
		.amdhsa_user_sgpr_count 6
		.amdhsa_user_sgpr_private_segment_buffer 1
		.amdhsa_user_sgpr_dispatch_ptr 0
		.amdhsa_user_sgpr_queue_ptr 0
		.amdhsa_user_sgpr_kernarg_segment_ptr 1
		.amdhsa_user_sgpr_dispatch_id 0
		.amdhsa_user_sgpr_flat_scratch_init 0
		.amdhsa_user_sgpr_private_segment_size 0
		.amdhsa_uses_dynamic_stack 0
		.amdhsa_system_sgpr_private_segment_wavefront_offset 0
		.amdhsa_system_sgpr_workgroup_id_x 1
		.amdhsa_system_sgpr_workgroup_id_y 1
		.amdhsa_system_sgpr_workgroup_id_z 0
		.amdhsa_system_sgpr_workgroup_info 0
		.amdhsa_system_vgpr_workitem_id 0
		.amdhsa_next_free_vgpr 16
		.amdhsa_next_free_sgpr 27
		.amdhsa_reserve_vcc 1
		.amdhsa_reserve_flat_scratch 0
		.amdhsa_float_round_mode_32 0
		.amdhsa_float_round_mode_16_64 0
		.amdhsa_float_denorm_mode_32 3
		.amdhsa_float_denorm_mode_16_64 3
		.amdhsa_dx10_clamp 1
		.amdhsa_ieee_mode 1
		.amdhsa_fp16_overflow 0
		.amdhsa_exception_fp_ieee_invalid_op 0
		.amdhsa_exception_fp_denorm_src 0
		.amdhsa_exception_fp_ieee_div_zero 0
		.amdhsa_exception_fp_ieee_overflow 0
		.amdhsa_exception_fp_ieee_underflow 0
		.amdhsa_exception_fp_ieee_inexact 0
		.amdhsa_exception_int_div_zero 0
	.end_amdhsa_kernel
	.text
.Lfunc_end6:
	.size	_ZN4vllm4gptq28reconstruct_gptq_3bit_kernelEPKjPK6__halfS2_PKiiiibPS3_, .Lfunc_end6-_ZN4vllm4gptq28reconstruct_gptq_3bit_kernelEPKjPK6__halfS2_PKiiiibPS3_
                                        ; -- End function
	.set _ZN4vllm4gptq28reconstruct_gptq_3bit_kernelEPKjPK6__halfS2_PKiiiibPS3_.num_vgpr, 16
	.set _ZN4vllm4gptq28reconstruct_gptq_3bit_kernelEPKjPK6__halfS2_PKiiiibPS3_.num_agpr, 0
	.set _ZN4vllm4gptq28reconstruct_gptq_3bit_kernelEPKjPK6__halfS2_PKiiiibPS3_.numbered_sgpr, 27
	.set _ZN4vllm4gptq28reconstruct_gptq_3bit_kernelEPKjPK6__halfS2_PKiiiibPS3_.num_named_barrier, 0
	.set _ZN4vllm4gptq28reconstruct_gptq_3bit_kernelEPKjPK6__halfS2_PKiiiibPS3_.private_seg_size, 0
	.set _ZN4vllm4gptq28reconstruct_gptq_3bit_kernelEPKjPK6__halfS2_PKiiiibPS3_.uses_vcc, 1
	.set _ZN4vllm4gptq28reconstruct_gptq_3bit_kernelEPKjPK6__halfS2_PKiiiibPS3_.uses_flat_scratch, 0
	.set _ZN4vllm4gptq28reconstruct_gptq_3bit_kernelEPKjPK6__halfS2_PKiiiibPS3_.has_dyn_sized_stack, 0
	.set _ZN4vllm4gptq28reconstruct_gptq_3bit_kernelEPKjPK6__halfS2_PKiiiibPS3_.has_recursion, 0
	.set _ZN4vllm4gptq28reconstruct_gptq_3bit_kernelEPKjPK6__halfS2_PKiiiibPS3_.has_indirect_call, 0
	.section	.AMDGPU.csdata,"",@progbits
; Kernel info:
; codeLenInByte = 15488
; TotalNumSgprs: 31
; NumVgprs: 16
; ScratchSize: 0
; MemoryBound: 0
; FloatMode: 240
; IeeeMode: 1
; LDSByteSize: 0 bytes/workgroup (compile time only)
; SGPRBlocks: 3
; VGPRBlocks: 3
; NumSGPRsForWavesPerEU: 31
; NumVGPRsForWavesPerEU: 16
; Occupancy: 10
; WaveLimiterHint : 1
; COMPUTE_PGM_RSRC2:SCRATCH_EN: 0
; COMPUTE_PGM_RSRC2:USER_SGPR: 6
; COMPUTE_PGM_RSRC2:TRAP_HANDLER: 0
; COMPUTE_PGM_RSRC2:TGID_X_EN: 1
; COMPUTE_PGM_RSRC2:TGID_Y_EN: 1
; COMPUTE_PGM_RSRC2:TGID_Z_EN: 0
; COMPUTE_PGM_RSRC2:TIDIG_COMP_CNT: 0
	.text
	.protected	_ZN4vllm4gptq19shuffle_4bit_kernelEPjii ; -- Begin function _ZN4vllm4gptq19shuffle_4bit_kernelEPjii
	.globl	_ZN4vllm4gptq19shuffle_4bit_kernelEPjii
	.p2align	8
	.type	_ZN4vllm4gptq19shuffle_4bit_kernelEPjii,@function
_ZN4vllm4gptq19shuffle_4bit_kernelEPjii: ; @_ZN4vllm4gptq19shuffle_4bit_kernelEPjii
; %bb.0:
	s_load_dwordx2 s[0:1], s[4:5], 0x8
	v_lshl_add_u32 v0, s6, 5, v0
	s_mov_b32 s7, 0
	s_waitcnt lgkmcnt(0)
	s_cmp_gt_i32 s0, 0
	v_cmp_gt_u32_e32 vcc, s1, v0
	s_cselect_b64 s[2:3], -1, 0
	s_and_b64 s[2:3], vcc, s[2:3]
	s_and_saveexec_b64 s[8:9], s[2:3]
	s_cbranch_execz .LBB7_3
; %bb.1:
	s_load_dwordx2 s[2:3], s[4:5], 0x0
	v_mov_b32_e32 v1, 0
	v_lshlrev_b64 v[0:1], 2, v[0:1]
	s_waitcnt lgkmcnt(0)
	v_mov_b32_e32 v2, s3
	v_add_co_u32_e32 v0, vcc, s2, v0
	s_ashr_i32 s3, s1, 31
	s_mov_b32 s2, s1
	s_lshl_b64 s[2:3], s[2:3], 2
	v_addc_co_u32_e32 v1, vcc, v2, v1, vcc
	v_mov_b32_e32 v2, s3
.LBB7_2:                                ; =>This Inner Loop Header: Depth=1
	global_load_dword v3, v[0:1], off
	s_add_i32 s7, s7, 8
	s_cmp_lt_i32 s7, s0
	s_waitcnt vmcnt(0)
	v_lshrrev_b32_e32 v8, 8, v3
	v_lshrrev_b32_e32 v9, 12, v3
	v_lshlrev_b32_e32 v4, 12, v3
	v_lshlrev_b32_e32 v5, 8, v3
	v_lshrrev_b32_e32 v6, 4, v3
	v_lshlrev_b32_e32 v7, 4, v3
	v_and_b32_e32 v3, 0xf000000f, v3
	v_and_b32_e32 v8, 0xf00, v8
	;; [unrolled: 1-line block ×5, first 2 shown]
	v_or3_b32 v3, v3, v9, v8
	v_and_b32_e32 v4, 0xf0000, v4
	v_and_b32_e32 v5, 0xf00000, v5
	v_or3_b32 v3, v3, v7, v6
	v_or3_b32 v3, v3, v5, v4
	global_store_dword v[0:1], v3, off
	v_add_co_u32_e32 v0, vcc, s2, v0
	v_addc_co_u32_e32 v1, vcc, v1, v2, vcc
	s_cbranch_scc1 .LBB7_2
.LBB7_3:
	s_endpgm
	.section	.rodata,"a",@progbits
	.p2align	6, 0x0
	.amdhsa_kernel _ZN4vllm4gptq19shuffle_4bit_kernelEPjii
		.amdhsa_group_segment_fixed_size 0
		.amdhsa_private_segment_fixed_size 0
		.amdhsa_kernarg_size 16
		.amdhsa_user_sgpr_count 6
		.amdhsa_user_sgpr_private_segment_buffer 1
		.amdhsa_user_sgpr_dispatch_ptr 0
		.amdhsa_user_sgpr_queue_ptr 0
		.amdhsa_user_sgpr_kernarg_segment_ptr 1
		.amdhsa_user_sgpr_dispatch_id 0
		.amdhsa_user_sgpr_flat_scratch_init 0
		.amdhsa_user_sgpr_private_segment_size 0
		.amdhsa_uses_dynamic_stack 0
		.amdhsa_system_sgpr_private_segment_wavefront_offset 0
		.amdhsa_system_sgpr_workgroup_id_x 1
		.amdhsa_system_sgpr_workgroup_id_y 0
		.amdhsa_system_sgpr_workgroup_id_z 0
		.amdhsa_system_sgpr_workgroup_info 0
		.amdhsa_system_vgpr_workitem_id 0
		.amdhsa_next_free_vgpr 10
		.amdhsa_next_free_sgpr 10
		.amdhsa_reserve_vcc 1
		.amdhsa_reserve_flat_scratch 0
		.amdhsa_float_round_mode_32 0
		.amdhsa_float_round_mode_16_64 0
		.amdhsa_float_denorm_mode_32 3
		.amdhsa_float_denorm_mode_16_64 3
		.amdhsa_dx10_clamp 1
		.amdhsa_ieee_mode 1
		.amdhsa_fp16_overflow 0
		.amdhsa_exception_fp_ieee_invalid_op 0
		.amdhsa_exception_fp_denorm_src 0
		.amdhsa_exception_fp_ieee_div_zero 0
		.amdhsa_exception_fp_ieee_overflow 0
		.amdhsa_exception_fp_ieee_underflow 0
		.amdhsa_exception_fp_ieee_inexact 0
		.amdhsa_exception_int_div_zero 0
	.end_amdhsa_kernel
	.text
.Lfunc_end7:
	.size	_ZN4vllm4gptq19shuffle_4bit_kernelEPjii, .Lfunc_end7-_ZN4vllm4gptq19shuffle_4bit_kernelEPjii
                                        ; -- End function
	.set _ZN4vllm4gptq19shuffle_4bit_kernelEPjii.num_vgpr, 10
	.set _ZN4vllm4gptq19shuffle_4bit_kernelEPjii.num_agpr, 0
	.set _ZN4vllm4gptq19shuffle_4bit_kernelEPjii.numbered_sgpr, 10
	.set _ZN4vllm4gptq19shuffle_4bit_kernelEPjii.num_named_barrier, 0
	.set _ZN4vllm4gptq19shuffle_4bit_kernelEPjii.private_seg_size, 0
	.set _ZN4vllm4gptq19shuffle_4bit_kernelEPjii.uses_vcc, 1
	.set _ZN4vllm4gptq19shuffle_4bit_kernelEPjii.uses_flat_scratch, 0
	.set _ZN4vllm4gptq19shuffle_4bit_kernelEPjii.has_dyn_sized_stack, 0
	.set _ZN4vllm4gptq19shuffle_4bit_kernelEPjii.has_recursion, 0
	.set _ZN4vllm4gptq19shuffle_4bit_kernelEPjii.has_indirect_call, 0
	.section	.AMDGPU.csdata,"",@progbits
; Kernel info:
; codeLenInByte = 248
; TotalNumSgprs: 14
; NumVgprs: 10
; ScratchSize: 0
; MemoryBound: 0
; FloatMode: 240
; IeeeMode: 1
; LDSByteSize: 0 bytes/workgroup (compile time only)
; SGPRBlocks: 1
; VGPRBlocks: 2
; NumSGPRsForWavesPerEU: 14
; NumVGPRsForWavesPerEU: 10
; Occupancy: 10
; WaveLimiterHint : 0
; COMPUTE_PGM_RSRC2:SCRATCH_EN: 0
; COMPUTE_PGM_RSRC2:USER_SGPR: 6
; COMPUTE_PGM_RSRC2:TRAP_HANDLER: 0
; COMPUTE_PGM_RSRC2:TGID_X_EN: 1
; COMPUTE_PGM_RSRC2:TGID_Y_EN: 0
; COMPUTE_PGM_RSRC2:TGID_Z_EN: 0
; COMPUTE_PGM_RSRC2:TIDIG_COMP_CNT: 0
	.text
	.protected	_ZN4vllm4gptq19shuffle_8bit_kernelEPjii ; -- Begin function _ZN4vllm4gptq19shuffle_8bit_kernelEPjii
	.globl	_ZN4vllm4gptq19shuffle_8bit_kernelEPjii
	.p2align	8
	.type	_ZN4vllm4gptq19shuffle_8bit_kernelEPjii,@function
_ZN4vllm4gptq19shuffle_8bit_kernelEPjii: ; @_ZN4vllm4gptq19shuffle_8bit_kernelEPjii
; %bb.0:
	s_endpgm
	.section	.rodata,"a",@progbits
	.p2align	6, 0x0
	.amdhsa_kernel _ZN4vllm4gptq19shuffle_8bit_kernelEPjii
		.amdhsa_group_segment_fixed_size 0
		.amdhsa_private_segment_fixed_size 0
		.amdhsa_kernarg_size 16
		.amdhsa_user_sgpr_count 6
		.amdhsa_user_sgpr_private_segment_buffer 1
		.amdhsa_user_sgpr_dispatch_ptr 0
		.amdhsa_user_sgpr_queue_ptr 0
		.amdhsa_user_sgpr_kernarg_segment_ptr 1
		.amdhsa_user_sgpr_dispatch_id 0
		.amdhsa_user_sgpr_flat_scratch_init 0
		.amdhsa_user_sgpr_private_segment_size 0
		.amdhsa_uses_dynamic_stack 0
		.amdhsa_system_sgpr_private_segment_wavefront_offset 0
		.amdhsa_system_sgpr_workgroup_id_x 1
		.amdhsa_system_sgpr_workgroup_id_y 0
		.amdhsa_system_sgpr_workgroup_id_z 0
		.amdhsa_system_sgpr_workgroup_info 0
		.amdhsa_system_vgpr_workitem_id 0
		.amdhsa_next_free_vgpr 1
		.amdhsa_next_free_sgpr 0
		.amdhsa_reserve_vcc 0
		.amdhsa_reserve_flat_scratch 0
		.amdhsa_float_round_mode_32 0
		.amdhsa_float_round_mode_16_64 0
		.amdhsa_float_denorm_mode_32 3
		.amdhsa_float_denorm_mode_16_64 3
		.amdhsa_dx10_clamp 1
		.amdhsa_ieee_mode 1
		.amdhsa_fp16_overflow 0
		.amdhsa_exception_fp_ieee_invalid_op 0
		.amdhsa_exception_fp_denorm_src 0
		.amdhsa_exception_fp_ieee_div_zero 0
		.amdhsa_exception_fp_ieee_overflow 0
		.amdhsa_exception_fp_ieee_underflow 0
		.amdhsa_exception_fp_ieee_inexact 0
		.amdhsa_exception_int_div_zero 0
	.end_amdhsa_kernel
	.text
.Lfunc_end8:
	.size	_ZN4vllm4gptq19shuffle_8bit_kernelEPjii, .Lfunc_end8-_ZN4vllm4gptq19shuffle_8bit_kernelEPjii
                                        ; -- End function
	.set _ZN4vllm4gptq19shuffle_8bit_kernelEPjii.num_vgpr, 0
	.set _ZN4vllm4gptq19shuffle_8bit_kernelEPjii.num_agpr, 0
	.set _ZN4vllm4gptq19shuffle_8bit_kernelEPjii.numbered_sgpr, 0
	.set _ZN4vllm4gptq19shuffle_8bit_kernelEPjii.num_named_barrier, 0
	.set _ZN4vllm4gptq19shuffle_8bit_kernelEPjii.private_seg_size, 0
	.set _ZN4vllm4gptq19shuffle_8bit_kernelEPjii.uses_vcc, 0
	.set _ZN4vllm4gptq19shuffle_8bit_kernelEPjii.uses_flat_scratch, 0
	.set _ZN4vllm4gptq19shuffle_8bit_kernelEPjii.has_dyn_sized_stack, 0
	.set _ZN4vllm4gptq19shuffle_8bit_kernelEPjii.has_recursion, 0
	.set _ZN4vllm4gptq19shuffle_8bit_kernelEPjii.has_indirect_call, 0
	.section	.AMDGPU.csdata,"",@progbits
; Kernel info:
; codeLenInByte = 4
; TotalNumSgprs: 4
; NumVgprs: 0
; ScratchSize: 0
; MemoryBound: 0
; FloatMode: 240
; IeeeMode: 1
; LDSByteSize: 0 bytes/workgroup (compile time only)
; SGPRBlocks: 0
; VGPRBlocks: 0
; NumSGPRsForWavesPerEU: 4
; NumVGPRsForWavesPerEU: 1
; Occupancy: 10
; WaveLimiterHint : 0
; COMPUTE_PGM_RSRC2:SCRATCH_EN: 0
; COMPUTE_PGM_RSRC2:USER_SGPR: 6
; COMPUTE_PGM_RSRC2:TRAP_HANDLER: 0
; COMPUTE_PGM_RSRC2:TGID_X_EN: 1
; COMPUTE_PGM_RSRC2:TGID_Y_EN: 0
; COMPUTE_PGM_RSRC2:TGID_Z_EN: 0
; COMPUTE_PGM_RSRC2:TIDIG_COMP_CNT: 0
	.text
	.protected	_ZN4vllm4gptq19shuffle_2bit_kernelEPjii ; -- Begin function _ZN4vllm4gptq19shuffle_2bit_kernelEPjii
	.globl	_ZN4vllm4gptq19shuffle_2bit_kernelEPjii
	.p2align	8
	.type	_ZN4vllm4gptq19shuffle_2bit_kernelEPjii,@function
_ZN4vllm4gptq19shuffle_2bit_kernelEPjii: ; @_ZN4vllm4gptq19shuffle_2bit_kernelEPjii
; %bb.0:
	s_load_dwordx2 s[0:1], s[4:5], 0x8
	v_lshl_add_u32 v0, s6, 5, v0
	s_mov_b32 s7, 0
	s_waitcnt lgkmcnt(0)
	s_cmp_gt_i32 s0, 0
	v_cmp_gt_u32_e32 vcc, s1, v0
	s_cselect_b64 s[2:3], -1, 0
	s_and_b64 s[2:3], vcc, s[2:3]
	s_and_saveexec_b64 s[8:9], s[2:3]
	s_cbranch_execz .LBB9_3
; %bb.1:
	s_load_dwordx2 s[2:3], s[4:5], 0x0
	v_mov_b32_e32 v1, 0
	v_lshlrev_b64 v[0:1], 2, v[0:1]
	s_waitcnt lgkmcnt(0)
	v_mov_b32_e32 v2, s3
	v_add_co_u32_e32 v0, vcc, s2, v0
	s_ashr_i32 s3, s1, 31
	s_mov_b32 s2, s1
	s_lshl_b64 s[2:3], s[2:3], 2
	v_addc_co_u32_e32 v1, vcc, v2, v1, vcc
	v_mov_b32_e32 v2, s3
.LBB9_2:                                ; =>This Inner Loop Header: Depth=1
	global_load_dword v3, v[0:1], off
	s_add_i32 s7, s7, 16
	s_cmp_lt_i32 s7, s0
	s_waitcnt vmcnt(0)
	v_lshrrev_b32_e32 v16, 12, v3
	v_lshrrev_b32_e32 v17, 14, v3
	v_lshlrev_b32_e32 v4, 14, v3
	v_lshlrev_b32_e32 v5, 12, v3
	v_lshrrev_b32_e32 v6, 2, v3
	v_lshlrev_b32_e32 v7, 10, v3
	v_lshrrev_b32_e32 v8, 4, v3
	v_lshlrev_b32_e32 v9, 8, v3
	v_lshrrev_b32_e32 v10, 6, v3
	v_lshlrev_b32_e32 v11, 6, v3
	v_lshrrev_b32_e32 v12, 8, v3
	v_lshlrev_b32_e32 v13, 4, v3
	v_lshrrev_b32_e32 v14, 10, v3
	v_lshlrev_b32_e32 v15, 2, v3
	v_and_b32_e32 v3, 0xc0000003, v3
	v_and_b32_e32 v16, 0x3000, v16
	;; [unrolled: 1-line block ×5, first 2 shown]
	v_or3_b32 v3, v3, v17, v16
	v_and_b32_e32 v12, 0x300, v12
	v_and_b32_e32 v13, 0xc000000, v13
	v_or3_b32 v3, v3, v15, v14
	v_and_b32_e32 v10, 0xc0, v10
	v_and_b32_e32 v11, 0x3000000, v11
	;; [unrolled: 3-line block ×5, first 2 shown]
	v_or3_b32 v3, v3, v7, v6
	v_or3_b32 v3, v3, v5, v4
	global_store_dword v[0:1], v3, off
	v_add_co_u32_e32 v0, vcc, s2, v0
	v_addc_co_u32_e32 v1, vcc, v1, v2, vcc
	s_cbranch_scc1 .LBB9_2
.LBB9_3:
	s_endpgm
	.section	.rodata,"a",@progbits
	.p2align	6, 0x0
	.amdhsa_kernel _ZN4vllm4gptq19shuffle_2bit_kernelEPjii
		.amdhsa_group_segment_fixed_size 0
		.amdhsa_private_segment_fixed_size 0
		.amdhsa_kernarg_size 16
		.amdhsa_user_sgpr_count 6
		.amdhsa_user_sgpr_private_segment_buffer 1
		.amdhsa_user_sgpr_dispatch_ptr 0
		.amdhsa_user_sgpr_queue_ptr 0
		.amdhsa_user_sgpr_kernarg_segment_ptr 1
		.amdhsa_user_sgpr_dispatch_id 0
		.amdhsa_user_sgpr_flat_scratch_init 0
		.amdhsa_user_sgpr_private_segment_size 0
		.amdhsa_uses_dynamic_stack 0
		.amdhsa_system_sgpr_private_segment_wavefront_offset 0
		.amdhsa_system_sgpr_workgroup_id_x 1
		.amdhsa_system_sgpr_workgroup_id_y 0
		.amdhsa_system_sgpr_workgroup_id_z 0
		.amdhsa_system_sgpr_workgroup_info 0
		.amdhsa_system_vgpr_workitem_id 0
		.amdhsa_next_free_vgpr 18
		.amdhsa_next_free_sgpr 10
		.amdhsa_reserve_vcc 1
		.amdhsa_reserve_flat_scratch 0
		.amdhsa_float_round_mode_32 0
		.amdhsa_float_round_mode_16_64 0
		.amdhsa_float_denorm_mode_32 3
		.amdhsa_float_denorm_mode_16_64 3
		.amdhsa_dx10_clamp 1
		.amdhsa_ieee_mode 1
		.amdhsa_fp16_overflow 0
		.amdhsa_exception_fp_ieee_invalid_op 0
		.amdhsa_exception_fp_denorm_src 0
		.amdhsa_exception_fp_ieee_div_zero 0
		.amdhsa_exception_fp_ieee_overflow 0
		.amdhsa_exception_fp_ieee_underflow 0
		.amdhsa_exception_fp_ieee_inexact 0
		.amdhsa_exception_int_div_zero 0
	.end_amdhsa_kernel
	.text
.Lfunc_end9:
	.size	_ZN4vllm4gptq19shuffle_2bit_kernelEPjii, .Lfunc_end9-_ZN4vllm4gptq19shuffle_2bit_kernelEPjii
                                        ; -- End function
	.set _ZN4vllm4gptq19shuffle_2bit_kernelEPjii.num_vgpr, 18
	.set _ZN4vllm4gptq19shuffle_2bit_kernelEPjii.num_agpr, 0
	.set _ZN4vllm4gptq19shuffle_2bit_kernelEPjii.numbered_sgpr, 10
	.set _ZN4vllm4gptq19shuffle_2bit_kernelEPjii.num_named_barrier, 0
	.set _ZN4vllm4gptq19shuffle_2bit_kernelEPjii.private_seg_size, 0
	.set _ZN4vllm4gptq19shuffle_2bit_kernelEPjii.uses_vcc, 1
	.set _ZN4vllm4gptq19shuffle_2bit_kernelEPjii.uses_flat_scratch, 0
	.set _ZN4vllm4gptq19shuffle_2bit_kernelEPjii.has_dyn_sized_stack, 0
	.set _ZN4vllm4gptq19shuffle_2bit_kernelEPjii.has_recursion, 0
	.set _ZN4vllm4gptq19shuffle_2bit_kernelEPjii.has_indirect_call, 0
	.section	.AMDGPU.csdata,"",@progbits
; Kernel info:
; codeLenInByte = 368
; TotalNumSgprs: 14
; NumVgprs: 18
; ScratchSize: 0
; MemoryBound: 0
; FloatMode: 240
; IeeeMode: 1
; LDSByteSize: 0 bytes/workgroup (compile time only)
; SGPRBlocks: 1
; VGPRBlocks: 4
; NumSGPRsForWavesPerEU: 14
; NumVGPRsForWavesPerEU: 18
; Occupancy: 10
; WaveLimiterHint : 0
; COMPUTE_PGM_RSRC2:SCRATCH_EN: 0
; COMPUTE_PGM_RSRC2:USER_SGPR: 6
; COMPUTE_PGM_RSRC2:TRAP_HANDLER: 0
; COMPUTE_PGM_RSRC2:TGID_X_EN: 1
; COMPUTE_PGM_RSRC2:TGID_Y_EN: 0
; COMPUTE_PGM_RSRC2:TGID_Z_EN: 0
; COMPUTE_PGM_RSRC2:TIDIG_COMP_CNT: 0
	.text
	.protected	_ZN4vllm4gptq19shuffle_3bit_kernelEPjii ; -- Begin function _ZN4vllm4gptq19shuffle_3bit_kernelEPjii
	.globl	_ZN4vllm4gptq19shuffle_3bit_kernelEPjii
	.p2align	8
	.type	_ZN4vllm4gptq19shuffle_3bit_kernelEPjii,@function
_ZN4vllm4gptq19shuffle_3bit_kernelEPjii: ; @_ZN4vllm4gptq19shuffle_3bit_kernelEPjii
; %bb.0:
	s_load_dwordx2 s[0:1], s[4:5], 0x8
	v_lshl_add_u32 v0, s6, 5, v0
	s_mov_b32 s7, 0
	s_waitcnt lgkmcnt(0)
	s_cmp_gt_i32 s0, 0
	v_cmp_gt_u32_e32 vcc, s1, v0
	s_cselect_b64 s[2:3], -1, 0
	s_and_b64 s[2:3], vcc, s[2:3]
	s_and_saveexec_b64 s[8:9], s[2:3]
	s_cbranch_execz .LBB10_3
; %bb.1:
	s_load_dwordx2 s[2:3], s[4:5], 0x0
	v_mov_b32_e32 v1, 0
	v_lshlrev_b64 v[0:1], 2, v[0:1]
	s_ashr_i32 s5, s1, 31
	s_mov_b32 s4, s1
	s_waitcnt lgkmcnt(0)
	v_mov_b32_e32 v2, s3
	v_add_co_u32_e32 v0, vcc, s2, v0
	s_lshl_b64 s[2:3], s[4:5], 2
	s_lshl_b64 s[4:5], s[4:5], 3
	s_mul_hi_i32 s8, s1, 12
	v_addc_co_u32_e32 v1, vcc, v2, v1, vcc
	s_mul_i32 s1, s1, 12
	v_mov_b32_e32 v6, s3
	v_mov_b32_e32 v7, s5
	s_mov_b32 s3, 0x70000
	s_mov_b32 s5, 0x8000
	s_brev_b32 s6, 1
	v_mov_b32_e32 v8, s8
.LBB10_2:                               ; =>This Inner Loop Header: Depth=1
	global_load_dword v9, v[0:1], off
	v_add_co_u32_e32 v2, vcc, s2, v0
	v_addc_co_u32_e32 v3, vcc, v1, v6, vcc
	v_add_co_u32_e32 v4, vcc, s4, v0
	v_addc_co_u32_e32 v5, vcc, v1, v7, vcc
	global_load_dword v10, v[2:3], off
	global_load_dword v11, v[4:5], off
	s_add_i32 s7, s7, 32
	s_cmp_lt_i32 s7, s0
	s_waitcnt vmcnt(2)
	v_and_b32_e32 v12, 7, v9
	v_lshlrev_b32_e32 v13, 13, v9
	v_lshrrev_b32_e32 v14, 3, v9
	v_lshlrev_b32_e32 v15, 10, v9
	v_lshrrev_b32_e32 v16, 6, v9
	v_lshlrev_b32_e32 v17, 7, v9
	v_and_or_b32 v12, v13, s3, v12
	v_and_b32_e32 v14, 56, v14
	v_and_b32_e32 v15, 0x380000, v15
	v_lshrrev_b32_e32 v18, 9, v9
	v_lshlrev_b32_e32 v19, 4, v9
	v_or3_b32 v12, v12, v14, v15
	v_and_b32_e32 v16, 0x1c0, v16
	v_and_b32_e32 v17, 0x1c00000, v17
	v_lshrrev_b32_e32 v13, 12, v9
	v_lshlrev_b32_e32 v14, 1, v9
	v_and_b32_e32 v18, 0xe00, v18
	v_and_b32_e32 v19, 0xe000000, v19
	s_waitcnt vmcnt(1)
	v_alignbit_b32 v9, v10, v9, 30
	v_or3_b32 v12, v12, v16, v17
	v_or3_b32 v12, v12, v18, v19
	s_waitcnt vmcnt(0)
	v_lshlrev_b32_e32 v18, 1, v11
	v_and_b32_e32 v19, 7, v9
	v_lshrrev_b32_e32 v16, 12, v11
	v_and_or_b32 v18, v18, s6, v19
	v_lshlrev_b32_e32 v19, 13, v9
	v_and_b32_e32 v16, 0x8000, v16
	v_and_b32_e32 v19, 0x70000, v19
	v_alignbit_b32 v15, v11, v10, 28
	v_and_b32_e32 v10, 0x70000000, v14
	v_lshrrev_b32_e32 v14, 11, v11
	v_lshrrev_b32_e32 v17, 13, v11
	v_or3_b32 v16, v18, v16, v19
	v_lshlrev_b32_e32 v18, 2, v11
	v_and_b32_e32 v11, 0x80000000, v11
	v_and_or_b32 v11, v17, s5, v11
	v_lshlrev_b32_e32 v17, 13, v15
	v_and_b32_e32 v19, 7, v15
	v_and_b32_e32 v17, 0x70000, v17
	;; [unrolled: 1-line block ×3, first 2 shown]
	v_or3_b32 v11, v11, v19, v17
	v_lshrrev_b32_e32 v17, 3, v9
	v_lshlrev_b32_e32 v19, 10, v9
	v_or3_b32 v10, v12, v13, v10
	v_lshrrev_b32_e32 v12, 6, v9
	v_lshlrev_b32_e32 v13, 7, v9
	v_and_b32_e32 v17, 56, v17
	v_and_b32_e32 v19, 0x380000, v19
	v_or3_b32 v16, v16, v17, v19
	v_lshrrev_b32_e32 v17, 3, v15
	v_lshlrev_b32_e32 v19, 10, v15
	v_and_b32_e32 v14, 0x8000, v14
	v_and_b32_e32 v18, 0x80000000, v18
	;; [unrolled: 1-line block ×6, first 2 shown]
	v_or3_b32 v10, v10, v18, v14
	v_lshrrev_b32_e32 v18, 6, v15
	v_or3_b32 v12, v16, v12, v13
	v_lshlrev_b32_e32 v13, 7, v15
	v_or3_b32 v11, v11, v17, v19
	v_lshrrev_b32_e32 v17, 9, v9
	v_lshlrev_b32_e32 v19, 4, v9
	v_and_b32_e32 v18, 0x1c0, v18
	v_and_b32_e32 v13, 0x1c00000, v13
	v_lshrrev_b32_e32 v14, 12, v9
	v_lshrrev_b32_e32 v16, 9, v15
	v_or3_b32 v11, v11, v18, v13
	v_lshlrev_b32_e32 v13, 4, v15
	v_lshlrev_b32_e32 v9, 1, v9
	v_and_b32_e32 v17, 0xe00, v17
	v_and_b32_e32 v19, 0xe000000, v19
	v_lshrrev_b32_e32 v18, 12, v15
	v_lshlrev_b32_e32 v15, 1, v15
	v_and_b32_e32 v14, 0x7000, v14
	v_and_b32_e32 v16, 0xe00, v16
	;; [unrolled: 1-line block ×4, first 2 shown]
	v_or3_b32 v12, v12, v17, v19
	global_store_dword v[0:1], v10, off
	v_add_co_u32_e32 v0, vcc, s1, v0
	v_and_b32_e32 v18, 0x7000, v18
	v_and_b32_e32 v15, 0x70000000, v15
	v_or3_b32 v11, v11, v16, v13
	v_addc_co_u32_e32 v1, vcc, v1, v8, vcc
	v_or3_b32 v9, v12, v14, v9
	v_or3_b32 v10, v11, v18, v15
	global_store_dword v[2:3], v9, off
	global_store_dword v[4:5], v10, off
	s_cbranch_scc1 .LBB10_2
.LBB10_3:
	s_endpgm
	.section	.rodata,"a",@progbits
	.p2align	6, 0x0
	.amdhsa_kernel _ZN4vllm4gptq19shuffle_3bit_kernelEPjii
		.amdhsa_group_segment_fixed_size 0
		.amdhsa_private_segment_fixed_size 0
		.amdhsa_kernarg_size 16
		.amdhsa_user_sgpr_count 6
		.amdhsa_user_sgpr_private_segment_buffer 1
		.amdhsa_user_sgpr_dispatch_ptr 0
		.amdhsa_user_sgpr_queue_ptr 0
		.amdhsa_user_sgpr_kernarg_segment_ptr 1
		.amdhsa_user_sgpr_dispatch_id 0
		.amdhsa_user_sgpr_flat_scratch_init 0
		.amdhsa_user_sgpr_private_segment_size 0
		.amdhsa_uses_dynamic_stack 0
		.amdhsa_system_sgpr_private_segment_wavefront_offset 0
		.amdhsa_system_sgpr_workgroup_id_x 1
		.amdhsa_system_sgpr_workgroup_id_y 0
		.amdhsa_system_sgpr_workgroup_id_z 0
		.amdhsa_system_sgpr_workgroup_info 0
		.amdhsa_system_vgpr_workitem_id 0
		.amdhsa_next_free_vgpr 20
		.amdhsa_next_free_sgpr 10
		.amdhsa_reserve_vcc 1
		.amdhsa_reserve_flat_scratch 0
		.amdhsa_float_round_mode_32 0
		.amdhsa_float_round_mode_16_64 0
		.amdhsa_float_denorm_mode_32 3
		.amdhsa_float_denorm_mode_16_64 3
		.amdhsa_dx10_clamp 1
		.amdhsa_ieee_mode 1
		.amdhsa_fp16_overflow 0
		.amdhsa_exception_fp_ieee_invalid_op 0
		.amdhsa_exception_fp_denorm_src 0
		.amdhsa_exception_fp_ieee_div_zero 0
		.amdhsa_exception_fp_ieee_overflow 0
		.amdhsa_exception_fp_ieee_underflow 0
		.amdhsa_exception_fp_ieee_inexact 0
		.amdhsa_exception_int_div_zero 0
	.end_amdhsa_kernel
	.text
.Lfunc_end10:
	.size	_ZN4vllm4gptq19shuffle_3bit_kernelEPjii, .Lfunc_end10-_ZN4vllm4gptq19shuffle_3bit_kernelEPjii
                                        ; -- End function
	.set _ZN4vllm4gptq19shuffle_3bit_kernelEPjii.num_vgpr, 20
	.set _ZN4vllm4gptq19shuffle_3bit_kernelEPjii.num_agpr, 0
	.set _ZN4vllm4gptq19shuffle_3bit_kernelEPjii.numbered_sgpr, 10
	.set _ZN4vllm4gptq19shuffle_3bit_kernelEPjii.num_named_barrier, 0
	.set _ZN4vllm4gptq19shuffle_3bit_kernelEPjii.private_seg_size, 0
	.set _ZN4vllm4gptq19shuffle_3bit_kernelEPjii.uses_vcc, 1
	.set _ZN4vllm4gptq19shuffle_3bit_kernelEPjii.uses_flat_scratch, 0
	.set _ZN4vllm4gptq19shuffle_3bit_kernelEPjii.has_dyn_sized_stack, 0
	.set _ZN4vllm4gptq19shuffle_3bit_kernelEPjii.has_recursion, 0
	.set _ZN4vllm4gptq19shuffle_3bit_kernelEPjii.has_indirect_call, 0
	.section	.AMDGPU.csdata,"",@progbits
; Kernel info:
; codeLenInByte = 768
; TotalNumSgprs: 14
; NumVgprs: 20
; ScratchSize: 0
; MemoryBound: 0
; FloatMode: 240
; IeeeMode: 1
; LDSByteSize: 0 bytes/workgroup (compile time only)
; SGPRBlocks: 1
; VGPRBlocks: 4
; NumSGPRsForWavesPerEU: 14
; NumVGPRsForWavesPerEU: 20
; Occupancy: 10
; WaveLimiterHint : 0
; COMPUTE_PGM_RSRC2:SCRATCH_EN: 0
; COMPUTE_PGM_RSRC2:USER_SGPR: 6
; COMPUTE_PGM_RSRC2:TRAP_HANDLER: 0
; COMPUTE_PGM_RSRC2:TGID_X_EN: 1
; COMPUTE_PGM_RSRC2:TGID_Y_EN: 0
; COMPUTE_PGM_RSRC2:TGID_Z_EN: 0
; COMPUTE_PGM_RSRC2:TIDIG_COMP_CNT: 0
	.text
	.protected	_ZN4vllm4gptq27make_sequential_4bit_kernelEPKjPjPKii ; -- Begin function _ZN4vllm4gptq27make_sequential_4bit_kernelEPKjPjPKii
	.globl	_ZN4vllm4gptq27make_sequential_4bit_kernelEPKjPjPKii
	.p2align	8
	.type	_ZN4vllm4gptq27make_sequential_4bit_kernelEPKjPjPKii,@function
_ZN4vllm4gptq27make_sequential_4bit_kernelEPKjPjPKii: ; @_ZN4vllm4gptq27make_sequential_4bit_kernelEPKjPjPKii
; %bb.0:
	s_load_dword s0, s[4:5], 0x18
	v_lshl_add_u32 v6, s6, 5, v0
	s_waitcnt lgkmcnt(0)
	s_ashr_i32 s16, s0, 1
	v_cmp_gt_u32_e32 vcc, s16, v6
	s_and_saveexec_b64 s[0:1], vcc
	s_cbranch_execz .LBB11_2
; %bb.1:
	s_load_dwordx2 s[8:9], s[4:5], 0x10
	s_load_dwordx4 s[0:3], s[4:5], 0x0
	s_lshl_b32 s4, s7, 3
	s_ashr_i32 s5, s4, 31
	s_lshl_b64 s[4:5], s[4:5], 2
	s_waitcnt lgkmcnt(0)
	s_add_u32 s4, s8, s4
	s_addc_u32 s5, s9, s5
	s_load_dwordx8 s[8:15], s[4:5], 0x0
	v_mov_b32_e32 v1, 0
	v_mov_b32_e32 v4, s1
	s_waitcnt lgkmcnt(0)
	s_ashr_i32 s4, s8, 3
	s_mul_i32 s4, s4, s16
	v_add_u32_e32 v0, s4, v6
	v_lshlrev_b64 v[2:3], 3, v[0:1]
	s_ashr_i32 s4, s9, 3
	s_mul_i32 s4, s4, s16
	v_add_co_u32_e32 v2, vcc, s0, v2
	v_add_u32_e32 v0, s4, v6
	v_addc_co_u32_e32 v3, vcc, v4, v3, vcc
	v_lshlrev_b64 v[4:5], 3, v[0:1]
	s_ashr_i32 s4, s10, 3
	v_mov_b32_e32 v0, s1
	v_add_co_u32_e32 v4, vcc, s0, v4
	s_mul_i32 s4, s4, s16
	v_addc_co_u32_e32 v5, vcc, v0, v5, vcc
	v_add_u32_e32 v0, s4, v6
	v_lshlrev_b64 v[7:8], 3, v[0:1]
	s_ashr_i32 s4, s11, 3
	v_mov_b32_e32 v0, s1
	v_add_co_u32_e32 v7, vcc, s0, v7
	s_mul_i32 s4, s4, s16
	v_addc_co_u32_e32 v8, vcc, v0, v8, vcc
	v_add_u32_e32 v0, s4, v6
	;; [unrolled: 7-line block ×6, first 2 shown]
	v_lshlrev_b64 v[17:18], 3, v[0:1]
	v_mov_b32_e32 v0, s1
	v_add_co_u32_e32 v17, vcc, s0, v17
	v_addc_co_u32_e32 v18, vcc, v0, v18, vcc
	global_load_dwordx2 v[19:20], v[2:3], off
	global_load_dwordx2 v[21:22], v[4:5], off
	global_load_dwordx2 v[23:24], v[7:8], off
	global_load_dwordx2 v[25:26], v[9:10], off
	global_load_dwordx2 v[27:28], v[11:12], off
	global_load_dwordx2 v[29:30], v[13:14], off
	global_load_dwordx2 v[31:32], v[15:16], off
                                        ; kill: killed $vgpr15 killed $vgpr16
                                        ; kill: killed $vgpr11 killed $vgpr12
                                        ; kill: killed $vgpr13 killed $vgpr14
                                        ; kill: killed $vgpr2 killed $vgpr3
                                        ; kill: killed $vgpr7 killed $vgpr8
                                        ; kill: killed $vgpr9 killed $vgpr10
                                        ; kill: killed $vgpr4 killed $vgpr5
	global_load_dwordx2 v[2:3], v[17:18], off
	s_lshl_b32 s0, s8, 2
	s_lshl_b32 s1, s9, 2
	s_and_b32 s0, s0, 28
	s_and_b32 s1, s1, 28
	s_lshl_b32 s4, s10, 2
	s_and_b32 s4, s4, 28
	s_mul_i32 s16, s16, s7
	s_waitcnt vmcnt(7)
	v_lshrrev_b64 v[4:5], s0, v[19:20]
	s_waitcnt vmcnt(6)
	v_lshrrev_b64 v[7:8], s1, v[21:22]
	v_and_b32_e32 v0, 15, v5
	v_and_b32_e32 v9, 15, v4
	v_lshlrev_b64 v[4:5], 4, v[7:8]
	s_waitcnt vmcnt(5)
	v_lshrrev_b64 v[7:8], s4, v[23:24]
	s_lshl_b32 s0, s11, 2
	v_and_b32_e32 v5, 0xf0, v5
	v_and_b32_e32 v4, 0xf0, v4
	s_and_b32 s0, s0, 28
	v_or_b32_e32 v0, v5, v0
	v_or_b32_e32 v9, v4, v9
	v_lshlrev_b64 v[4:5], 8, v[7:8]
	s_waitcnt vmcnt(4)
	v_lshrrev_b64 v[7:8], s0, v[25:26]
	s_lshl_b32 s0, s12, 2
	v_lshlrev_b64 v[7:8], 12, v[7:8]
	v_and_b32_e32 v5, 0xf00, v5
	v_and_b32_e32 v10, 0xf00, v4
	;; [unrolled: 1-line block ×3, first 2 shown]
	s_and_b32 s0, s0, 28
	v_or3_b32 v0, v5, v0, v4
	s_waitcnt vmcnt(3)
	v_lshrrev_b64 v[4:5], s0, v[27:28]
	s_lshl_b32 s0, s13, 2
	v_and_b32_e32 v7, 0xf000, v7
	s_and_b32 s0, s0, 28
	v_or3_b32 v9, v10, v9, v7
	s_waitcnt vmcnt(2)
	v_lshrrev_b64 v[7:8], s0, v[29:30]
	v_lshlrev_b64 v[4:5], 16, v[4:5]
	v_lshlrev_b64 v[7:8], 20, v[7:8]
	s_lshl_b32 s0, s14, 2
	v_and_b32_e32 v5, 0xf0000, v5
	v_and_b32_e32 v10, 0xf0000, v4
	;; [unrolled: 1-line block ×3, first 2 shown]
	s_and_b32 s0, s0, 28
	v_or3_b32 v0, v5, v0, v4
	s_waitcnt vmcnt(1)
	v_lshrrev_b64 v[4:5], s0, v[31:32]
	s_lshl_b32 s0, s15, 2
	s_and_b32 s0, s0, 28
	s_waitcnt vmcnt(0)
	v_lshrrev_b64 v[2:3], s0, v[2:3]
	v_lshlrev_b64 v[4:5], 24, v[4:5]
	v_lshlrev_b64 v[2:3], 28, v[2:3]
	v_and_b32_e32 v5, 0xf000000, v5
	v_and_b32_e32 v3, 0xf0000000, v3
	v_or3_b32 v3, v5, v0, v3
	v_add_u32_e32 v0, s16, v6
	v_and_b32_e32 v7, 0xf00000, v7
	v_lshlrev_b64 v[0:1], 3, v[0:1]
	v_or3_b32 v7, v10, v9, v7
	v_and_b32_e32 v4, 0xf000000, v4
	v_or3_b32 v2, v4, v7, v2
	v_mov_b32_e32 v4, s3
	v_add_co_u32_e32 v0, vcc, s2, v0
	v_addc_co_u32_e32 v1, vcc, v4, v1, vcc
	global_store_dwordx2 v[0:1], v[2:3], off
.LBB11_2:
	s_endpgm
	.section	.rodata,"a",@progbits
	.p2align	6, 0x0
	.amdhsa_kernel _ZN4vllm4gptq27make_sequential_4bit_kernelEPKjPjPKii
		.amdhsa_group_segment_fixed_size 0
		.amdhsa_private_segment_fixed_size 0
		.amdhsa_kernarg_size 28
		.amdhsa_user_sgpr_count 6
		.amdhsa_user_sgpr_private_segment_buffer 1
		.amdhsa_user_sgpr_dispatch_ptr 0
		.amdhsa_user_sgpr_queue_ptr 0
		.amdhsa_user_sgpr_kernarg_segment_ptr 1
		.amdhsa_user_sgpr_dispatch_id 0
		.amdhsa_user_sgpr_flat_scratch_init 0
		.amdhsa_user_sgpr_private_segment_size 0
		.amdhsa_uses_dynamic_stack 0
		.amdhsa_system_sgpr_private_segment_wavefront_offset 0
		.amdhsa_system_sgpr_workgroup_id_x 1
		.amdhsa_system_sgpr_workgroup_id_y 1
		.amdhsa_system_sgpr_workgroup_id_z 0
		.amdhsa_system_sgpr_workgroup_info 0
		.amdhsa_system_vgpr_workitem_id 0
		.amdhsa_next_free_vgpr 33
		.amdhsa_next_free_sgpr 17
		.amdhsa_reserve_vcc 1
		.amdhsa_reserve_flat_scratch 0
		.amdhsa_float_round_mode_32 0
		.amdhsa_float_round_mode_16_64 0
		.amdhsa_float_denorm_mode_32 3
		.amdhsa_float_denorm_mode_16_64 3
		.amdhsa_dx10_clamp 1
		.amdhsa_ieee_mode 1
		.amdhsa_fp16_overflow 0
		.amdhsa_exception_fp_ieee_invalid_op 0
		.amdhsa_exception_fp_denorm_src 0
		.amdhsa_exception_fp_ieee_div_zero 0
		.amdhsa_exception_fp_ieee_overflow 0
		.amdhsa_exception_fp_ieee_underflow 0
		.amdhsa_exception_fp_ieee_inexact 0
		.amdhsa_exception_int_div_zero 0
	.end_amdhsa_kernel
	.text
.Lfunc_end11:
	.size	_ZN4vllm4gptq27make_sequential_4bit_kernelEPKjPjPKii, .Lfunc_end11-_ZN4vllm4gptq27make_sequential_4bit_kernelEPKjPjPKii
                                        ; -- End function
	.set _ZN4vllm4gptq27make_sequential_4bit_kernelEPKjPjPKii.num_vgpr, 33
	.set _ZN4vllm4gptq27make_sequential_4bit_kernelEPKjPjPKii.num_agpr, 0
	.set _ZN4vllm4gptq27make_sequential_4bit_kernelEPKjPjPKii.numbered_sgpr, 17
	.set _ZN4vllm4gptq27make_sequential_4bit_kernelEPKjPjPKii.num_named_barrier, 0
	.set _ZN4vllm4gptq27make_sequential_4bit_kernelEPKjPjPKii.private_seg_size, 0
	.set _ZN4vllm4gptq27make_sequential_4bit_kernelEPKjPjPKii.uses_vcc, 1
	.set _ZN4vllm4gptq27make_sequential_4bit_kernelEPKjPjPKii.uses_flat_scratch, 0
	.set _ZN4vllm4gptq27make_sequential_4bit_kernelEPKjPjPKii.has_dyn_sized_stack, 0
	.set _ZN4vllm4gptq27make_sequential_4bit_kernelEPKjPjPKii.has_recursion, 0
	.set _ZN4vllm4gptq27make_sequential_4bit_kernelEPKjPjPKii.has_indirect_call, 0
	.section	.AMDGPU.csdata,"",@progbits
; Kernel info:
; codeLenInByte = 836
; TotalNumSgprs: 21
; NumVgprs: 33
; ScratchSize: 0
; MemoryBound: 0
; FloatMode: 240
; IeeeMode: 1
; LDSByteSize: 0 bytes/workgroup (compile time only)
; SGPRBlocks: 2
; VGPRBlocks: 8
; NumSGPRsForWavesPerEU: 21
; NumVGPRsForWavesPerEU: 33
; Occupancy: 7
; WaveLimiterHint : 1
; COMPUTE_PGM_RSRC2:SCRATCH_EN: 0
; COMPUTE_PGM_RSRC2:USER_SGPR: 6
; COMPUTE_PGM_RSRC2:TRAP_HANDLER: 0
; COMPUTE_PGM_RSRC2:TGID_X_EN: 1
; COMPUTE_PGM_RSRC2:TGID_Y_EN: 1
; COMPUTE_PGM_RSRC2:TGID_Z_EN: 0
; COMPUTE_PGM_RSRC2:TIDIG_COMP_CNT: 0
	.text
	.protected	_ZN4vllm4gptq27make_sequential_2bit_kernelEPKjPjPKii ; -- Begin function _ZN4vllm4gptq27make_sequential_2bit_kernelEPKjPjPKii
	.globl	_ZN4vllm4gptq27make_sequential_2bit_kernelEPKjPjPKii
	.p2align	8
	.type	_ZN4vllm4gptq27make_sequential_2bit_kernelEPKjPjPKii,@function
_ZN4vllm4gptq27make_sequential_2bit_kernelEPKjPjPKii: ; @_ZN4vllm4gptq27make_sequential_2bit_kernelEPKjPjPKii
; %bb.0:
	s_load_dword s0, s[4:5], 0x18
	v_lshl_add_u32 v30, s6, 5, v0
	s_waitcnt lgkmcnt(0)
	s_ashr_i32 s24, s0, 1
	v_cmp_gt_u32_e32 vcc, s24, v30
	s_and_saveexec_b64 s[0:1], vcc
	s_cbranch_execz .LBB12_2
; %bb.1:
	s_load_dwordx2 s[8:9], s[4:5], 0x10
	s_load_dwordx4 s[0:3], s[4:5], 0x0
	s_lshl_b32 s4, s7, 4
	s_ashr_i32 s5, s4, 31
	s_lshl_b64 s[4:5], s[4:5], 2
	s_waitcnt lgkmcnt(0)
	s_add_u32 s4, s8, s4
	s_addc_u32 s5, s9, s5
	s_load_dwordx16 s[8:23], s[4:5], 0x0
	v_mov_b32_e32 v1, 0
	v_mov_b32_e32 v4, s1
	;; [unrolled: 1-line block ×4, first 2 shown]
	s_waitcnt lgkmcnt(0)
	s_ashr_i32 s4, s8, 4
	s_mul_i32 s4, s4, s24
	v_add_u32_e32 v0, s4, v30
	v_lshlrev_b64 v[2:3], 3, v[0:1]
	s_ashr_i32 s4, s9, 4
	s_mul_i32 s4, s4, s24
	v_add_co_u32_e32 v2, vcc, s0, v2
	v_add_u32_e32 v0, s4, v30
	v_addc_co_u32_e32 v3, vcc, v4, v3, vcc
	v_lshlrev_b64 v[4:5], 3, v[0:1]
	s_ashr_i32 s4, s10, 4
	v_mov_b32_e32 v0, s1
	v_add_co_u32_e32 v4, vcc, s0, v4
	s_mul_i32 s4, s4, s24
	v_addc_co_u32_e32 v5, vcc, v0, v5, vcc
	v_add_u32_e32 v0, s4, v30
	v_lshlrev_b64 v[6:7], 3, v[0:1]
	s_ashr_i32 s4, s11, 4
	v_mov_b32_e32 v0, s1
	v_add_co_u32_e32 v6, vcc, s0, v6
	s_mul_i32 s4, s4, s24
	v_addc_co_u32_e32 v7, vcc, v0, v7, vcc
	v_add_u32_e32 v0, s4, v30
	v_lshlrev_b64 v[8:9], 3, v[0:1]
	v_mov_b32_e32 v0, s1
	v_add_co_u32_e32 v10, vcc, s0, v8
	v_addc_co_u32_e32 v11, vcc, v0, v9, vcc
	global_load_dwordx2 v[4:5], v[4:5], off
	s_nop 0
	global_load_dwordx2 v[6:7], v[6:7], off
	s_nop 0
	;; [unrolled: 2-line block ×3, first 2 shown]
	global_load_dwordx2 v[2:3], v[2:3], off
	s_ashr_i32 s4, s12, 4
	s_mul_i32 s4, s4, s24
	v_add_u32_e32 v0, s4, v30
	v_lshlrev_b64 v[8:9], 3, v[0:1]
	s_ashr_i32 s4, s13, 4
	v_mov_b32_e32 v0, s1
	v_add_co_u32_e32 v8, vcc, s0, v8
	s_mul_i32 s4, s4, s24
	v_addc_co_u32_e32 v9, vcc, v0, v9, vcc
	v_add_u32_e32 v0, s4, v30
	v_lshlrev_b64 v[12:13], 3, v[0:1]
	s_ashr_i32 s4, s14, 4
	v_mov_b32_e32 v0, s1
	v_add_co_u32_e32 v12, vcc, s0, v12
	s_mul_i32 s4, s4, s24
	v_addc_co_u32_e32 v13, vcc, v0, v13, vcc
	;; [unrolled: 7-line block ×4, first 2 shown]
	v_add_u32_e32 v0, s4, v30
	v_lshlrev_b64 v[16:17], 3, v[0:1]
	s_ashr_i32 s4, s17, 4
	s_mul_i32 s4, s4, s24
	v_add_co_u32_e32 v16, vcc, s0, v16
	v_add_u32_e32 v0, s4, v30
	v_addc_co_u32_e32 v17, vcc, v20, v17, vcc
	v_lshlrev_b64 v[20:21], 3, v[0:1]
	s_ashr_i32 s4, s18, 4
	s_mul_i32 s4, s4, s24
	v_add_co_u32_e32 v20, vcc, s0, v20
	v_add_u32_e32 v0, s4, v30
	v_addc_co_u32_e32 v21, vcc, v22, v21, vcc
	v_lshlrev_b64 v[22:23], 3, v[0:1]
	s_ashr_i32 s4, s19, 4
	s_mul_i32 s4, s4, s24
	v_mov_b32_e32 v24, s1
	v_add_co_u32_e32 v22, vcc, s0, v22
	v_add_u32_e32 v0, s4, v30
	v_addc_co_u32_e32 v23, vcc, v24, v23, vcc
	v_lshlrev_b64 v[24:25], 3, v[0:1]
	s_ashr_i32 s4, s20, 4
	s_mul_i32 s4, s4, s24
	v_mov_b32_e32 v26, s1
	;; [unrolled: 7-line block ×5, first 2 shown]
	v_add_co_u32_e32 v31, vcc, s0, v31
	v_add_u32_e32 v0, s4, v30
	v_addc_co_u32_e32 v32, vcc, v33, v32, vcc
	v_mov_b32_e32 v35, s1
	v_lshlrev_b64 v[33:34], 3, v[0:1]
	s_lshl_b32 s1, s9, 1
	s_and_b32 s1, s1, 30
	v_add_co_u32_e32 v33, vcc, s0, v33
	s_lshl_b32 s0, s8, 1
	s_waitcnt vmcnt(3)
	v_lshrrev_b64 v[4:5], s1, v[4:5]
	s_and_b32 s0, s0, 30
	s_waitcnt vmcnt(0)
	v_lshrrev_b64 v[2:3], s0, v[2:3]
	v_lshlrev_b64 v[4:5], 2, v[4:5]
	s_lshl_b32 s0, s10, 1
	s_and_b32 s0, s0, 30
	v_and_b32_e32 v0, 3, v3
	v_and_b32_e32 v3, 12, v5
	v_lshrrev_b64 v[5:6], s0, v[6:7]
	s_lshl_b32 s0, s11, 1
	s_and_b32 s0, s0, 30
	v_lshrrev_b64 v[10:11], s0, v[10:11]
	v_lshlrev_b64 v[5:6], 4, v[5:6]
	v_lshlrev_b64 v[10:11], 6, v[10:11]
	v_or_b32_e32 v0, v3, v0
	v_and_b32_e32 v3, 48, v6
	v_and_b32_e32 v6, 0xc0, v11
	v_or3_b32 v0, v3, v0, v6
	v_and_b32_e32 v2, 3, v2
	v_and_b32_e32 v3, 12, v4
	v_addc_co_u32_e32 v34, vcc, v35, v34, vcc
	v_or_b32_e32 v35, v3, v2
	v_and_b32_e32 v36, 48, v5
	global_load_dwordx2 v[2:3], v[8:9], off
	global_load_dwordx2 v[4:5], v[12:13], off
	global_load_dwordx2 v[6:7], v[14:15], off
	s_nop 0
	global_load_dwordx2 v[8:9], v[18:19], off
	global_load_dwordx2 v[11:12], v[16:17], off
	global_load_dwordx2 v[13:14], v[20:21], off
	s_nop 0
	;; [unrolled: 4-line block ×3, first 2 shown]
	global_load_dwordx2 v[21:22], v[28:29], off
	global_load_dwordx2 v[23:24], v[31:32], off
	;; [unrolled: 1-line block ×3, first 2 shown]
	s_lshl_b32 s0, s12, 1
	s_and_b32 s0, s0, 30
	v_and_b32_e32 v10, 0xc0, v10
	v_or3_b32 v10, v36, v35, v10
	s_mul_i32 s24, s24, s7
	s_waitcnt vmcnt(11)
	v_lshrrev_b64 v[2:3], s0, v[2:3]
	s_lshl_b32 s0, s13, 1
	s_and_b32 s0, s0, 30
	s_waitcnt vmcnt(10)
	v_lshrrev_b64 v[4:5], s0, v[4:5]
	v_lshlrev_b64 v[2:3], 8, v[2:3]
	v_lshlrev_b64 v[4:5], 10, v[4:5]
	v_and_b32_e32 v3, 0x300, v3
	v_and_b32_e32 v5, 0xc00, v5
	s_lshl_b32 s0, s14, 1
	v_or3_b32 v0, v3, v0, v5
	v_and_b32_e32 v2, 0x300, v2
	v_and_b32_e32 v3, 0xc00, v4
	s_and_b32 s0, s0, 30
	v_or3_b32 v10, v2, v10, v3
	s_waitcnt vmcnt(9)
	v_lshrrev_b64 v[2:3], s0, v[6:7]
	s_lshl_b32 s0, s15, 1
	s_and_b32 s0, s0, 30
	s_waitcnt vmcnt(8)
	v_lshrrev_b64 v[4:5], s0, v[8:9]
	v_lshlrev_b64 v[2:3], 12, v[2:3]
	v_lshlrev_b64 v[4:5], 14, v[4:5]
	v_and_b32_e32 v3, 0x3000, v3
	v_and_b32_e32 v5, 0xc000, v5
	s_lshl_b32 s0, s16, 1
	v_or3_b32 v0, v3, v0, v5
	v_and_b32_e32 v2, 0x3000, v2
	v_and_b32_e32 v3, 0xc000, v4
	s_and_b32 s0, s0, 30
	v_or3_b32 v6, v2, v10, v3
	s_waitcnt vmcnt(7)
	v_lshrrev_b64 v[2:3], s0, v[11:12]
	s_lshl_b32 s0, s17, 1
	s_and_b32 s0, s0, 30
	s_waitcnt vmcnt(6)
	v_lshrrev_b64 v[4:5], s0, v[13:14]
	v_lshlrev_b64 v[2:3], 16, v[2:3]
	v_lshlrev_b64 v[4:5], 18, v[4:5]
	s_lshl_b32 s0, s18, 1
	v_and_b32_e32 v3, 0x30000, v3
	v_and_b32_e32 v5, 0xc0000, v5
	s_and_b32 s0, s0, 30
	v_or3_b32 v0, v3, v0, v5
	v_and_b32_e32 v5, 0x30000, v2
	s_waitcnt vmcnt(5)
	v_lshrrev_b64 v[2:3], s0, v[15:16]
	s_lshl_b32 s0, s19, 1
	v_and_b32_e32 v4, 0xc0000, v4
	s_and_b32 s0, s0, 30
	v_or3_b32 v6, v5, v6, v4
	v_lshlrev_b64 v[2:3], 20, v[2:3]
	s_waitcnt vmcnt(4)
	v_lshrrev_b64 v[4:5], s0, v[17:18]
	v_and_b32_e32 v7, 0x300000, v3
	v_lshlrev_b64 v[3:4], 22, v[4:5]
	s_lshl_b32 s0, s20, 1
	v_and_b32_e32 v5, 0x300000, v2
	v_and_b32_e32 v2, 0xc00000, v4
	s_and_b32 s0, s0, 30
	v_and_b32_e32 v4, 0xc00000, v3
	v_or3_b32 v0, v7, v0, v2
	s_waitcnt vmcnt(3)
	v_lshrrev_b64 v[2:3], s0, v[19:20]
	s_lshl_b32 s0, s21, 1
	s_and_b32 s0, s0, 30
	v_or3_b32 v6, v5, v6, v4
	v_lshlrev_b64 v[2:3], 24, v[2:3]
	s_waitcnt vmcnt(2)
	v_lshrrev_b64 v[4:5], s0, v[21:22]
	v_and_b32_e32 v7, 0x3000000, v3
	v_lshlrev_b64 v[3:4], 26, v[4:5]
	s_lshl_b32 s0, s22, 1
	v_and_b32_e32 v5, 0x3000000, v2
	v_and_b32_e32 v2, 0xc000000, v4
	s_and_b32 s0, s0, 30
	v_and_b32_e32 v4, 0xc000000, v3
	v_or3_b32 v0, v7, v0, v2
	s_waitcnt vmcnt(1)
	v_lshrrev_b64 v[2:3], s0, v[23:24]
	s_lshl_b32 s0, s23, 1
	s_and_b32 s0, s0, 30
	v_or3_b32 v6, v5, v6, v4
	v_lshlrev_b64 v[2:3], 28, v[2:3]
	s_waitcnt vmcnt(0)
	v_lshrrev_b64 v[4:5], s0, v[25:26]
	v_and_b32_e32 v7, 0x30000000, v3
	v_lshlrev_b64 v[3:4], 30, v[4:5]
	v_and_b32_e32 v2, 0x30000000, v2
	v_and_b32_e32 v4, -2.0, v4
	v_or3_b32 v4, v7, v0, v4
	v_add_u32_e32 v0, s24, v30
	v_lshlrev_b64 v[0:1], 3, v[0:1]
	v_or3_b32 v3, v2, v6, v3
	v_mov_b32_e32 v2, s3
	v_add_co_u32_e32 v0, vcc, s2, v0
	v_addc_co_u32_e32 v1, vcc, v2, v1, vcc
	global_store_dwordx2 v[0:1], v[3:4], off
.LBB12_2:
	s_endpgm
	.section	.rodata,"a",@progbits
	.p2align	6, 0x0
	.amdhsa_kernel _ZN4vllm4gptq27make_sequential_2bit_kernelEPKjPjPKii
		.amdhsa_group_segment_fixed_size 0
		.amdhsa_private_segment_fixed_size 0
		.amdhsa_kernarg_size 28
		.amdhsa_user_sgpr_count 6
		.amdhsa_user_sgpr_private_segment_buffer 1
		.amdhsa_user_sgpr_dispatch_ptr 0
		.amdhsa_user_sgpr_queue_ptr 0
		.amdhsa_user_sgpr_kernarg_segment_ptr 1
		.amdhsa_user_sgpr_dispatch_id 0
		.amdhsa_user_sgpr_flat_scratch_init 0
		.amdhsa_user_sgpr_private_segment_size 0
		.amdhsa_uses_dynamic_stack 0
		.amdhsa_system_sgpr_private_segment_wavefront_offset 0
		.amdhsa_system_sgpr_workgroup_id_x 1
		.amdhsa_system_sgpr_workgroup_id_y 1
		.amdhsa_system_sgpr_workgroup_id_z 0
		.amdhsa_system_sgpr_workgroup_info 0
		.amdhsa_system_vgpr_workitem_id 0
		.amdhsa_next_free_vgpr 37
		.amdhsa_next_free_sgpr 25
		.amdhsa_reserve_vcc 1
		.amdhsa_reserve_flat_scratch 0
		.amdhsa_float_round_mode_32 0
		.amdhsa_float_round_mode_16_64 0
		.amdhsa_float_denorm_mode_32 3
		.amdhsa_float_denorm_mode_16_64 3
		.amdhsa_dx10_clamp 1
		.amdhsa_ieee_mode 1
		.amdhsa_fp16_overflow 0
		.amdhsa_exception_fp_ieee_invalid_op 0
		.amdhsa_exception_fp_denorm_src 0
		.amdhsa_exception_fp_ieee_div_zero 0
		.amdhsa_exception_fp_ieee_overflow 0
		.amdhsa_exception_fp_ieee_underflow 0
		.amdhsa_exception_fp_ieee_inexact 0
		.amdhsa_exception_int_div_zero 0
	.end_amdhsa_kernel
	.text
.Lfunc_end12:
	.size	_ZN4vllm4gptq27make_sequential_2bit_kernelEPKjPjPKii, .Lfunc_end12-_ZN4vllm4gptq27make_sequential_2bit_kernelEPKjPjPKii
                                        ; -- End function
	.set _ZN4vllm4gptq27make_sequential_2bit_kernelEPKjPjPKii.num_vgpr, 37
	.set _ZN4vllm4gptq27make_sequential_2bit_kernelEPKjPjPKii.num_agpr, 0
	.set _ZN4vllm4gptq27make_sequential_2bit_kernelEPKjPjPKii.numbered_sgpr, 25
	.set _ZN4vllm4gptq27make_sequential_2bit_kernelEPKjPjPKii.num_named_barrier, 0
	.set _ZN4vllm4gptq27make_sequential_2bit_kernelEPKjPjPKii.private_seg_size, 0
	.set _ZN4vllm4gptq27make_sequential_2bit_kernelEPKjPjPKii.uses_vcc, 1
	.set _ZN4vllm4gptq27make_sequential_2bit_kernelEPKjPjPKii.uses_flat_scratch, 0
	.set _ZN4vllm4gptq27make_sequential_2bit_kernelEPKjPjPKii.has_dyn_sized_stack, 0
	.set _ZN4vllm4gptq27make_sequential_2bit_kernelEPKjPjPKii.has_recursion, 0
	.set _ZN4vllm4gptq27make_sequential_2bit_kernelEPKjPjPKii.has_indirect_call, 0
	.section	.AMDGPU.csdata,"",@progbits
; Kernel info:
; codeLenInByte = 1568
; TotalNumSgprs: 29
; NumVgprs: 37
; ScratchSize: 0
; MemoryBound: 0
; FloatMode: 240
; IeeeMode: 1
; LDSByteSize: 0 bytes/workgroup (compile time only)
; SGPRBlocks: 3
; VGPRBlocks: 9
; NumSGPRsForWavesPerEU: 29
; NumVGPRsForWavesPerEU: 37
; Occupancy: 6
; WaveLimiterHint : 1
; COMPUTE_PGM_RSRC2:SCRATCH_EN: 0
; COMPUTE_PGM_RSRC2:USER_SGPR: 6
; COMPUTE_PGM_RSRC2:TRAP_HANDLER: 0
; COMPUTE_PGM_RSRC2:TGID_X_EN: 1
; COMPUTE_PGM_RSRC2:TGID_Y_EN: 1
; COMPUTE_PGM_RSRC2:TGID_Z_EN: 0
; COMPUTE_PGM_RSRC2:TIDIG_COMP_CNT: 0
	.text
	.protected	_ZN4vllm4gptq27make_sequential_3bit_kernelEPKjPjPKii ; -- Begin function _ZN4vllm4gptq27make_sequential_3bit_kernelEPKjPjPKii
	.globl	_ZN4vllm4gptq27make_sequential_3bit_kernelEPKjPjPKii
	.p2align	8
	.type	_ZN4vllm4gptq27make_sequential_3bit_kernelEPKjPjPKii,@function
_ZN4vllm4gptq27make_sequential_3bit_kernelEPKjPjPKii: ; @_ZN4vllm4gptq27make_sequential_3bit_kernelEPKjPjPKii
; %bb.0:
	s_load_dword s14, s[4:5], 0x18
	v_lshl_add_u32 v0, s6, 5, v0
	s_waitcnt lgkmcnt(0)
	v_cmp_gt_u32_e32 vcc, s14, v0
	s_and_saveexec_b64 s[0:1], vcc
	s_cbranch_execz .LBB13_801
; %bb.1:
	s_load_dwordx4 s[0:3], s[4:5], 0x0
	s_load_dwordx2 s[8:9], s[4:5], 0x10
	s_lshl_b32 s4, s7, 5
	s_mov_b32 s5, 0
	s_lshl_b64 s[4:5], s[4:5], 2
	s_waitcnt lgkmcnt(0)
	s_add_u32 s4, s8, s4
	s_addc_u32 s5, s9, s5
	s_load_dword s6, s[4:5], 0x0
	s_waitcnt lgkmcnt(0)
	s_ashr_i32 s8, s6, 31
	s_lshr_b32 s8, s8, 27
	s_add_i32 s8, s6, s8
	s_ashr_i32 s12, s8, 5
	s_andn2_b32 s8, s8, 31
	s_sub_i32 s15, s6, s8
	s_cmp_lt_i32 s15, 21
	s_mul_i32 s12, s12, 3
	s_cbranch_scc1 .LBB13_4
; %bb.2:
	s_cmp_eq_u32 s15, 21
	s_cbranch_scc0 .LBB13_5
; %bb.3:
	s_add_i32 s6, s12, 1
	s_mov_b64 s[8:9], 0
	s_branch .LBB13_6
.LBB13_4:
	s_mov_b64 s[8:9], 0
                                        ; implicit-def: $sgpr6
	s_cbranch_execnz .LBB13_7
	s_branch .LBB13_8
.LBB13_5:
	s_mov_b64 s[8:9], -1
                                        ; implicit-def: $sgpr6
.LBB13_6:
	s_branch .LBB13_8
.LBB13_7:
	s_cmp_lg_u32 s15, 10
	s_cselect_b64 s[8:9], -1, 0
	s_mov_b32 s6, s12
.LBB13_8:
	s_andn2_b64 vcc, exec, s[8:9]
                                        ; implicit-def: $sgpr16
	s_cbranch_vccnz .LBB13_15
; %bb.9:
	s_cmp_lt_i32 s15, 22
	s_mul_i32 s10, s15, 3
	s_cbranch_scc0 .LBB13_13
; %bb.10:
	s_cmp_lt_i32 s15, 11
	s_mov_b32 s16, s10
	s_mov_b32 s6, s12
	s_cbranch_scc1 .LBB13_12
; %bb.11:
	s_sub_i32 s16, s10, 32
	s_add_i32 s6, s12, 1
.LBB13_12:
	s_cbranch_execz .LBB13_14
	s_branch .LBB13_15
.LBB13_13:
                                        ; implicit-def: $sgpr16
                                        ; implicit-def: $sgpr6
.LBB13_14:
	s_sub_i32 s16, s10, 64
	s_add_i32 s6, s12, 2
.LBB13_15:
	s_mul_i32 s8, s6, s14
	v_add_u32_e32 v1, s8, v0
	v_mov_b32_e32 v2, 0
	v_lshlrev_b64 v[1:2], 2, v[1:2]
	v_mov_b32_e32 v3, s1
	v_add_co_u32_e32 v1, vcc, s0, v1
	v_addc_co_u32_e32 v2, vcc, v3, v2, vcc
	global_load_dword v1, v[1:2], off
	s_cmp_lt_i32 s15, 21
	s_mov_b64 s[8:9], 0
	s_cbranch_scc1 .LBB13_18
; %bb.16:
	s_cmp_eq_u32 s15, 21
	s_cbranch_scc0 .LBB13_19
; %bb.17:
	s_add_i32 s10, s6, 1
	s_mul_i32 s10, s10, s14
	v_add_u32_e32 v2, s10, v0
	v_mov_b32_e32 v3, 0
	v_lshlrev_b64 v[2:3], 2, v[2:3]
	v_mov_b32_e32 v4, s1
	v_add_co_u32_e32 v2, vcc, s0, v2
	v_addc_co_u32_e32 v3, vcc, v4, v3, vcc
	global_load_dword v2, v[2:3], off
	s_mov_b64 s[10:11], 0
	s_waitcnt vmcnt(0)
	v_alignbit_b32 v2, v2, v1, 31
	v_and_b32_e32 v5, 7, v2
	s_branch .LBB13_20
.LBB13_18:
                                        ; implicit-def: $vgpr5
	s_mov_b64 s[10:11], 0
	s_cbranch_execnz .LBB13_21
	s_branch .LBB13_22
.LBB13_19:
	s_mov_b64 s[10:11], -1
                                        ; implicit-def: $vgpr5
.LBB13_20:
	s_branch .LBB13_22
.LBB13_21:
	s_cmp_lg_u32 s15, 10
	s_mov_b64 s[8:9], -1
	s_cselect_b64 s[10:11], -1, 0
.LBB13_22:
	s_andn2_b64 vcc, exec, s[10:11]
	s_cbranch_vccz .LBB13_28
; %bb.23:
	s_andn2_b64 vcc, exec, s[8:9]
	s_cbranch_vccnz .LBB13_25
.LBB13_24:
	s_add_i32 s6, s6, 1
	s_mul_i32 s6, s6, s14
	v_add_u32_e32 v2, s6, v0
	v_mov_b32_e32 v3, 0
	v_lshlrev_b64 v[2:3], 2, v[2:3]
	v_mov_b32_e32 v4, s1
	v_add_co_u32_e32 v2, vcc, s0, v2
	v_addc_co_u32_e32 v3, vcc, v4, v3, vcc
	global_load_dword v2, v[2:3], off
	s_waitcnt vmcnt(0)
	v_alignbit_b32 v1, v2, v1, 30
	v_and_b32_e32 v5, 7, v1
.LBB13_25:
	s_load_dword s6, s[4:5], 0x4
	s_waitcnt lgkmcnt(0)
	s_ashr_i32 s8, s6, 31
	s_lshr_b32 s8, s8, 27
	s_add_i32 s8, s6, s8
	s_ashr_i32 s12, s8, 5
	s_andn2_b32 s8, s8, 31
	s_sub_i32 s15, s6, s8
	s_cmp_lt_i32 s15, 21
	s_mul_i32 s12, s12, 3
	s_cbranch_scc1 .LBB13_29
; %bb.26:
	s_cmp_eq_u32 s15, 21
	s_cbranch_scc0 .LBB13_30
; %bb.27:
	s_add_i32 s6, s12, 1
	s_mov_b64 s[8:9], 0
	s_branch .LBB13_31
.LBB13_28:
	v_mov_b32_e32 v2, 0
	s_waitcnt vmcnt(0)
	v_lshrrev_b64 v[2:3], s16, v[1:2]
	v_and_b32_e32 v5, 7, v2
	s_cbranch_execz .LBB13_24
	s_branch .LBB13_25
.LBB13_29:
	s_mov_b64 s[8:9], 0
                                        ; implicit-def: $sgpr6
	s_cbranch_execnz .LBB13_32
	s_branch .LBB13_33
.LBB13_30:
	s_mov_b64 s[8:9], -1
                                        ; implicit-def: $sgpr6
.LBB13_31:
	s_branch .LBB13_33
.LBB13_32:
	s_cmp_lg_u32 s15, 10
	s_cselect_b64 s[8:9], -1, 0
	s_mov_b32 s6, s12
.LBB13_33:
	s_andn2_b64 vcc, exec, s[8:9]
	s_mov_b32 s16, 0
	s_cbranch_vccnz .LBB13_40
; %bb.34:
	s_cmp_gt_i32 s15, 21
	s_mul_i32 s10, s15, 3
	s_cbranch_scc1 .LBB13_38
; %bb.35:
	s_cmp_lt_i32 s15, 11
	s_mov_b32 s16, s10
	s_mov_b32 s6, s12
	s_cbranch_scc1 .LBB13_37
; %bb.36:
	s_sub_i32 s16, s10, 32
	s_add_i32 s6, s12, 1
.LBB13_37:
	s_cbranch_execz .LBB13_39
	s_branch .LBB13_40
.LBB13_38:
                                        ; implicit-def: $sgpr16
                                        ; implicit-def: $sgpr6
.LBB13_39:
	s_sub_i32 s16, s10, 64
	s_add_i32 s6, s12, 2
.LBB13_40:
	s_mul_i32 s8, s6, s14
	s_waitcnt vmcnt(0)
	v_add_u32_e32 v1, s8, v0
	v_mov_b32_e32 v2, 0
	v_lshlrev_b64 v[1:2], 2, v[1:2]
	v_mov_b32_e32 v3, s1
	v_add_co_u32_e32 v1, vcc, s0, v1
	v_addc_co_u32_e32 v2, vcc, v3, v2, vcc
	global_load_dword v1, v[1:2], off
	s_cmp_lt_i32 s15, 21
	s_mov_b64 s[8:9], 0
	s_cbranch_scc1 .LBB13_43
; %bb.41:
	s_cmp_eq_u32 s15, 21
	s_cbranch_scc0 .LBB13_44
; %bb.42:
	s_add_i32 s10, s6, 1
	s_mul_i32 s10, s10, s14
	v_add_u32_e32 v2, s10, v0
	v_mov_b32_e32 v3, 0
	v_lshlrev_b64 v[2:3], 2, v[2:3]
	v_mov_b32_e32 v4, s1
	v_add_co_u32_e32 v2, vcc, s0, v2
	v_addc_co_u32_e32 v3, vcc, v4, v3, vcc
	global_load_dword v2, v[2:3], off
	s_mov_b64 s[10:11], 0
	s_waitcnt vmcnt(0)
	v_alignbit_b32 v2, v2, v1, 31
	v_and_b32_e32 v6, 7, v2
	s_branch .LBB13_45
.LBB13_43:
                                        ; implicit-def: $vgpr6
	s_mov_b64 s[10:11], 0
	s_cbranch_execnz .LBB13_46
	s_branch .LBB13_47
.LBB13_44:
	s_mov_b64 s[10:11], -1
                                        ; implicit-def: $vgpr6
.LBB13_45:
	s_branch .LBB13_47
.LBB13_46:
	s_cmp_lg_u32 s15, 10
	s_mov_b64 s[8:9], -1
	s_cselect_b64 s[10:11], -1, 0
.LBB13_47:
	s_andn2_b64 vcc, exec, s[10:11]
	s_cbranch_vccz .LBB13_53
; %bb.48:
	s_andn2_b64 vcc, exec, s[8:9]
	s_cbranch_vccnz .LBB13_50
.LBB13_49:
	s_add_i32 s6, s6, 1
	s_mul_i32 s6, s6, s14
	v_add_u32_e32 v2, s6, v0
	v_mov_b32_e32 v3, 0
	v_lshlrev_b64 v[2:3], 2, v[2:3]
	v_mov_b32_e32 v4, s1
	v_add_co_u32_e32 v2, vcc, s0, v2
	v_addc_co_u32_e32 v3, vcc, v4, v3, vcc
	global_load_dword v2, v[2:3], off
	s_waitcnt vmcnt(0)
	v_alignbit_b32 v1, v2, v1, 30
	v_and_b32_e32 v6, 7, v1
.LBB13_50:
	s_load_dword s6, s[4:5], 0x8
	s_waitcnt lgkmcnt(0)
	s_ashr_i32 s8, s6, 31
	s_lshr_b32 s8, s8, 27
	s_add_i32 s8, s6, s8
	s_ashr_i32 s12, s8, 5
	s_andn2_b32 s8, s8, 31
	s_sub_i32 s15, s6, s8
	s_cmp_lt_i32 s15, 21
	s_mul_i32 s12, s12, 3
	s_cbranch_scc1 .LBB13_54
; %bb.51:
	s_cmp_eq_u32 s15, 21
	s_cbranch_scc0 .LBB13_55
; %bb.52:
	s_add_i32 s6, s12, 1
	s_mov_b64 s[8:9], 0
	s_branch .LBB13_56
.LBB13_53:
	v_mov_b32_e32 v2, 0
	s_waitcnt vmcnt(0)
	v_lshrrev_b64 v[2:3], s16, v[1:2]
	v_and_b32_e32 v6, 7, v2
	s_cbranch_execz .LBB13_49
	s_branch .LBB13_50
.LBB13_54:
	s_mov_b64 s[8:9], 0
                                        ; implicit-def: $sgpr6
	s_cbranch_execnz .LBB13_57
	s_branch .LBB13_58
.LBB13_55:
	s_mov_b64 s[8:9], -1
                                        ; implicit-def: $sgpr6
.LBB13_56:
	s_branch .LBB13_58
.LBB13_57:
	s_cmp_lg_u32 s15, 10
	s_cselect_b64 s[8:9], -1, 0
	s_mov_b32 s6, s12
.LBB13_58:
	s_andn2_b64 vcc, exec, s[8:9]
	s_mov_b32 s16, 3
	s_cbranch_vccnz .LBB13_65
; %bb.59:
	s_cmp_gt_i32 s15, 21
	s_mul_i32 s10, s15, 3
	s_cbranch_scc1 .LBB13_63
; %bb.60:
	s_cmp_lt_i32 s15, 11
	s_mov_b32 s16, s10
	s_mov_b32 s6, s12
	s_cbranch_scc1 .LBB13_62
; %bb.61:
	s_sub_i32 s16, s10, 32
	s_add_i32 s6, s12, 1
.LBB13_62:
	s_cbranch_execz .LBB13_64
	s_branch .LBB13_65
.LBB13_63:
                                        ; implicit-def: $sgpr16
                                        ; implicit-def: $sgpr6
.LBB13_64:
	s_sub_i32 s16, s10, 64
	s_add_i32 s6, s12, 2
.LBB13_65:
	s_mul_i32 s8, s6, s14
	s_waitcnt vmcnt(0)
	v_add_u32_e32 v1, s8, v0
	v_mov_b32_e32 v2, 0
	v_lshlrev_b64 v[1:2], 2, v[1:2]
	v_mov_b32_e32 v3, s1
	v_add_co_u32_e32 v1, vcc, s0, v1
	v_addc_co_u32_e32 v2, vcc, v3, v2, vcc
	global_load_dword v1, v[1:2], off
	s_cmp_lt_i32 s15, 21
	s_mov_b64 s[8:9], 0
	s_cbranch_scc1 .LBB13_68
; %bb.66:
	s_cmp_eq_u32 s15, 21
	s_cbranch_scc0 .LBB13_69
; %bb.67:
	s_add_i32 s10, s6, 1
	s_mul_i32 s10, s10, s14
	v_add_u32_e32 v2, s10, v0
	v_mov_b32_e32 v3, 0
	v_lshlrev_b64 v[2:3], 2, v[2:3]
	v_mov_b32_e32 v4, s1
	v_add_co_u32_e32 v2, vcc, s0, v2
	v_addc_co_u32_e32 v3, vcc, v4, v3, vcc
	global_load_dword v2, v[2:3], off
	s_mov_b64 s[10:11], 0
	s_waitcnt vmcnt(0)
	v_alignbit_b32 v2, v2, v1, 31
	v_and_b32_e32 v7, 7, v2
	s_branch .LBB13_70
.LBB13_68:
                                        ; implicit-def: $vgpr7
	s_mov_b64 s[10:11], 0
	s_cbranch_execnz .LBB13_71
	s_branch .LBB13_72
.LBB13_69:
	s_mov_b64 s[10:11], -1
                                        ; implicit-def: $vgpr7
.LBB13_70:
	s_branch .LBB13_72
.LBB13_71:
	s_cmp_lg_u32 s15, 10
	s_mov_b64 s[8:9], -1
	s_cselect_b64 s[10:11], -1, 0
.LBB13_72:
	s_andn2_b64 vcc, exec, s[10:11]
	s_cbranch_vccz .LBB13_78
; %bb.73:
	s_andn2_b64 vcc, exec, s[8:9]
	s_cbranch_vccnz .LBB13_75
.LBB13_74:
	s_add_i32 s6, s6, 1
	s_mul_i32 s6, s6, s14
	v_add_u32_e32 v2, s6, v0
	v_mov_b32_e32 v3, 0
	v_lshlrev_b64 v[2:3], 2, v[2:3]
	v_mov_b32_e32 v4, s1
	v_add_co_u32_e32 v2, vcc, s0, v2
	v_addc_co_u32_e32 v3, vcc, v4, v3, vcc
	global_load_dword v2, v[2:3], off
	s_waitcnt vmcnt(0)
	v_alignbit_b32 v1, v2, v1, 30
	v_and_b32_e32 v7, 7, v1
.LBB13_75:
	s_load_dword s6, s[4:5], 0xc
	s_waitcnt lgkmcnt(0)
	s_ashr_i32 s8, s6, 31
	s_lshr_b32 s8, s8, 27
	s_add_i32 s8, s6, s8
	s_ashr_i32 s12, s8, 5
	s_andn2_b32 s8, s8, 31
	s_sub_i32 s15, s6, s8
	s_cmp_lt_i32 s15, 21
	s_mul_i32 s12, s12, 3
	s_cbranch_scc1 .LBB13_79
; %bb.76:
	s_cmp_eq_u32 s15, 21
	s_cbranch_scc0 .LBB13_80
; %bb.77:
	s_add_i32 s6, s12, 1
	s_mov_b64 s[8:9], 0
	s_branch .LBB13_81
.LBB13_78:
	v_mov_b32_e32 v2, 0
	s_waitcnt vmcnt(0)
	v_lshrrev_b64 v[2:3], s16, v[1:2]
	v_and_b32_e32 v7, 7, v2
	s_cbranch_execz .LBB13_74
	s_branch .LBB13_75
.LBB13_79:
	s_mov_b64 s[8:9], 0
                                        ; implicit-def: $sgpr6
	s_cbranch_execnz .LBB13_82
	s_branch .LBB13_83
.LBB13_80:
	s_mov_b64 s[8:9], -1
                                        ; implicit-def: $sgpr6
.LBB13_81:
	s_branch .LBB13_83
.LBB13_82:
	s_cmp_lg_u32 s15, 10
	s_cselect_b64 s[8:9], -1, 0
	s_mov_b32 s6, s12
.LBB13_83:
	s_andn2_b64 vcc, exec, s[8:9]
	s_mov_b32 s16, 6
	s_cbranch_vccnz .LBB13_90
; %bb.84:
	s_cmp_gt_i32 s15, 21
	s_mul_i32 s10, s15, 3
	s_cbranch_scc1 .LBB13_88
; %bb.85:
	s_cmp_lt_i32 s15, 11
	s_mov_b32 s16, s10
	s_mov_b32 s6, s12
	s_cbranch_scc1 .LBB13_87
; %bb.86:
	s_sub_i32 s16, s10, 32
	s_add_i32 s6, s12, 1
.LBB13_87:
	s_cbranch_execz .LBB13_89
	s_branch .LBB13_90
.LBB13_88:
                                        ; implicit-def: $sgpr16
                                        ; implicit-def: $sgpr6
.LBB13_89:
	s_sub_i32 s16, s10, 64
	s_add_i32 s6, s12, 2
.LBB13_90:
	s_mul_i32 s8, s6, s14
	s_waitcnt vmcnt(0)
	v_add_u32_e32 v1, s8, v0
	v_mov_b32_e32 v2, 0
	v_lshlrev_b64 v[1:2], 2, v[1:2]
	v_mov_b32_e32 v3, s1
	v_add_co_u32_e32 v1, vcc, s0, v1
	v_addc_co_u32_e32 v2, vcc, v3, v2, vcc
	global_load_dword v1, v[1:2], off
	s_cmp_lt_i32 s15, 21
	s_mov_b64 s[8:9], 0
	s_cbranch_scc1 .LBB13_93
; %bb.91:
	s_cmp_eq_u32 s15, 21
	s_cbranch_scc0 .LBB13_94
; %bb.92:
	s_add_i32 s10, s6, 1
	s_mul_i32 s10, s10, s14
	v_add_u32_e32 v2, s10, v0
	v_mov_b32_e32 v3, 0
	v_lshlrev_b64 v[2:3], 2, v[2:3]
	v_mov_b32_e32 v4, s1
	v_add_co_u32_e32 v2, vcc, s0, v2
	v_addc_co_u32_e32 v3, vcc, v4, v3, vcc
	global_load_dword v2, v[2:3], off
	s_mov_b64 s[10:11], 0
	s_waitcnt vmcnt(0)
	v_alignbit_b32 v2, v2, v1, 31
	v_and_b32_e32 v8, 7, v2
	s_branch .LBB13_95
.LBB13_93:
                                        ; implicit-def: $vgpr8
	s_mov_b64 s[10:11], 0
	s_cbranch_execnz .LBB13_96
	s_branch .LBB13_97
.LBB13_94:
	s_mov_b64 s[10:11], -1
                                        ; implicit-def: $vgpr8
.LBB13_95:
	s_branch .LBB13_97
.LBB13_96:
	s_cmp_lg_u32 s15, 10
	s_mov_b64 s[8:9], -1
	s_cselect_b64 s[10:11], -1, 0
.LBB13_97:
	s_andn2_b64 vcc, exec, s[10:11]
	s_cbranch_vccz .LBB13_103
; %bb.98:
	s_andn2_b64 vcc, exec, s[8:9]
	s_cbranch_vccnz .LBB13_100
.LBB13_99:
	s_add_i32 s6, s6, 1
	s_mul_i32 s6, s6, s14
	v_add_u32_e32 v2, s6, v0
	v_mov_b32_e32 v3, 0
	v_lshlrev_b64 v[2:3], 2, v[2:3]
	v_mov_b32_e32 v4, s1
	v_add_co_u32_e32 v2, vcc, s0, v2
	v_addc_co_u32_e32 v3, vcc, v4, v3, vcc
	global_load_dword v2, v[2:3], off
	s_waitcnt vmcnt(0)
	v_alignbit_b32 v1, v2, v1, 30
	v_and_b32_e32 v8, 7, v1
.LBB13_100:
	s_load_dword s6, s[4:5], 0x10
	s_waitcnt lgkmcnt(0)
	s_ashr_i32 s8, s6, 31
	s_lshr_b32 s8, s8, 27
	s_add_i32 s8, s6, s8
	s_ashr_i32 s12, s8, 5
	s_andn2_b32 s8, s8, 31
	s_sub_i32 s15, s6, s8
	s_cmp_lt_i32 s15, 21
	s_mul_i32 s12, s12, 3
	s_cbranch_scc1 .LBB13_104
; %bb.101:
	s_cmp_eq_u32 s15, 21
	s_cbranch_scc0 .LBB13_105
; %bb.102:
	s_add_i32 s6, s12, 1
	s_mov_b64 s[8:9], 0
	s_branch .LBB13_106
.LBB13_103:
	v_mov_b32_e32 v2, 0
	s_waitcnt vmcnt(0)
	v_lshrrev_b64 v[2:3], s16, v[1:2]
	v_and_b32_e32 v8, 7, v2
	s_cbranch_execz .LBB13_99
	s_branch .LBB13_100
.LBB13_104:
	s_mov_b64 s[8:9], 0
                                        ; implicit-def: $sgpr6
	s_cbranch_execnz .LBB13_107
	s_branch .LBB13_108
.LBB13_105:
	s_mov_b64 s[8:9], -1
                                        ; implicit-def: $sgpr6
.LBB13_106:
	s_branch .LBB13_108
.LBB13_107:
	s_cmp_lg_u32 s15, 10
	s_cselect_b64 s[8:9], -1, 0
	s_mov_b32 s6, s12
.LBB13_108:
	s_andn2_b64 vcc, exec, s[8:9]
	s_mov_b32 s16, 9
	s_cbranch_vccnz .LBB13_115
; %bb.109:
	s_cmp_gt_i32 s15, 21
	s_mul_i32 s10, s15, 3
	s_cbranch_scc1 .LBB13_113
; %bb.110:
	s_cmp_lt_i32 s15, 11
	s_mov_b32 s16, s10
	s_mov_b32 s6, s12
	s_cbranch_scc1 .LBB13_112
; %bb.111:
	s_sub_i32 s16, s10, 32
	s_add_i32 s6, s12, 1
.LBB13_112:
	s_cbranch_execz .LBB13_114
	s_branch .LBB13_115
.LBB13_113:
                                        ; implicit-def: $sgpr16
                                        ; implicit-def: $sgpr6
.LBB13_114:
	s_sub_i32 s16, s10, 64
	s_add_i32 s6, s12, 2
.LBB13_115:
	s_mul_i32 s8, s6, s14
	s_waitcnt vmcnt(0)
	v_add_u32_e32 v1, s8, v0
	v_mov_b32_e32 v2, 0
	v_lshlrev_b64 v[1:2], 2, v[1:2]
	v_mov_b32_e32 v3, s1
	v_add_co_u32_e32 v1, vcc, s0, v1
	v_addc_co_u32_e32 v2, vcc, v3, v2, vcc
	global_load_dword v1, v[1:2], off
	s_cmp_lt_i32 s15, 21
	s_mov_b64 s[8:9], 0
	s_cbranch_scc1 .LBB13_118
; %bb.116:
	s_cmp_eq_u32 s15, 21
	s_cbranch_scc0 .LBB13_119
; %bb.117:
	s_add_i32 s10, s6, 1
	s_mul_i32 s10, s10, s14
	v_add_u32_e32 v2, s10, v0
	v_mov_b32_e32 v3, 0
	v_lshlrev_b64 v[2:3], 2, v[2:3]
	v_mov_b32_e32 v4, s1
	v_add_co_u32_e32 v2, vcc, s0, v2
	v_addc_co_u32_e32 v3, vcc, v4, v3, vcc
	global_load_dword v2, v[2:3], off
	s_mov_b64 s[10:11], 0
	s_waitcnt vmcnt(0)
	v_alignbit_b32 v2, v2, v1, 31
	v_and_b32_e32 v9, 7, v2
	s_branch .LBB13_120
.LBB13_118:
                                        ; implicit-def: $vgpr9
	s_mov_b64 s[10:11], 0
	s_cbranch_execnz .LBB13_121
	s_branch .LBB13_122
.LBB13_119:
	s_mov_b64 s[10:11], -1
                                        ; implicit-def: $vgpr9
.LBB13_120:
	s_branch .LBB13_122
.LBB13_121:
	s_cmp_lg_u32 s15, 10
	s_mov_b64 s[8:9], -1
	s_cselect_b64 s[10:11], -1, 0
.LBB13_122:
	s_andn2_b64 vcc, exec, s[10:11]
	s_cbranch_vccz .LBB13_128
; %bb.123:
	s_andn2_b64 vcc, exec, s[8:9]
	s_cbranch_vccnz .LBB13_125
.LBB13_124:
	s_add_i32 s6, s6, 1
	s_mul_i32 s6, s6, s14
	v_add_u32_e32 v2, s6, v0
	v_mov_b32_e32 v3, 0
	v_lshlrev_b64 v[2:3], 2, v[2:3]
	v_mov_b32_e32 v4, s1
	v_add_co_u32_e32 v2, vcc, s0, v2
	v_addc_co_u32_e32 v3, vcc, v4, v3, vcc
	global_load_dword v2, v[2:3], off
	s_waitcnt vmcnt(0)
	v_alignbit_b32 v1, v2, v1, 30
	v_and_b32_e32 v9, 7, v1
.LBB13_125:
	s_load_dword s6, s[4:5], 0x14
	s_waitcnt lgkmcnt(0)
	s_ashr_i32 s8, s6, 31
	s_lshr_b32 s8, s8, 27
	s_add_i32 s8, s6, s8
	s_ashr_i32 s12, s8, 5
	s_andn2_b32 s8, s8, 31
	s_sub_i32 s15, s6, s8
	s_cmp_lt_i32 s15, 21
	s_mul_i32 s12, s12, 3
	s_cbranch_scc1 .LBB13_129
; %bb.126:
	s_cmp_eq_u32 s15, 21
	s_cbranch_scc0 .LBB13_130
; %bb.127:
	s_add_i32 s6, s12, 1
	s_mov_b64 s[8:9], 0
	s_branch .LBB13_131
.LBB13_128:
	v_mov_b32_e32 v2, 0
	s_waitcnt vmcnt(0)
	v_lshrrev_b64 v[2:3], s16, v[1:2]
	v_and_b32_e32 v9, 7, v2
	s_cbranch_execz .LBB13_124
	s_branch .LBB13_125
.LBB13_129:
	s_mov_b64 s[8:9], 0
                                        ; implicit-def: $sgpr6
	s_cbranch_execnz .LBB13_132
	s_branch .LBB13_133
.LBB13_130:
	s_mov_b64 s[8:9], -1
                                        ; implicit-def: $sgpr6
.LBB13_131:
	s_branch .LBB13_133
.LBB13_132:
	s_cmp_lg_u32 s15, 10
	s_cselect_b64 s[8:9], -1, 0
	s_mov_b32 s6, s12
.LBB13_133:
	s_andn2_b64 vcc, exec, s[8:9]
	s_mov_b32 s16, 12
	s_cbranch_vccnz .LBB13_140
; %bb.134:
	s_cmp_gt_i32 s15, 21
	s_mul_i32 s10, s15, 3
	s_cbranch_scc1 .LBB13_138
; %bb.135:
	s_cmp_lt_i32 s15, 11
	s_mov_b32 s16, s10
	s_mov_b32 s6, s12
	s_cbranch_scc1 .LBB13_137
; %bb.136:
	s_sub_i32 s16, s10, 32
	s_add_i32 s6, s12, 1
.LBB13_137:
	s_cbranch_execz .LBB13_139
	s_branch .LBB13_140
.LBB13_138:
                                        ; implicit-def: $sgpr16
                                        ; implicit-def: $sgpr6
.LBB13_139:
	s_sub_i32 s16, s10, 64
	s_add_i32 s6, s12, 2
.LBB13_140:
	s_mul_i32 s8, s6, s14
	s_waitcnt vmcnt(0)
	v_add_u32_e32 v1, s8, v0
	v_mov_b32_e32 v2, 0
	v_lshlrev_b64 v[1:2], 2, v[1:2]
	v_mov_b32_e32 v3, s1
	v_add_co_u32_e32 v1, vcc, s0, v1
	v_addc_co_u32_e32 v2, vcc, v3, v2, vcc
	global_load_dword v1, v[1:2], off
	s_cmp_lt_i32 s15, 21
	s_mov_b64 s[8:9], 0
	s_cbranch_scc1 .LBB13_143
; %bb.141:
	s_cmp_eq_u32 s15, 21
	s_cbranch_scc0 .LBB13_144
; %bb.142:
	s_add_i32 s10, s6, 1
	s_mul_i32 s10, s10, s14
	v_add_u32_e32 v2, s10, v0
	v_mov_b32_e32 v3, 0
	v_lshlrev_b64 v[2:3], 2, v[2:3]
	v_mov_b32_e32 v4, s1
	v_add_co_u32_e32 v2, vcc, s0, v2
	v_addc_co_u32_e32 v3, vcc, v4, v3, vcc
	global_load_dword v2, v[2:3], off
	s_mov_b64 s[10:11], 0
	s_waitcnt vmcnt(0)
	v_alignbit_b32 v2, v2, v1, 31
	v_and_b32_e32 v10, 7, v2
	s_branch .LBB13_145
.LBB13_143:
                                        ; implicit-def: $vgpr10
	s_mov_b64 s[10:11], 0
	s_cbranch_execnz .LBB13_146
	s_branch .LBB13_147
.LBB13_144:
	s_mov_b64 s[10:11], -1
                                        ; implicit-def: $vgpr10
.LBB13_145:
	s_branch .LBB13_147
.LBB13_146:
	s_cmp_lg_u32 s15, 10
	s_mov_b64 s[8:9], -1
	s_cselect_b64 s[10:11], -1, 0
.LBB13_147:
	s_andn2_b64 vcc, exec, s[10:11]
	s_cbranch_vccz .LBB13_153
; %bb.148:
	s_andn2_b64 vcc, exec, s[8:9]
	s_cbranch_vccnz .LBB13_150
.LBB13_149:
	s_add_i32 s6, s6, 1
	s_mul_i32 s6, s6, s14
	v_add_u32_e32 v2, s6, v0
	v_mov_b32_e32 v3, 0
	v_lshlrev_b64 v[2:3], 2, v[2:3]
	v_mov_b32_e32 v4, s1
	v_add_co_u32_e32 v2, vcc, s0, v2
	v_addc_co_u32_e32 v3, vcc, v4, v3, vcc
	global_load_dword v2, v[2:3], off
	s_waitcnt vmcnt(0)
	v_alignbit_b32 v1, v2, v1, 30
	v_and_b32_e32 v10, 7, v1
.LBB13_150:
	s_load_dword s6, s[4:5], 0x18
	s_waitcnt lgkmcnt(0)
	s_ashr_i32 s8, s6, 31
	s_lshr_b32 s8, s8, 27
	s_add_i32 s8, s6, s8
	s_ashr_i32 s12, s8, 5
	s_andn2_b32 s8, s8, 31
	s_sub_i32 s15, s6, s8
	s_cmp_lt_i32 s15, 21
	s_mul_i32 s12, s12, 3
	s_cbranch_scc1 .LBB13_154
; %bb.151:
	s_cmp_eq_u32 s15, 21
	s_cbranch_scc0 .LBB13_155
; %bb.152:
	s_add_i32 s6, s12, 1
	s_mov_b64 s[8:9], 0
	s_branch .LBB13_156
.LBB13_153:
	v_mov_b32_e32 v2, 0
	s_waitcnt vmcnt(0)
	v_lshrrev_b64 v[2:3], s16, v[1:2]
	v_and_b32_e32 v10, 7, v2
	s_cbranch_execz .LBB13_149
	s_branch .LBB13_150
.LBB13_154:
	s_mov_b64 s[8:9], 0
                                        ; implicit-def: $sgpr6
	s_cbranch_execnz .LBB13_157
	s_branch .LBB13_158
.LBB13_155:
	s_mov_b64 s[8:9], -1
                                        ; implicit-def: $sgpr6
.LBB13_156:
	s_branch .LBB13_158
.LBB13_157:
	s_cmp_lg_u32 s15, 10
	s_cselect_b64 s[8:9], -1, 0
	s_mov_b32 s6, s12
.LBB13_158:
	s_andn2_b64 vcc, exec, s[8:9]
	s_mov_b32 s16, 15
	s_cbranch_vccnz .LBB13_165
; %bb.159:
	s_cmp_gt_i32 s15, 21
	s_mul_i32 s10, s15, 3
	s_cbranch_scc1 .LBB13_163
; %bb.160:
	s_cmp_lt_i32 s15, 11
	s_mov_b32 s16, s10
	s_mov_b32 s6, s12
	s_cbranch_scc1 .LBB13_162
; %bb.161:
	s_sub_i32 s16, s10, 32
	s_add_i32 s6, s12, 1
.LBB13_162:
	s_cbranch_execz .LBB13_164
	s_branch .LBB13_165
.LBB13_163:
                                        ; implicit-def: $sgpr16
                                        ; implicit-def: $sgpr6
.LBB13_164:
	s_sub_i32 s16, s10, 64
	s_add_i32 s6, s12, 2
.LBB13_165:
	s_mul_i32 s8, s6, s14
	s_waitcnt vmcnt(0)
	v_add_u32_e32 v1, s8, v0
	v_mov_b32_e32 v2, 0
	v_lshlrev_b64 v[1:2], 2, v[1:2]
	v_mov_b32_e32 v3, s1
	v_add_co_u32_e32 v1, vcc, s0, v1
	v_addc_co_u32_e32 v2, vcc, v3, v2, vcc
	global_load_dword v1, v[1:2], off
	s_cmp_lt_i32 s15, 21
	s_mov_b64 s[8:9], 0
	s_cbranch_scc1 .LBB13_168
; %bb.166:
	s_cmp_eq_u32 s15, 21
	s_cbranch_scc0 .LBB13_169
; %bb.167:
	s_add_i32 s10, s6, 1
	s_mul_i32 s10, s10, s14
	v_add_u32_e32 v2, s10, v0
	v_mov_b32_e32 v3, 0
	v_lshlrev_b64 v[2:3], 2, v[2:3]
	v_mov_b32_e32 v4, s1
	v_add_co_u32_e32 v2, vcc, s0, v2
	v_addc_co_u32_e32 v3, vcc, v4, v3, vcc
	global_load_dword v2, v[2:3], off
	s_mov_b64 s[10:11], 0
	s_waitcnt vmcnt(0)
	v_alignbit_b32 v2, v2, v1, 31
	v_and_b32_e32 v11, 7, v2
	s_branch .LBB13_170
.LBB13_168:
                                        ; implicit-def: $vgpr11
	s_mov_b64 s[10:11], 0
	s_cbranch_execnz .LBB13_171
	s_branch .LBB13_172
.LBB13_169:
	s_mov_b64 s[10:11], -1
                                        ; implicit-def: $vgpr11
.LBB13_170:
	s_branch .LBB13_172
.LBB13_171:
	s_cmp_lg_u32 s15, 10
	s_mov_b64 s[8:9], -1
	s_cselect_b64 s[10:11], -1, 0
.LBB13_172:
	s_andn2_b64 vcc, exec, s[10:11]
	s_cbranch_vccz .LBB13_178
; %bb.173:
	s_andn2_b64 vcc, exec, s[8:9]
	s_cbranch_vccnz .LBB13_175
.LBB13_174:
	s_add_i32 s6, s6, 1
	s_mul_i32 s6, s6, s14
	v_add_u32_e32 v2, s6, v0
	v_mov_b32_e32 v3, 0
	v_lshlrev_b64 v[2:3], 2, v[2:3]
	v_mov_b32_e32 v4, s1
	v_add_co_u32_e32 v2, vcc, s0, v2
	v_addc_co_u32_e32 v3, vcc, v4, v3, vcc
	global_load_dword v2, v[2:3], off
	s_waitcnt vmcnt(0)
	v_alignbit_b32 v1, v2, v1, 30
	v_and_b32_e32 v11, 7, v1
.LBB13_175:
	s_load_dword s6, s[4:5], 0x1c
	s_waitcnt lgkmcnt(0)
	s_ashr_i32 s8, s6, 31
	s_lshr_b32 s8, s8, 27
	s_add_i32 s8, s6, s8
	s_ashr_i32 s12, s8, 5
	s_andn2_b32 s8, s8, 31
	s_sub_i32 s15, s6, s8
	s_cmp_lt_i32 s15, 21
	s_mul_i32 s12, s12, 3
	s_cbranch_scc1 .LBB13_179
; %bb.176:
	s_cmp_eq_u32 s15, 21
	s_cbranch_scc0 .LBB13_180
; %bb.177:
	s_add_i32 s6, s12, 1
	s_mov_b64 s[8:9], 0
	s_branch .LBB13_181
.LBB13_178:
	v_mov_b32_e32 v2, 0
	s_waitcnt vmcnt(0)
	v_lshrrev_b64 v[2:3], s16, v[1:2]
	v_and_b32_e32 v11, 7, v2
	s_cbranch_execz .LBB13_174
	s_branch .LBB13_175
.LBB13_179:
	s_mov_b64 s[8:9], 0
                                        ; implicit-def: $sgpr6
	s_cbranch_execnz .LBB13_182
	s_branch .LBB13_183
.LBB13_180:
	s_mov_b64 s[8:9], -1
                                        ; implicit-def: $sgpr6
.LBB13_181:
	s_branch .LBB13_183
.LBB13_182:
	s_cmp_lg_u32 s15, 10
	s_cselect_b64 s[8:9], -1, 0
	s_mov_b32 s6, s12
.LBB13_183:
	s_andn2_b64 vcc, exec, s[8:9]
	s_mov_b32 s16, 18
	s_cbranch_vccnz .LBB13_190
; %bb.184:
	s_cmp_gt_i32 s15, 21
	s_mul_i32 s10, s15, 3
	s_cbranch_scc1 .LBB13_188
; %bb.185:
	s_cmp_lt_i32 s15, 11
	s_mov_b32 s16, s10
	s_mov_b32 s6, s12
	s_cbranch_scc1 .LBB13_187
; %bb.186:
	s_sub_i32 s16, s10, 32
	s_add_i32 s6, s12, 1
.LBB13_187:
	s_cbranch_execz .LBB13_189
	s_branch .LBB13_190
.LBB13_188:
                                        ; implicit-def: $sgpr16
                                        ; implicit-def: $sgpr6
.LBB13_189:
	s_sub_i32 s16, s10, 64
	s_add_i32 s6, s12, 2
.LBB13_190:
	s_mul_i32 s8, s6, s14
	s_waitcnt vmcnt(0)
	v_add_u32_e32 v1, s8, v0
	v_mov_b32_e32 v2, 0
	v_lshlrev_b64 v[1:2], 2, v[1:2]
	v_mov_b32_e32 v3, s1
	v_add_co_u32_e32 v1, vcc, s0, v1
	v_addc_co_u32_e32 v2, vcc, v3, v2, vcc
	global_load_dword v1, v[1:2], off
	s_cmp_lt_i32 s15, 21
	s_mov_b64 s[8:9], 0
	s_cbranch_scc1 .LBB13_193
; %bb.191:
	s_cmp_eq_u32 s15, 21
	s_cbranch_scc0 .LBB13_194
; %bb.192:
	s_add_i32 s10, s6, 1
	s_mul_i32 s10, s10, s14
	v_add_u32_e32 v2, s10, v0
	v_mov_b32_e32 v3, 0
	v_lshlrev_b64 v[2:3], 2, v[2:3]
	v_mov_b32_e32 v4, s1
	v_add_co_u32_e32 v2, vcc, s0, v2
	v_addc_co_u32_e32 v3, vcc, v4, v3, vcc
	global_load_dword v2, v[2:3], off
	s_mov_b64 s[10:11], 0
	s_waitcnt vmcnt(0)
	v_alignbit_b32 v2, v2, v1, 31
	v_and_b32_e32 v12, 7, v2
	s_branch .LBB13_195
.LBB13_193:
                                        ; implicit-def: $vgpr12
	s_mov_b64 s[10:11], 0
	s_cbranch_execnz .LBB13_196
	s_branch .LBB13_197
.LBB13_194:
	s_mov_b64 s[10:11], -1
                                        ; implicit-def: $vgpr12
.LBB13_195:
	s_branch .LBB13_197
.LBB13_196:
	s_cmp_lg_u32 s15, 10
	s_mov_b64 s[8:9], -1
	s_cselect_b64 s[10:11], -1, 0
.LBB13_197:
	s_andn2_b64 vcc, exec, s[10:11]
	s_cbranch_vccz .LBB13_203
; %bb.198:
	s_andn2_b64 vcc, exec, s[8:9]
	s_cbranch_vccnz .LBB13_200
.LBB13_199:
	s_add_i32 s6, s6, 1
	s_mul_i32 s6, s6, s14
	v_add_u32_e32 v2, s6, v0
	v_mov_b32_e32 v3, 0
	v_lshlrev_b64 v[2:3], 2, v[2:3]
	v_mov_b32_e32 v4, s1
	v_add_co_u32_e32 v2, vcc, s0, v2
	v_addc_co_u32_e32 v3, vcc, v4, v3, vcc
	global_load_dword v2, v[2:3], off
	s_waitcnt vmcnt(0)
	v_alignbit_b32 v1, v2, v1, 30
	v_and_b32_e32 v12, 7, v1
.LBB13_200:
	s_load_dword s6, s[4:5], 0x20
	s_waitcnt lgkmcnt(0)
	s_ashr_i32 s8, s6, 31
	s_lshr_b32 s8, s8, 27
	s_add_i32 s8, s6, s8
	s_ashr_i32 s12, s8, 5
	s_andn2_b32 s8, s8, 31
	s_sub_i32 s15, s6, s8
	s_cmp_lt_i32 s15, 21
	s_mul_i32 s12, s12, 3
	s_cbranch_scc1 .LBB13_204
; %bb.201:
	s_cmp_eq_u32 s15, 21
	s_cbranch_scc0 .LBB13_205
; %bb.202:
	s_add_i32 s6, s12, 1
	s_mov_b64 s[8:9], 0
	s_branch .LBB13_206
.LBB13_203:
	v_mov_b32_e32 v2, 0
	s_waitcnt vmcnt(0)
	v_lshrrev_b64 v[2:3], s16, v[1:2]
	v_and_b32_e32 v12, 7, v2
	s_cbranch_execz .LBB13_199
	s_branch .LBB13_200
.LBB13_204:
	s_mov_b64 s[8:9], 0
                                        ; implicit-def: $sgpr6
	s_cbranch_execnz .LBB13_207
	s_branch .LBB13_208
.LBB13_205:
	s_mov_b64 s[8:9], -1
                                        ; implicit-def: $sgpr6
.LBB13_206:
	s_branch .LBB13_208
.LBB13_207:
	s_cmp_lg_u32 s15, 10
	s_cselect_b64 s[8:9], -1, 0
	s_mov_b32 s6, s12
.LBB13_208:
	s_andn2_b64 vcc, exec, s[8:9]
	s_mov_b32 s16, 21
	s_cbranch_vccnz .LBB13_215
; %bb.209:
	s_cmp_gt_i32 s15, 21
	s_mul_i32 s10, s15, 3
	s_cbranch_scc1 .LBB13_213
; %bb.210:
	s_cmp_lt_i32 s15, 11
	s_mov_b32 s16, s10
	s_mov_b32 s6, s12
	s_cbranch_scc1 .LBB13_212
; %bb.211:
	s_sub_i32 s16, s10, 32
	s_add_i32 s6, s12, 1
.LBB13_212:
	s_cbranch_execz .LBB13_214
	s_branch .LBB13_215
.LBB13_213:
                                        ; implicit-def: $sgpr16
                                        ; implicit-def: $sgpr6
.LBB13_214:
	s_sub_i32 s16, s10, 64
	s_add_i32 s6, s12, 2
.LBB13_215:
	s_mul_i32 s8, s6, s14
	s_waitcnt vmcnt(0)
	v_add_u32_e32 v1, s8, v0
	v_mov_b32_e32 v2, 0
	v_lshlrev_b64 v[1:2], 2, v[1:2]
	v_mov_b32_e32 v3, s1
	v_add_co_u32_e32 v1, vcc, s0, v1
	v_addc_co_u32_e32 v2, vcc, v3, v2, vcc
	global_load_dword v1, v[1:2], off
	s_cmp_lt_i32 s15, 21
	s_mov_b64 s[8:9], 0
	s_cbranch_scc1 .LBB13_218
; %bb.216:
	s_cmp_eq_u32 s15, 21
	s_cbranch_scc0 .LBB13_219
; %bb.217:
	s_add_i32 s10, s6, 1
	s_mul_i32 s10, s10, s14
	v_add_u32_e32 v2, s10, v0
	v_mov_b32_e32 v3, 0
	v_lshlrev_b64 v[2:3], 2, v[2:3]
	v_mov_b32_e32 v4, s1
	v_add_co_u32_e32 v2, vcc, s0, v2
	v_addc_co_u32_e32 v3, vcc, v4, v3, vcc
	global_load_dword v2, v[2:3], off
	s_mov_b64 s[10:11], 0
	s_waitcnt vmcnt(0)
	v_alignbit_b32 v2, v2, v1, 31
	v_and_b32_e32 v13, 7, v2
	s_branch .LBB13_220
.LBB13_218:
                                        ; implicit-def: $vgpr13
	s_mov_b64 s[10:11], 0
	s_cbranch_execnz .LBB13_221
	s_branch .LBB13_222
.LBB13_219:
	s_mov_b64 s[10:11], -1
                                        ; implicit-def: $vgpr13
.LBB13_220:
	s_branch .LBB13_222
.LBB13_221:
	s_cmp_lg_u32 s15, 10
	s_mov_b64 s[8:9], -1
	s_cselect_b64 s[10:11], -1, 0
.LBB13_222:
	s_andn2_b64 vcc, exec, s[10:11]
	s_cbranch_vccz .LBB13_228
; %bb.223:
	s_andn2_b64 vcc, exec, s[8:9]
	s_cbranch_vccnz .LBB13_225
.LBB13_224:
	s_add_i32 s6, s6, 1
	s_mul_i32 s6, s6, s14
	v_add_u32_e32 v2, s6, v0
	v_mov_b32_e32 v3, 0
	v_lshlrev_b64 v[2:3], 2, v[2:3]
	v_mov_b32_e32 v4, s1
	v_add_co_u32_e32 v2, vcc, s0, v2
	v_addc_co_u32_e32 v3, vcc, v4, v3, vcc
	global_load_dword v2, v[2:3], off
	s_waitcnt vmcnt(0)
	v_alignbit_b32 v1, v2, v1, 30
	v_and_b32_e32 v13, 7, v1
.LBB13_225:
	s_load_dword s6, s[4:5], 0x24
	s_waitcnt lgkmcnt(0)
	s_ashr_i32 s8, s6, 31
	s_lshr_b32 s8, s8, 27
	s_add_i32 s8, s6, s8
	s_ashr_i32 s12, s8, 5
	s_andn2_b32 s8, s8, 31
	s_sub_i32 s15, s6, s8
	s_cmp_lt_i32 s15, 21
	s_mul_i32 s12, s12, 3
	s_cbranch_scc1 .LBB13_229
; %bb.226:
	s_cmp_eq_u32 s15, 21
	s_cbranch_scc0 .LBB13_230
; %bb.227:
	s_add_i32 s6, s12, 1
	s_mov_b64 s[8:9], 0
	s_branch .LBB13_231
.LBB13_228:
	v_mov_b32_e32 v2, 0
	s_waitcnt vmcnt(0)
	v_lshrrev_b64 v[2:3], s16, v[1:2]
	v_and_b32_e32 v13, 7, v2
	s_cbranch_execz .LBB13_224
	s_branch .LBB13_225
.LBB13_229:
	s_mov_b64 s[8:9], 0
                                        ; implicit-def: $sgpr6
	s_cbranch_execnz .LBB13_232
	s_branch .LBB13_233
.LBB13_230:
	s_mov_b64 s[8:9], -1
                                        ; implicit-def: $sgpr6
.LBB13_231:
	s_branch .LBB13_233
.LBB13_232:
	s_cmp_lg_u32 s15, 10
	s_cselect_b64 s[8:9], -1, 0
	s_mov_b32 s6, s12
.LBB13_233:
	s_andn2_b64 vcc, exec, s[8:9]
	s_mov_b32 s16, 24
	s_cbranch_vccnz .LBB13_240
; %bb.234:
	s_cmp_gt_i32 s15, 21
	s_mul_i32 s10, s15, 3
	s_cbranch_scc1 .LBB13_238
; %bb.235:
	s_cmp_lt_i32 s15, 11
	s_mov_b32 s16, s10
	s_mov_b32 s6, s12
	s_cbranch_scc1 .LBB13_237
; %bb.236:
	s_sub_i32 s16, s10, 32
	s_add_i32 s6, s12, 1
.LBB13_237:
	s_cbranch_execz .LBB13_239
	s_branch .LBB13_240
.LBB13_238:
                                        ; implicit-def: $sgpr16
                                        ; implicit-def: $sgpr6
.LBB13_239:
	s_sub_i32 s16, s10, 64
	s_add_i32 s6, s12, 2
.LBB13_240:
	s_mul_i32 s8, s6, s14
	s_waitcnt vmcnt(0)
	v_add_u32_e32 v1, s8, v0
	v_mov_b32_e32 v2, 0
	v_lshlrev_b64 v[1:2], 2, v[1:2]
	v_mov_b32_e32 v3, s1
	v_add_co_u32_e32 v1, vcc, s0, v1
	v_addc_co_u32_e32 v2, vcc, v3, v2, vcc
	global_load_dword v1, v[1:2], off
	s_cmp_lt_i32 s15, 21
	s_mov_b64 s[8:9], 0
	s_cbranch_scc1 .LBB13_243
; %bb.241:
	s_cmp_eq_u32 s15, 21
	s_cbranch_scc0 .LBB13_244
; %bb.242:
	s_add_i32 s10, s6, 1
	s_mul_i32 s10, s10, s14
	v_add_u32_e32 v2, s10, v0
	v_mov_b32_e32 v3, 0
	v_lshlrev_b64 v[2:3], 2, v[2:3]
	v_mov_b32_e32 v4, s1
	v_add_co_u32_e32 v2, vcc, s0, v2
	v_addc_co_u32_e32 v3, vcc, v4, v3, vcc
	global_load_dword v2, v[2:3], off
	s_mov_b64 s[10:11], 0
	s_waitcnt vmcnt(0)
	v_alignbit_b32 v2, v2, v1, 31
	v_and_b32_e32 v14, 7, v2
	s_branch .LBB13_245
.LBB13_243:
                                        ; implicit-def: $vgpr14
	s_mov_b64 s[10:11], 0
	s_cbranch_execnz .LBB13_246
	s_branch .LBB13_247
.LBB13_244:
	s_mov_b64 s[10:11], -1
                                        ; implicit-def: $vgpr14
.LBB13_245:
	s_branch .LBB13_247
.LBB13_246:
	s_cmp_lg_u32 s15, 10
	s_mov_b64 s[8:9], -1
	s_cselect_b64 s[10:11], -1, 0
.LBB13_247:
	s_andn2_b64 vcc, exec, s[10:11]
	s_cbranch_vccz .LBB13_253
; %bb.248:
	s_andn2_b64 vcc, exec, s[8:9]
	s_cbranch_vccnz .LBB13_250
.LBB13_249:
	s_add_i32 s6, s6, 1
	s_mul_i32 s6, s6, s14
	v_add_u32_e32 v2, s6, v0
	v_mov_b32_e32 v3, 0
	v_lshlrev_b64 v[2:3], 2, v[2:3]
	v_mov_b32_e32 v4, s1
	v_add_co_u32_e32 v2, vcc, s0, v2
	v_addc_co_u32_e32 v3, vcc, v4, v3, vcc
	global_load_dword v2, v[2:3], off
	s_waitcnt vmcnt(0)
	v_alignbit_b32 v1, v2, v1, 30
	v_and_b32_e32 v14, 7, v1
.LBB13_250:
	s_load_dword s6, s[4:5], 0x28
	s_waitcnt lgkmcnt(0)
	s_ashr_i32 s8, s6, 31
	s_lshr_b32 s8, s8, 27
	s_add_i32 s8, s6, s8
	s_ashr_i32 s12, s8, 5
	s_andn2_b32 s8, s8, 31
	s_sub_i32 s16, s6, s8
	s_cmp_lt_i32 s16, 21
	s_mul_i32 s12, s12, 3
	s_cbranch_scc1 .LBB13_254
; %bb.251:
	s_cmp_eq_u32 s16, 21
	s_cbranch_scc0 .LBB13_255
; %bb.252:
	s_add_i32 s15, s12, 1
	s_mov_b64 s[8:9], 0
	s_branch .LBB13_256
.LBB13_253:
	v_mov_b32_e32 v2, 0
	s_waitcnt vmcnt(0)
	v_lshrrev_b64 v[2:3], s16, v[1:2]
	v_and_b32_e32 v14, 7, v2
	s_cbranch_execz .LBB13_249
	s_branch .LBB13_250
.LBB13_254:
	s_mov_b64 s[8:9], 0
                                        ; implicit-def: $sgpr15
	s_cbranch_execnz .LBB13_257
	s_branch .LBB13_258
.LBB13_255:
	s_mov_b64 s[8:9], -1
                                        ; implicit-def: $sgpr15
.LBB13_256:
	s_branch .LBB13_258
.LBB13_257:
	s_cmp_lg_u32 s16, 10
	s_cselect_b64 s[8:9], -1, 0
	s_mov_b32 s15, s12
.LBB13_258:
	s_andn2_b64 vcc, exec, s[8:9]
	s_mov_b32 s6, 27
	s_cbranch_vccnz .LBB13_265
; %bb.259:
	s_cmp_gt_i32 s16, 21
	s_mul_i32 s10, s16, 3
	s_cbranch_scc1 .LBB13_263
; %bb.260:
	s_cmp_lt_i32 s16, 11
	s_mov_b32 s6, s10
	s_mov_b32 s15, s12
	s_cbranch_scc1 .LBB13_262
; %bb.261:
	s_sub_i32 s6, s10, 32
	s_add_i32 s15, s12, 1
.LBB13_262:
	s_cbranch_execz .LBB13_264
	s_branch .LBB13_265
.LBB13_263:
                                        ; implicit-def: $sgpr6
                                        ; implicit-def: $sgpr15
.LBB13_264:
	s_sub_i32 s6, s10, 64
	s_add_i32 s15, s12, 2
.LBB13_265:
	s_mul_i32 s8, s15, s14
	s_waitcnt vmcnt(0)
	v_add_u32_e32 v1, s8, v0
	v_mov_b32_e32 v2, 0
	v_lshlrev_b64 v[1:2], 2, v[1:2]
	v_mov_b32_e32 v3, s1
	v_add_co_u32_e32 v1, vcc, s0, v1
	v_addc_co_u32_e32 v2, vcc, v3, v2, vcc
	global_load_dword v1, v[1:2], off
	s_cmp_lt_i32 s16, 21
	s_mov_b64 s[8:9], 0
	s_cbranch_scc1 .LBB13_268
; %bb.266:
	s_cmp_eq_u32 s16, 21
	s_cbranch_scc0 .LBB13_269
; %bb.267:
	s_add_i32 s10, s15, 1
	s_mul_i32 s10, s10, s14
	v_add_u32_e32 v2, s10, v0
	v_mov_b32_e32 v3, 0
	v_lshlrev_b64 v[2:3], 2, v[2:3]
	v_mov_b32_e32 v4, s1
	v_add_co_u32_e32 v2, vcc, s0, v2
	v_addc_co_u32_e32 v3, vcc, v4, v3, vcc
	global_load_dword v2, v[2:3], off
	s_mov_b64 s[10:11], 0
	s_waitcnt vmcnt(0)
	v_alignbit_b32 v2, v2, v1, 31
	v_and_b32_e32 v15, 7, v2
	s_branch .LBB13_270
.LBB13_268:
                                        ; implicit-def: $vgpr15
	s_mov_b64 s[10:11], 0
	s_cbranch_execnz .LBB13_271
	s_branch .LBB13_272
.LBB13_269:
	s_mov_b64 s[10:11], -1
                                        ; implicit-def: $vgpr15
.LBB13_270:
	s_branch .LBB13_272
.LBB13_271:
	s_cmp_lg_u32 s16, 10
	s_mov_b64 s[8:9], -1
	s_cselect_b64 s[10:11], -1, 0
.LBB13_272:
	s_andn2_b64 vcc, exec, s[10:11]
	s_cbranch_vccz .LBB13_278
; %bb.273:
	s_andn2_b64 vcc, exec, s[8:9]
	s_cbranch_vccnz .LBB13_275
.LBB13_274:
	s_add_i32 s8, s15, 1
	s_mul_i32 s8, s8, s14
	v_add_u32_e32 v2, s8, v0
	v_mov_b32_e32 v3, 0
	v_lshlrev_b64 v[2:3], 2, v[2:3]
	v_mov_b32_e32 v4, s1
	v_add_co_u32_e32 v2, vcc, s0, v2
	v_addc_co_u32_e32 v3, vcc, v4, v3, vcc
	global_load_dword v2, v[2:3], off
	s_waitcnt vmcnt(0)
	v_alignbit_b32 v1, v2, v1, 30
	v_and_b32_e32 v15, 7, v1
.LBB13_275:
	s_load_dword s8, s[4:5], 0x2c
	s_waitcnt lgkmcnt(0)
	s_ashr_i32 s9, s8, 31
	s_lshr_b32 s9, s9, 27
	s_add_i32 s9, s8, s9
	s_ashr_i32 s12, s9, 5
	s_andn2_b32 s9, s9, 31
	s_sub_i32 s16, s8, s9
	s_cmp_lt_i32 s16, 21
	s_mul_i32 s12, s12, 3
	s_cbranch_scc1 .LBB13_279
; %bb.276:
	s_cmp_eq_u32 s16, 21
	s_cbranch_scc0 .LBB13_280
; %bb.277:
	s_add_i32 s15, s12, 1
	s_mov_b64 s[8:9], 0
	s_branch .LBB13_281
.LBB13_278:
	v_mov_b32_e32 v2, 0
	s_waitcnt vmcnt(0)
	v_lshrrev_b64 v[2:3], s6, v[1:2]
	v_and_b32_e32 v15, 7, v2
	s_cbranch_execz .LBB13_274
	s_branch .LBB13_275
.LBB13_279:
	s_mov_b64 s[8:9], 0
                                        ; implicit-def: $sgpr15
	s_cbranch_execnz .LBB13_282
	s_branch .LBB13_283
.LBB13_280:
	s_mov_b64 s[8:9], -1
                                        ; implicit-def: $sgpr15
.LBB13_281:
	s_branch .LBB13_283
.LBB13_282:
	s_cmp_lg_u32 s16, 10
	s_cselect_b64 s[8:9], -1, 0
	s_mov_b32 s15, s12
.LBB13_283:
	s_andn2_b64 vcc, exec, s[8:9]
	s_cbranch_vccnz .LBB13_290
; %bb.284:
	s_cmp_gt_i32 s16, 21
	s_mul_i32 s10, s16, 3
	s_cbranch_scc1 .LBB13_288
; %bb.285:
	s_cmp_lt_i32 s16, 11
	s_mov_b32 s6, s10
	s_mov_b32 s15, s12
	s_cbranch_scc1 .LBB13_287
; %bb.286:
	s_sub_i32 s6, s10, 32
	s_add_i32 s15, s12, 1
.LBB13_287:
	s_cbranch_execz .LBB13_289
	s_branch .LBB13_290
.LBB13_288:
                                        ; implicit-def: $sgpr6
                                        ; implicit-def: $sgpr15
.LBB13_289:
	s_sub_i32 s6, s10, 64
	s_add_i32 s15, s12, 2
.LBB13_290:
	s_mul_i32 s8, s15, s14
	s_waitcnt vmcnt(0)
	v_add_u32_e32 v1, s8, v0
	v_mov_b32_e32 v2, 0
	v_lshlrev_b64 v[1:2], 2, v[1:2]
	v_mov_b32_e32 v3, s1
	v_add_co_u32_e32 v1, vcc, s0, v1
	v_addc_co_u32_e32 v2, vcc, v3, v2, vcc
	global_load_dword v1, v[1:2], off
	s_cmp_lt_i32 s16, 21
	s_mov_b64 s[8:9], 0
	s_cbranch_scc1 .LBB13_293
; %bb.291:
	s_cmp_eq_u32 s16, 21
	s_cbranch_scc0 .LBB13_294
; %bb.292:
	s_add_i32 s10, s15, 1
	s_mul_i32 s10, s10, s14
	v_add_u32_e32 v2, s10, v0
	v_mov_b32_e32 v3, 0
	v_lshlrev_b64 v[2:3], 2, v[2:3]
	v_mov_b32_e32 v4, s1
	v_add_co_u32_e32 v2, vcc, s0, v2
	v_addc_co_u32_e32 v3, vcc, v4, v3, vcc
	global_load_dword v2, v[2:3], off
	s_mov_b64 s[10:11], 0
	s_waitcnt vmcnt(0)
	v_alignbit_b32 v2, v2, v1, 31
	v_and_b32_e32 v16, 7, v2
	s_branch .LBB13_295
.LBB13_293:
                                        ; implicit-def: $vgpr16
	s_mov_b64 s[10:11], 0
	s_cbranch_execnz .LBB13_296
	s_branch .LBB13_297
.LBB13_294:
	s_mov_b64 s[10:11], -1
                                        ; implicit-def: $vgpr16
.LBB13_295:
	s_branch .LBB13_297
.LBB13_296:
	s_cmp_lg_u32 s16, 10
	s_mov_b64 s[8:9], -1
	s_cselect_b64 s[10:11], -1, 0
.LBB13_297:
	s_andn2_b64 vcc, exec, s[10:11]
	s_cbranch_vccz .LBB13_303
; %bb.298:
	s_andn2_b64 vcc, exec, s[8:9]
	s_cbranch_vccnz .LBB13_300
.LBB13_299:
	s_add_i32 s6, s15, 1
	s_mul_i32 s6, s6, s14
	v_add_u32_e32 v2, s6, v0
	v_mov_b32_e32 v3, 0
	v_lshlrev_b64 v[2:3], 2, v[2:3]
	v_mov_b32_e32 v4, s1
	v_add_co_u32_e32 v2, vcc, s0, v2
	v_addc_co_u32_e32 v3, vcc, v4, v3, vcc
	global_load_dword v2, v[2:3], off
	s_waitcnt vmcnt(0)
	v_alignbit_b32 v1, v2, v1, 30
	v_and_b32_e32 v16, 7, v1
.LBB13_300:
	s_load_dword s6, s[4:5], 0x30
	s_waitcnt lgkmcnt(0)
	s_ashr_i32 s8, s6, 31
	s_lshr_b32 s8, s8, 27
	s_add_i32 s8, s6, s8
	s_ashr_i32 s12, s8, 5
	s_andn2_b32 s8, s8, 31
	s_sub_i32 s15, s6, s8
	s_cmp_lt_i32 s15, 21
	s_mul_i32 s12, s12, 3
	s_cbranch_scc1 .LBB13_304
; %bb.301:
	s_cmp_eq_u32 s15, 21
	s_cbranch_scc0 .LBB13_305
; %bb.302:
	s_add_i32 s6, s12, 1
	s_mov_b64 s[8:9], 0
	s_branch .LBB13_306
.LBB13_303:
	v_mov_b32_e32 v2, 0
	s_waitcnt vmcnt(0)
	v_lshrrev_b64 v[2:3], s6, v[1:2]
	v_and_b32_e32 v16, 7, v2
	s_cbranch_execz .LBB13_299
	s_branch .LBB13_300
.LBB13_304:
	s_mov_b64 s[8:9], 0
                                        ; implicit-def: $sgpr6
	s_cbranch_execnz .LBB13_307
	s_branch .LBB13_308
.LBB13_305:
	s_mov_b64 s[8:9], -1
                                        ; implicit-def: $sgpr6
.LBB13_306:
	s_branch .LBB13_308
.LBB13_307:
	s_cmp_lg_u32 s15, 10
	s_cselect_b64 s[8:9], -1, 0
	s_mov_b32 s6, s12
.LBB13_308:
	s_andn2_b64 vcc, exec, s[8:9]
	s_mov_b32 s16, 1
	s_cbranch_vccnz .LBB13_315
; %bb.309:
	s_cmp_gt_i32 s15, 21
	s_mul_i32 s10, s15, 3
	s_cbranch_scc1 .LBB13_313
; %bb.310:
	s_cmp_lt_i32 s15, 11
	s_mov_b32 s16, s10
	s_mov_b32 s6, s12
	s_cbranch_scc1 .LBB13_312
; %bb.311:
	s_sub_i32 s16, s10, 32
	s_add_i32 s6, s12, 1
.LBB13_312:
	s_cbranch_execz .LBB13_314
	s_branch .LBB13_315
.LBB13_313:
                                        ; implicit-def: $sgpr16
                                        ; implicit-def: $sgpr6
.LBB13_314:
	s_sub_i32 s16, s10, 64
	s_add_i32 s6, s12, 2
.LBB13_315:
	s_mul_i32 s8, s6, s14
	s_waitcnt vmcnt(0)
	v_add_u32_e32 v1, s8, v0
	v_mov_b32_e32 v2, 0
	v_lshlrev_b64 v[1:2], 2, v[1:2]
	v_mov_b32_e32 v3, s1
	v_add_co_u32_e32 v1, vcc, s0, v1
	v_addc_co_u32_e32 v2, vcc, v3, v2, vcc
	global_load_dword v1, v[1:2], off
	s_cmp_lt_i32 s15, 21
	s_mov_b64 s[8:9], 0
	s_cbranch_scc1 .LBB13_318
; %bb.316:
	s_cmp_eq_u32 s15, 21
	s_cbranch_scc0 .LBB13_319
; %bb.317:
	s_add_i32 s10, s6, 1
	s_mul_i32 s10, s10, s14
	v_add_u32_e32 v2, s10, v0
	v_mov_b32_e32 v3, 0
	v_lshlrev_b64 v[2:3], 2, v[2:3]
	v_mov_b32_e32 v4, s1
	v_add_co_u32_e32 v2, vcc, s0, v2
	v_addc_co_u32_e32 v3, vcc, v4, v3, vcc
	global_load_dword v2, v[2:3], off
	s_mov_b64 s[10:11], 0
	s_waitcnt vmcnt(0)
	v_alignbit_b32 v2, v2, v1, 31
	v_and_b32_e32 v17, 7, v2
	s_branch .LBB13_320
.LBB13_318:
                                        ; implicit-def: $vgpr17
	s_mov_b64 s[10:11], 0
	s_cbranch_execnz .LBB13_321
	s_branch .LBB13_322
.LBB13_319:
	s_mov_b64 s[10:11], -1
                                        ; implicit-def: $vgpr17
.LBB13_320:
	s_branch .LBB13_322
.LBB13_321:
	s_cmp_lg_u32 s15, 10
	s_mov_b64 s[8:9], -1
	s_cselect_b64 s[10:11], -1, 0
.LBB13_322:
	s_andn2_b64 vcc, exec, s[10:11]
	s_cbranch_vccz .LBB13_328
; %bb.323:
	s_andn2_b64 vcc, exec, s[8:9]
	s_cbranch_vccnz .LBB13_325
.LBB13_324:
	s_add_i32 s6, s6, 1
	s_mul_i32 s6, s6, s14
	v_add_u32_e32 v2, s6, v0
	v_mov_b32_e32 v3, 0
	v_lshlrev_b64 v[2:3], 2, v[2:3]
	v_mov_b32_e32 v4, s1
	v_add_co_u32_e32 v2, vcc, s0, v2
	v_addc_co_u32_e32 v3, vcc, v4, v3, vcc
	global_load_dword v2, v[2:3], off
	s_waitcnt vmcnt(0)
	v_alignbit_b32 v1, v2, v1, 30
	v_and_b32_e32 v17, 7, v1
.LBB13_325:
	s_load_dword s6, s[4:5], 0x34
	s_waitcnt lgkmcnt(0)
	s_ashr_i32 s8, s6, 31
	s_lshr_b32 s8, s8, 27
	s_add_i32 s8, s6, s8
	s_ashr_i32 s12, s8, 5
	s_andn2_b32 s8, s8, 31
	s_sub_i32 s15, s6, s8
	s_cmp_lt_i32 s15, 21
	s_mul_i32 s12, s12, 3
	s_cbranch_scc1 .LBB13_329
; %bb.326:
	s_cmp_eq_u32 s15, 21
	s_cbranch_scc0 .LBB13_330
; %bb.327:
	s_add_i32 s6, s12, 1
	s_mov_b64 s[8:9], 0
	s_branch .LBB13_331
.LBB13_328:
	v_mov_b32_e32 v2, 0
	s_waitcnt vmcnt(0)
	v_lshrrev_b64 v[2:3], s16, v[1:2]
	v_and_b32_e32 v17, 7, v2
	s_cbranch_execz .LBB13_324
	s_branch .LBB13_325
.LBB13_329:
	s_mov_b64 s[8:9], 0
                                        ; implicit-def: $sgpr6
	s_cbranch_execnz .LBB13_332
	s_branch .LBB13_333
.LBB13_330:
	s_mov_b64 s[8:9], -1
                                        ; implicit-def: $sgpr6
.LBB13_331:
	s_branch .LBB13_333
.LBB13_332:
	s_cmp_lg_u32 s15, 10
	s_cselect_b64 s[8:9], -1, 0
	s_mov_b32 s6, s12
.LBB13_333:
	s_andn2_b64 vcc, exec, s[8:9]
	s_mov_b32 s16, 4
	s_cbranch_vccnz .LBB13_340
; %bb.334:
	s_cmp_gt_i32 s15, 21
	s_mul_i32 s10, s15, 3
	s_cbranch_scc1 .LBB13_338
; %bb.335:
	s_cmp_lt_i32 s15, 11
	s_mov_b32 s16, s10
	s_mov_b32 s6, s12
	s_cbranch_scc1 .LBB13_337
; %bb.336:
	s_sub_i32 s16, s10, 32
	s_add_i32 s6, s12, 1
.LBB13_337:
	s_cbranch_execz .LBB13_339
	s_branch .LBB13_340
.LBB13_338:
                                        ; implicit-def: $sgpr16
                                        ; implicit-def: $sgpr6
.LBB13_339:
	s_sub_i32 s16, s10, 64
	s_add_i32 s6, s12, 2
.LBB13_340:
	s_mul_i32 s8, s6, s14
	s_waitcnt vmcnt(0)
	v_add_u32_e32 v1, s8, v0
	v_mov_b32_e32 v2, 0
	v_lshlrev_b64 v[1:2], 2, v[1:2]
	v_mov_b32_e32 v3, s1
	v_add_co_u32_e32 v1, vcc, s0, v1
	v_addc_co_u32_e32 v2, vcc, v3, v2, vcc
	global_load_dword v1, v[1:2], off
	s_cmp_lt_i32 s15, 21
	s_mov_b64 s[8:9], 0
	s_cbranch_scc1 .LBB13_343
; %bb.341:
	s_cmp_eq_u32 s15, 21
	s_cbranch_scc0 .LBB13_344
; %bb.342:
	s_add_i32 s10, s6, 1
	s_mul_i32 s10, s10, s14
	v_add_u32_e32 v2, s10, v0
	v_mov_b32_e32 v3, 0
	v_lshlrev_b64 v[2:3], 2, v[2:3]
	v_mov_b32_e32 v4, s1
	v_add_co_u32_e32 v2, vcc, s0, v2
	v_addc_co_u32_e32 v3, vcc, v4, v3, vcc
	global_load_dword v2, v[2:3], off
	s_mov_b64 s[10:11], 0
	s_waitcnt vmcnt(0)
	v_alignbit_b32 v2, v2, v1, 31
	v_and_b32_e32 v18, 7, v2
	s_branch .LBB13_345
.LBB13_343:
                                        ; implicit-def: $vgpr18
	s_mov_b64 s[10:11], 0
	s_cbranch_execnz .LBB13_346
	s_branch .LBB13_347
.LBB13_344:
	s_mov_b64 s[10:11], -1
                                        ; implicit-def: $vgpr18
.LBB13_345:
	s_branch .LBB13_347
.LBB13_346:
	s_cmp_lg_u32 s15, 10
	s_mov_b64 s[8:9], -1
	s_cselect_b64 s[10:11], -1, 0
.LBB13_347:
	s_andn2_b64 vcc, exec, s[10:11]
	s_cbranch_vccz .LBB13_353
; %bb.348:
	s_andn2_b64 vcc, exec, s[8:9]
	s_cbranch_vccnz .LBB13_350
.LBB13_349:
	s_add_i32 s6, s6, 1
	s_mul_i32 s6, s6, s14
	v_add_u32_e32 v2, s6, v0
	v_mov_b32_e32 v3, 0
	v_lshlrev_b64 v[2:3], 2, v[2:3]
	v_mov_b32_e32 v4, s1
	v_add_co_u32_e32 v2, vcc, s0, v2
	v_addc_co_u32_e32 v3, vcc, v4, v3, vcc
	global_load_dword v2, v[2:3], off
	s_waitcnt vmcnt(0)
	v_alignbit_b32 v1, v2, v1, 30
	v_and_b32_e32 v18, 7, v1
.LBB13_350:
	s_load_dword s6, s[4:5], 0x38
	s_waitcnt lgkmcnt(0)
	s_ashr_i32 s8, s6, 31
	s_lshr_b32 s8, s8, 27
	s_add_i32 s8, s6, s8
	s_ashr_i32 s12, s8, 5
	s_andn2_b32 s8, s8, 31
	s_sub_i32 s15, s6, s8
	s_cmp_lt_i32 s15, 21
	s_mul_i32 s12, s12, 3
	s_cbranch_scc1 .LBB13_354
; %bb.351:
	s_cmp_eq_u32 s15, 21
	s_cbranch_scc0 .LBB13_355
; %bb.352:
	s_add_i32 s6, s12, 1
	s_mov_b64 s[8:9], 0
	s_branch .LBB13_356
.LBB13_353:
	v_mov_b32_e32 v2, 0
	s_waitcnt vmcnt(0)
	v_lshrrev_b64 v[2:3], s16, v[1:2]
	v_and_b32_e32 v18, 7, v2
	s_cbranch_execz .LBB13_349
	s_branch .LBB13_350
.LBB13_354:
	s_mov_b64 s[8:9], 0
                                        ; implicit-def: $sgpr6
	s_cbranch_execnz .LBB13_357
	s_branch .LBB13_358
.LBB13_355:
	s_mov_b64 s[8:9], -1
                                        ; implicit-def: $sgpr6
.LBB13_356:
	s_branch .LBB13_358
.LBB13_357:
	s_cmp_lg_u32 s15, 10
	s_cselect_b64 s[8:9], -1, 0
	s_mov_b32 s6, s12
.LBB13_358:
	s_andn2_b64 vcc, exec, s[8:9]
	s_mov_b32 s16, 7
	s_cbranch_vccnz .LBB13_365
; %bb.359:
	s_cmp_gt_i32 s15, 21
	s_mul_i32 s10, s15, 3
	s_cbranch_scc1 .LBB13_363
; %bb.360:
	s_cmp_lt_i32 s15, 11
	s_mov_b32 s16, s10
	s_mov_b32 s6, s12
	s_cbranch_scc1 .LBB13_362
; %bb.361:
	s_sub_i32 s16, s10, 32
	s_add_i32 s6, s12, 1
.LBB13_362:
	s_cbranch_execz .LBB13_364
	s_branch .LBB13_365
.LBB13_363:
                                        ; implicit-def: $sgpr16
                                        ; implicit-def: $sgpr6
.LBB13_364:
	s_sub_i32 s16, s10, 64
	s_add_i32 s6, s12, 2
.LBB13_365:
	s_mul_i32 s8, s6, s14
	s_waitcnt vmcnt(0)
	v_add_u32_e32 v1, s8, v0
	v_mov_b32_e32 v2, 0
	v_lshlrev_b64 v[1:2], 2, v[1:2]
	v_mov_b32_e32 v3, s1
	v_add_co_u32_e32 v1, vcc, s0, v1
	v_addc_co_u32_e32 v2, vcc, v3, v2, vcc
	global_load_dword v1, v[1:2], off
	s_cmp_lt_i32 s15, 21
	s_mov_b64 s[8:9], 0
	s_cbranch_scc1 .LBB13_368
; %bb.366:
	s_cmp_eq_u32 s15, 21
	s_cbranch_scc0 .LBB13_369
; %bb.367:
	s_add_i32 s10, s6, 1
	s_mul_i32 s10, s10, s14
	v_add_u32_e32 v2, s10, v0
	v_mov_b32_e32 v3, 0
	v_lshlrev_b64 v[2:3], 2, v[2:3]
	v_mov_b32_e32 v4, s1
	v_add_co_u32_e32 v2, vcc, s0, v2
	v_addc_co_u32_e32 v3, vcc, v4, v3, vcc
	global_load_dword v2, v[2:3], off
	s_mov_b64 s[10:11], 0
	s_waitcnt vmcnt(0)
	v_alignbit_b32 v2, v2, v1, 31
	v_and_b32_e32 v19, 7, v2
	s_branch .LBB13_370
.LBB13_368:
                                        ; implicit-def: $vgpr19
	s_mov_b64 s[10:11], 0
	s_cbranch_execnz .LBB13_371
	s_branch .LBB13_372
.LBB13_369:
	s_mov_b64 s[10:11], -1
                                        ; implicit-def: $vgpr19
.LBB13_370:
	s_branch .LBB13_372
.LBB13_371:
	s_cmp_lg_u32 s15, 10
	s_mov_b64 s[8:9], -1
	s_cselect_b64 s[10:11], -1, 0
.LBB13_372:
	s_andn2_b64 vcc, exec, s[10:11]
	s_cbranch_vccz .LBB13_378
; %bb.373:
	s_andn2_b64 vcc, exec, s[8:9]
	s_cbranch_vccnz .LBB13_375
.LBB13_374:
	s_add_i32 s6, s6, 1
	s_mul_i32 s6, s6, s14
	v_add_u32_e32 v2, s6, v0
	v_mov_b32_e32 v3, 0
	v_lshlrev_b64 v[2:3], 2, v[2:3]
	v_mov_b32_e32 v4, s1
	v_add_co_u32_e32 v2, vcc, s0, v2
	v_addc_co_u32_e32 v3, vcc, v4, v3, vcc
	global_load_dword v2, v[2:3], off
	s_waitcnt vmcnt(0)
	v_alignbit_b32 v1, v2, v1, 30
	v_and_b32_e32 v19, 7, v1
.LBB13_375:
	s_load_dword s6, s[4:5], 0x3c
	s_waitcnt lgkmcnt(0)
	s_ashr_i32 s8, s6, 31
	s_lshr_b32 s8, s8, 27
	s_add_i32 s8, s6, s8
	s_ashr_i32 s12, s8, 5
	s_andn2_b32 s8, s8, 31
	s_sub_i32 s15, s6, s8
	s_cmp_lt_i32 s15, 21
	s_mul_i32 s12, s12, 3
	s_cbranch_scc1 .LBB13_379
; %bb.376:
	s_cmp_eq_u32 s15, 21
	s_cbranch_scc0 .LBB13_380
; %bb.377:
	s_add_i32 s6, s12, 1
	s_mov_b64 s[8:9], 0
	s_branch .LBB13_381
.LBB13_378:
	v_mov_b32_e32 v2, 0
	s_waitcnt vmcnt(0)
	v_lshrrev_b64 v[2:3], s16, v[1:2]
	v_and_b32_e32 v19, 7, v2
	s_cbranch_execz .LBB13_374
	s_branch .LBB13_375
.LBB13_379:
	s_mov_b64 s[8:9], 0
                                        ; implicit-def: $sgpr6
	s_mov_b32 s16, 10
	s_cbranch_execnz .LBB13_382
	s_branch .LBB13_383
.LBB13_380:
	s_mov_b64 s[8:9], -1
                                        ; implicit-def: $sgpr6
.LBB13_381:
	s_mov_b32 s16, 10
	s_branch .LBB13_383
.LBB13_382:
	s_cmp_lg_u32 s15, 10
	s_cselect_b64 s[8:9], -1, 0
	s_mov_b32 s16, s15
	s_mov_b32 s6, s12
.LBB13_383:
	s_andn2_b64 vcc, exec, s[8:9]
	s_cbranch_vccnz .LBB13_390
; %bb.384:
	s_cmp_gt_i32 s15, 21
	s_mul_i32 s10, s15, 3
	s_cbranch_scc1 .LBB13_388
; %bb.385:
	s_cmp_lt_i32 s15, 11
	s_mov_b32 s16, s10
	s_mov_b32 s6, s12
	s_cbranch_scc1 .LBB13_387
; %bb.386:
	s_sub_i32 s16, s10, 32
	s_add_i32 s6, s12, 1
.LBB13_387:
	s_cbranch_execz .LBB13_389
	s_branch .LBB13_390
.LBB13_388:
                                        ; implicit-def: $sgpr16
                                        ; implicit-def: $sgpr6
.LBB13_389:
	s_sub_i32 s16, s10, 64
	s_add_i32 s6, s12, 2
.LBB13_390:
	s_mul_i32 s8, s6, s14
	s_waitcnt vmcnt(0)
	v_add_u32_e32 v1, s8, v0
	v_mov_b32_e32 v2, 0
	v_lshlrev_b64 v[1:2], 2, v[1:2]
	v_mov_b32_e32 v3, s1
	v_add_co_u32_e32 v1, vcc, s0, v1
	v_addc_co_u32_e32 v2, vcc, v3, v2, vcc
	global_load_dword v1, v[1:2], off
	s_cmp_lt_i32 s15, 21
	s_mov_b64 s[8:9], 0
	s_cbranch_scc1 .LBB13_393
; %bb.391:
	s_cmp_eq_u32 s15, 21
	s_cbranch_scc0 .LBB13_394
; %bb.392:
	s_add_i32 s10, s6, 1
	s_mul_i32 s10, s10, s14
	v_add_u32_e32 v2, s10, v0
	v_mov_b32_e32 v3, 0
	v_lshlrev_b64 v[2:3], 2, v[2:3]
	v_mov_b32_e32 v4, s1
	v_add_co_u32_e32 v2, vcc, s0, v2
	v_addc_co_u32_e32 v3, vcc, v4, v3, vcc
	global_load_dword v2, v[2:3], off
	s_mov_b64 s[10:11], 0
	s_waitcnt vmcnt(0)
	v_alignbit_b32 v2, v2, v1, 31
	v_and_b32_e32 v20, 7, v2
	s_branch .LBB13_395
.LBB13_393:
                                        ; implicit-def: $vgpr20
	s_mov_b64 s[10:11], 0
	s_cbranch_execnz .LBB13_396
	s_branch .LBB13_397
.LBB13_394:
	s_mov_b64 s[10:11], -1
                                        ; implicit-def: $vgpr20
.LBB13_395:
	s_branch .LBB13_397
.LBB13_396:
	s_cmp_lg_u32 s15, 10
	s_mov_b64 s[8:9], -1
	s_cselect_b64 s[10:11], -1, 0
.LBB13_397:
	s_andn2_b64 vcc, exec, s[10:11]
	s_cbranch_vccz .LBB13_403
; %bb.398:
	s_andn2_b64 vcc, exec, s[8:9]
	s_cbranch_vccnz .LBB13_400
.LBB13_399:
	s_add_i32 s6, s6, 1
	s_mul_i32 s6, s6, s14
	v_add_u32_e32 v2, s6, v0
	v_mov_b32_e32 v3, 0
	v_lshlrev_b64 v[2:3], 2, v[2:3]
	v_mov_b32_e32 v4, s1
	v_add_co_u32_e32 v2, vcc, s0, v2
	v_addc_co_u32_e32 v3, vcc, v4, v3, vcc
	global_load_dword v2, v[2:3], off
	s_waitcnt vmcnt(0)
	v_alignbit_b32 v1, v2, v1, 30
	v_and_b32_e32 v20, 7, v1
.LBB13_400:
	s_load_dword s6, s[4:5], 0x40
	s_waitcnt lgkmcnt(0)
	s_ashr_i32 s8, s6, 31
	s_lshr_b32 s8, s8, 27
	s_add_i32 s8, s6, s8
	s_ashr_i32 s12, s8, 5
	s_andn2_b32 s8, s8, 31
	s_sub_i32 s15, s6, s8
	s_cmp_lt_i32 s15, 21
	s_mul_i32 s12, s12, 3
	s_cbranch_scc1 .LBB13_404
; %bb.401:
	s_cmp_eq_u32 s15, 21
	s_cbranch_scc0 .LBB13_405
; %bb.402:
	s_add_i32 s6, s12, 1
	s_mov_b64 s[8:9], 0
	s_branch .LBB13_406
.LBB13_403:
	v_mov_b32_e32 v2, 0
	s_waitcnt vmcnt(0)
	v_lshrrev_b64 v[2:3], s16, v[1:2]
	v_and_b32_e32 v20, 7, v2
	s_cbranch_execz .LBB13_399
	s_branch .LBB13_400
.LBB13_404:
	s_mov_b64 s[8:9], 0
                                        ; implicit-def: $sgpr6
	s_cbranch_execnz .LBB13_407
	s_branch .LBB13_408
.LBB13_405:
	s_mov_b64 s[8:9], -1
                                        ; implicit-def: $sgpr6
.LBB13_406:
	s_branch .LBB13_408
.LBB13_407:
	s_cmp_lg_u32 s15, 10
	s_cselect_b64 s[8:9], -1, 0
	s_mov_b32 s6, s12
.LBB13_408:
	s_andn2_b64 vcc, exec, s[8:9]
	s_mov_b32 s16, 13
	s_cbranch_vccnz .LBB13_415
; %bb.409:
	s_cmp_gt_i32 s15, 21
	s_mul_i32 s10, s15, 3
	s_cbranch_scc1 .LBB13_413
; %bb.410:
	s_cmp_lt_i32 s15, 11
	s_mov_b32 s16, s10
	s_mov_b32 s6, s12
	s_cbranch_scc1 .LBB13_412
; %bb.411:
	s_sub_i32 s16, s10, 32
	s_add_i32 s6, s12, 1
.LBB13_412:
	s_cbranch_execz .LBB13_414
	s_branch .LBB13_415
.LBB13_413:
                                        ; implicit-def: $sgpr16
                                        ; implicit-def: $sgpr6
.LBB13_414:
	s_sub_i32 s16, s10, 64
	s_add_i32 s6, s12, 2
.LBB13_415:
	s_mul_i32 s8, s6, s14
	s_waitcnt vmcnt(0)
	v_add_u32_e32 v1, s8, v0
	v_mov_b32_e32 v2, 0
	v_lshlrev_b64 v[1:2], 2, v[1:2]
	v_mov_b32_e32 v3, s1
	v_add_co_u32_e32 v1, vcc, s0, v1
	v_addc_co_u32_e32 v2, vcc, v3, v2, vcc
	global_load_dword v1, v[1:2], off
	s_cmp_lt_i32 s15, 21
	s_mov_b64 s[8:9], 0
	s_cbranch_scc1 .LBB13_418
; %bb.416:
	s_cmp_eq_u32 s15, 21
	s_cbranch_scc0 .LBB13_419
; %bb.417:
	s_add_i32 s10, s6, 1
	s_mul_i32 s10, s10, s14
	v_add_u32_e32 v2, s10, v0
	v_mov_b32_e32 v3, 0
	v_lshlrev_b64 v[2:3], 2, v[2:3]
	v_mov_b32_e32 v4, s1
	v_add_co_u32_e32 v2, vcc, s0, v2
	v_addc_co_u32_e32 v3, vcc, v4, v3, vcc
	global_load_dword v2, v[2:3], off
	s_mov_b64 s[10:11], 0
	s_waitcnt vmcnt(0)
	v_alignbit_b32 v2, v2, v1, 31
	v_and_b32_e32 v21, 7, v2
	s_branch .LBB13_420
.LBB13_418:
                                        ; implicit-def: $vgpr21
	s_mov_b64 s[10:11], 0
	s_cbranch_execnz .LBB13_421
	s_branch .LBB13_422
.LBB13_419:
	s_mov_b64 s[10:11], -1
                                        ; implicit-def: $vgpr21
.LBB13_420:
	s_branch .LBB13_422
.LBB13_421:
	s_cmp_lg_u32 s15, 10
	s_mov_b64 s[8:9], -1
	s_cselect_b64 s[10:11], -1, 0
.LBB13_422:
	s_andn2_b64 vcc, exec, s[10:11]
	s_cbranch_vccz .LBB13_428
; %bb.423:
	s_andn2_b64 vcc, exec, s[8:9]
	s_cbranch_vccnz .LBB13_425
.LBB13_424:
	s_add_i32 s6, s6, 1
	s_mul_i32 s6, s6, s14
	v_add_u32_e32 v2, s6, v0
	v_mov_b32_e32 v3, 0
	v_lshlrev_b64 v[2:3], 2, v[2:3]
	v_mov_b32_e32 v4, s1
	v_add_co_u32_e32 v2, vcc, s0, v2
	v_addc_co_u32_e32 v3, vcc, v4, v3, vcc
	global_load_dword v2, v[2:3], off
	s_waitcnt vmcnt(0)
	v_alignbit_b32 v1, v2, v1, 30
	v_and_b32_e32 v21, 7, v1
.LBB13_425:
	s_load_dword s6, s[4:5], 0x44
	s_waitcnt lgkmcnt(0)
	s_ashr_i32 s8, s6, 31
	s_lshr_b32 s8, s8, 27
	s_add_i32 s8, s6, s8
	s_ashr_i32 s12, s8, 5
	s_andn2_b32 s8, s8, 31
	s_sub_i32 s15, s6, s8
	s_cmp_lt_i32 s15, 21
	s_mul_i32 s12, s12, 3
	s_cbranch_scc1 .LBB13_429
; %bb.426:
	s_cmp_eq_u32 s15, 21
	s_cbranch_scc0 .LBB13_430
; %bb.427:
	s_add_i32 s6, s12, 1
	s_mov_b64 s[8:9], 0
	s_branch .LBB13_431
.LBB13_428:
	v_mov_b32_e32 v2, 0
	s_waitcnt vmcnt(0)
	v_lshrrev_b64 v[2:3], s16, v[1:2]
	v_and_b32_e32 v21, 7, v2
	s_cbranch_execz .LBB13_424
	s_branch .LBB13_425
.LBB13_429:
	s_mov_b64 s[8:9], 0
                                        ; implicit-def: $sgpr6
	s_cbranch_execnz .LBB13_432
	s_branch .LBB13_433
.LBB13_430:
	s_mov_b64 s[8:9], -1
                                        ; implicit-def: $sgpr6
.LBB13_431:
	s_branch .LBB13_433
.LBB13_432:
	s_cmp_lg_u32 s15, 10
	s_cselect_b64 s[8:9], -1, 0
	s_mov_b32 s6, s12
.LBB13_433:
	s_andn2_b64 vcc, exec, s[8:9]
	s_mov_b32 s16, 16
	s_cbranch_vccnz .LBB13_440
; %bb.434:
	s_cmp_gt_i32 s15, 21
	s_mul_i32 s10, s15, 3
	s_cbranch_scc1 .LBB13_438
; %bb.435:
	s_cmp_lt_i32 s15, 11
	s_mov_b32 s16, s10
	s_mov_b32 s6, s12
	s_cbranch_scc1 .LBB13_437
; %bb.436:
	s_sub_i32 s16, s10, 32
	s_add_i32 s6, s12, 1
.LBB13_437:
	s_cbranch_execz .LBB13_439
	s_branch .LBB13_440
.LBB13_438:
                                        ; implicit-def: $sgpr16
                                        ; implicit-def: $sgpr6
.LBB13_439:
	s_sub_i32 s16, s10, 64
	s_add_i32 s6, s12, 2
.LBB13_440:
	s_mul_i32 s8, s6, s14
	s_waitcnt vmcnt(0)
	v_add_u32_e32 v1, s8, v0
	v_mov_b32_e32 v2, 0
	v_lshlrev_b64 v[1:2], 2, v[1:2]
	v_mov_b32_e32 v3, s1
	v_add_co_u32_e32 v1, vcc, s0, v1
	v_addc_co_u32_e32 v2, vcc, v3, v2, vcc
	global_load_dword v1, v[1:2], off
	s_cmp_lt_i32 s15, 21
	s_mov_b64 s[8:9], 0
	s_cbranch_scc1 .LBB13_443
; %bb.441:
	s_cmp_eq_u32 s15, 21
	s_cbranch_scc0 .LBB13_444
; %bb.442:
	s_add_i32 s10, s6, 1
	s_mul_i32 s10, s10, s14
	v_add_u32_e32 v2, s10, v0
	v_mov_b32_e32 v3, 0
	v_lshlrev_b64 v[2:3], 2, v[2:3]
	v_mov_b32_e32 v4, s1
	v_add_co_u32_e32 v2, vcc, s0, v2
	v_addc_co_u32_e32 v3, vcc, v4, v3, vcc
	global_load_dword v2, v[2:3], off
	s_mov_b64 s[10:11], 0
	s_waitcnt vmcnt(0)
	v_alignbit_b32 v2, v2, v1, 31
	v_and_b32_e32 v22, 7, v2
	s_branch .LBB13_445
.LBB13_443:
                                        ; implicit-def: $vgpr22
	s_mov_b64 s[10:11], 0
	s_cbranch_execnz .LBB13_446
	s_branch .LBB13_447
.LBB13_444:
	s_mov_b64 s[10:11], -1
                                        ; implicit-def: $vgpr22
.LBB13_445:
	s_branch .LBB13_447
.LBB13_446:
	s_cmp_lg_u32 s15, 10
	s_mov_b64 s[8:9], -1
	s_cselect_b64 s[10:11], -1, 0
.LBB13_447:
	s_andn2_b64 vcc, exec, s[10:11]
	s_cbranch_vccz .LBB13_453
; %bb.448:
	s_andn2_b64 vcc, exec, s[8:9]
	s_cbranch_vccnz .LBB13_450
.LBB13_449:
	s_add_i32 s6, s6, 1
	s_mul_i32 s6, s6, s14
	v_add_u32_e32 v2, s6, v0
	v_mov_b32_e32 v3, 0
	v_lshlrev_b64 v[2:3], 2, v[2:3]
	v_mov_b32_e32 v4, s1
	v_add_co_u32_e32 v2, vcc, s0, v2
	v_addc_co_u32_e32 v3, vcc, v4, v3, vcc
	global_load_dword v2, v[2:3], off
	s_waitcnt vmcnt(0)
	v_alignbit_b32 v1, v2, v1, 30
	v_and_b32_e32 v22, 7, v1
.LBB13_450:
	s_load_dword s6, s[4:5], 0x48
	s_waitcnt lgkmcnt(0)
	s_ashr_i32 s8, s6, 31
	s_lshr_b32 s8, s8, 27
	s_add_i32 s8, s6, s8
	s_ashr_i32 s12, s8, 5
	s_andn2_b32 s8, s8, 31
	s_sub_i32 s15, s6, s8
	s_cmp_lt_i32 s15, 21
	s_mul_i32 s12, s12, 3
	s_cbranch_scc1 .LBB13_454
; %bb.451:
	s_cmp_eq_u32 s15, 21
	s_cbranch_scc0 .LBB13_455
; %bb.452:
	s_add_i32 s6, s12, 1
	s_mov_b64 s[8:9], 0
	s_branch .LBB13_456
.LBB13_453:
	v_mov_b32_e32 v2, 0
	s_waitcnt vmcnt(0)
	v_lshrrev_b64 v[2:3], s16, v[1:2]
	v_and_b32_e32 v22, 7, v2
	s_cbranch_execz .LBB13_449
	s_branch .LBB13_450
.LBB13_454:
	s_mov_b64 s[8:9], 0
                                        ; implicit-def: $sgpr6
	s_cbranch_execnz .LBB13_457
	s_branch .LBB13_458
.LBB13_455:
	s_mov_b64 s[8:9], -1
                                        ; implicit-def: $sgpr6
.LBB13_456:
	s_branch .LBB13_458
.LBB13_457:
	s_cmp_lg_u32 s15, 10
	s_cselect_b64 s[8:9], -1, 0
	s_mov_b32 s6, s12
.LBB13_458:
	s_andn2_b64 vcc, exec, s[8:9]
	s_mov_b32 s16, 19
	s_cbranch_vccnz .LBB13_465
; %bb.459:
	s_cmp_gt_i32 s15, 21
	s_mul_i32 s10, s15, 3
	s_cbranch_scc1 .LBB13_463
; %bb.460:
	s_cmp_lt_i32 s15, 11
	s_mov_b32 s16, s10
	s_mov_b32 s6, s12
	s_cbranch_scc1 .LBB13_462
; %bb.461:
	s_sub_i32 s16, s10, 32
	s_add_i32 s6, s12, 1
.LBB13_462:
	s_cbranch_execz .LBB13_464
	s_branch .LBB13_465
.LBB13_463:
                                        ; implicit-def: $sgpr16
                                        ; implicit-def: $sgpr6
.LBB13_464:
	s_sub_i32 s16, s10, 64
	s_add_i32 s6, s12, 2
.LBB13_465:
	s_mul_i32 s8, s6, s14
	s_waitcnt vmcnt(0)
	v_add_u32_e32 v1, s8, v0
	v_mov_b32_e32 v2, 0
	v_lshlrev_b64 v[1:2], 2, v[1:2]
	v_mov_b32_e32 v3, s1
	v_add_co_u32_e32 v1, vcc, s0, v1
	v_addc_co_u32_e32 v2, vcc, v3, v2, vcc
	global_load_dword v1, v[1:2], off
	s_cmp_lt_i32 s15, 21
	s_mov_b64 s[8:9], 0
	s_cbranch_scc1 .LBB13_468
; %bb.466:
	s_cmp_eq_u32 s15, 21
	s_cbranch_scc0 .LBB13_469
; %bb.467:
	s_add_i32 s10, s6, 1
	s_mul_i32 s10, s10, s14
	v_add_u32_e32 v2, s10, v0
	v_mov_b32_e32 v3, 0
	v_lshlrev_b64 v[2:3], 2, v[2:3]
	v_mov_b32_e32 v4, s1
	v_add_co_u32_e32 v2, vcc, s0, v2
	v_addc_co_u32_e32 v3, vcc, v4, v3, vcc
	global_load_dword v2, v[2:3], off
	s_mov_b64 s[10:11], 0
	s_waitcnt vmcnt(0)
	v_alignbit_b32 v2, v2, v1, 31
	v_and_b32_e32 v23, 7, v2
	s_branch .LBB13_470
.LBB13_468:
                                        ; implicit-def: $vgpr23
	s_mov_b64 s[10:11], 0
	s_cbranch_execnz .LBB13_471
	s_branch .LBB13_472
.LBB13_469:
	s_mov_b64 s[10:11], -1
                                        ; implicit-def: $vgpr23
.LBB13_470:
	s_branch .LBB13_472
.LBB13_471:
	s_cmp_lg_u32 s15, 10
	s_mov_b64 s[8:9], -1
	s_cselect_b64 s[10:11], -1, 0
.LBB13_472:
	s_andn2_b64 vcc, exec, s[10:11]
	s_cbranch_vccz .LBB13_478
; %bb.473:
	s_andn2_b64 vcc, exec, s[8:9]
	s_cbranch_vccnz .LBB13_475
.LBB13_474:
	s_add_i32 s6, s6, 1
	s_mul_i32 s6, s6, s14
	v_add_u32_e32 v2, s6, v0
	v_mov_b32_e32 v3, 0
	v_lshlrev_b64 v[2:3], 2, v[2:3]
	v_mov_b32_e32 v4, s1
	v_add_co_u32_e32 v2, vcc, s0, v2
	v_addc_co_u32_e32 v3, vcc, v4, v3, vcc
	global_load_dword v2, v[2:3], off
	s_waitcnt vmcnt(0)
	v_alignbit_b32 v1, v2, v1, 30
	v_and_b32_e32 v23, 7, v1
.LBB13_475:
	s_load_dword s6, s[4:5], 0x4c
	s_waitcnt lgkmcnt(0)
	s_ashr_i32 s8, s6, 31
	s_lshr_b32 s8, s8, 27
	s_add_i32 s8, s6, s8
	s_ashr_i32 s12, s8, 5
	s_andn2_b32 s8, s8, 31
	s_sub_i32 s15, s6, s8
	s_cmp_lt_i32 s15, 21
	s_mul_i32 s12, s12, 3
	s_cbranch_scc1 .LBB13_479
; %bb.476:
	s_cmp_eq_u32 s15, 21
	s_cbranch_scc0 .LBB13_480
; %bb.477:
	s_add_i32 s6, s12, 1
	s_mov_b64 s[8:9], 0
	s_branch .LBB13_481
.LBB13_478:
	v_mov_b32_e32 v2, 0
	s_waitcnt vmcnt(0)
	v_lshrrev_b64 v[2:3], s16, v[1:2]
	v_and_b32_e32 v23, 7, v2
	s_cbranch_execz .LBB13_474
	s_branch .LBB13_475
.LBB13_479:
	s_mov_b64 s[8:9], 0
                                        ; implicit-def: $sgpr6
	s_cbranch_execnz .LBB13_482
	s_branch .LBB13_483
.LBB13_480:
	s_mov_b64 s[8:9], -1
                                        ; implicit-def: $sgpr6
.LBB13_481:
	s_branch .LBB13_483
.LBB13_482:
	s_cmp_lg_u32 s15, 10
	s_cselect_b64 s[8:9], -1, 0
	s_mov_b32 s6, s12
.LBB13_483:
	s_andn2_b64 vcc, exec, s[8:9]
	s_mov_b32 s16, 22
	s_cbranch_vccnz .LBB13_490
; %bb.484:
	s_cmp_gt_i32 s15, 21
	s_mul_i32 s10, s15, 3
	s_cbranch_scc1 .LBB13_488
; %bb.485:
	s_cmp_lt_i32 s15, 11
	s_mov_b32 s16, s10
	s_mov_b32 s6, s12
	s_cbranch_scc1 .LBB13_487
; %bb.486:
	s_sub_i32 s16, s10, 32
	s_add_i32 s6, s12, 1
.LBB13_487:
	s_cbranch_execz .LBB13_489
	s_branch .LBB13_490
.LBB13_488:
                                        ; implicit-def: $sgpr16
                                        ; implicit-def: $sgpr6
.LBB13_489:
	s_sub_i32 s16, s10, 64
	s_add_i32 s6, s12, 2
.LBB13_490:
	s_mul_i32 s8, s6, s14
	s_waitcnt vmcnt(0)
	v_add_u32_e32 v1, s8, v0
	v_mov_b32_e32 v2, 0
	v_lshlrev_b64 v[1:2], 2, v[1:2]
	v_mov_b32_e32 v3, s1
	v_add_co_u32_e32 v1, vcc, s0, v1
	v_addc_co_u32_e32 v2, vcc, v3, v2, vcc
	global_load_dword v1, v[1:2], off
	s_cmp_lt_i32 s15, 21
	s_mov_b64 s[8:9], 0
	s_cbranch_scc1 .LBB13_493
; %bb.491:
	s_cmp_eq_u32 s15, 21
	s_cbranch_scc0 .LBB13_494
; %bb.492:
	s_add_i32 s10, s6, 1
	s_mul_i32 s10, s10, s14
	v_add_u32_e32 v2, s10, v0
	v_mov_b32_e32 v3, 0
	v_lshlrev_b64 v[2:3], 2, v[2:3]
	v_mov_b32_e32 v4, s1
	v_add_co_u32_e32 v2, vcc, s0, v2
	v_addc_co_u32_e32 v3, vcc, v4, v3, vcc
	global_load_dword v2, v[2:3], off
	s_mov_b64 s[10:11], 0
	s_waitcnt vmcnt(0)
	v_alignbit_b32 v2, v2, v1, 31
	v_and_b32_e32 v24, 7, v2
	s_branch .LBB13_495
.LBB13_493:
                                        ; implicit-def: $vgpr24
	s_mov_b64 s[10:11], 0
	s_cbranch_execnz .LBB13_496
	s_branch .LBB13_497
.LBB13_494:
	s_mov_b64 s[10:11], -1
                                        ; implicit-def: $vgpr24
.LBB13_495:
	s_branch .LBB13_497
.LBB13_496:
	s_cmp_lg_u32 s15, 10
	s_mov_b64 s[8:9], -1
	s_cselect_b64 s[10:11], -1, 0
.LBB13_497:
	s_andn2_b64 vcc, exec, s[10:11]
	s_cbranch_vccz .LBB13_503
; %bb.498:
	s_andn2_b64 vcc, exec, s[8:9]
	s_cbranch_vccnz .LBB13_500
.LBB13_499:
	s_add_i32 s6, s6, 1
	s_mul_i32 s6, s6, s14
	v_add_u32_e32 v2, s6, v0
	v_mov_b32_e32 v3, 0
	v_lshlrev_b64 v[2:3], 2, v[2:3]
	v_mov_b32_e32 v4, s1
	v_add_co_u32_e32 v2, vcc, s0, v2
	v_addc_co_u32_e32 v3, vcc, v4, v3, vcc
	global_load_dword v2, v[2:3], off
	s_waitcnt vmcnt(0)
	v_alignbit_b32 v1, v2, v1, 30
	v_and_b32_e32 v24, 7, v1
.LBB13_500:
	s_load_dword s6, s[4:5], 0x50
	s_waitcnt lgkmcnt(0)
	s_ashr_i32 s8, s6, 31
	s_lshr_b32 s8, s8, 27
	s_add_i32 s8, s6, s8
	s_ashr_i32 s12, s8, 5
	s_andn2_b32 s8, s8, 31
	s_sub_i32 s15, s6, s8
	s_cmp_lt_i32 s15, 21
	s_mul_i32 s12, s12, 3
	s_cbranch_scc1 .LBB13_504
; %bb.501:
	s_cmp_eq_u32 s15, 21
	s_cbranch_scc0 .LBB13_505
; %bb.502:
	s_add_i32 s6, s12, 1
	s_mov_b64 s[8:9], 0
	s_branch .LBB13_506
.LBB13_503:
	v_mov_b32_e32 v2, 0
	s_waitcnt vmcnt(0)
	v_lshrrev_b64 v[2:3], s16, v[1:2]
	v_and_b32_e32 v24, 7, v2
	s_cbranch_execz .LBB13_499
	s_branch .LBB13_500
.LBB13_504:
	s_mov_b64 s[8:9], 0
                                        ; implicit-def: $sgpr6
	s_cbranch_execnz .LBB13_507
	s_branch .LBB13_508
.LBB13_505:
	s_mov_b64 s[8:9], -1
                                        ; implicit-def: $sgpr6
.LBB13_506:
	s_branch .LBB13_508
.LBB13_507:
	s_cmp_lg_u32 s15, 10
	s_cselect_b64 s[8:9], -1, 0
	s_mov_b32 s6, s12
.LBB13_508:
	s_andn2_b64 vcc, exec, s[8:9]
	s_mov_b32 s16, 25
	s_cbranch_vccnz .LBB13_515
; %bb.509:
	s_cmp_gt_i32 s15, 21
	s_mul_i32 s10, s15, 3
	s_cbranch_scc1 .LBB13_513
; %bb.510:
	s_cmp_lt_i32 s15, 11
	s_mov_b32 s16, s10
	s_mov_b32 s6, s12
	s_cbranch_scc1 .LBB13_512
; %bb.511:
	s_sub_i32 s16, s10, 32
	s_add_i32 s6, s12, 1
.LBB13_512:
	s_cbranch_execz .LBB13_514
	s_branch .LBB13_515
.LBB13_513:
                                        ; implicit-def: $sgpr16
                                        ; implicit-def: $sgpr6
.LBB13_514:
	s_sub_i32 s16, s10, 64
	s_add_i32 s6, s12, 2
.LBB13_515:
	s_mul_i32 s8, s6, s14
	s_waitcnt vmcnt(0)
	v_add_u32_e32 v1, s8, v0
	v_mov_b32_e32 v2, 0
	v_lshlrev_b64 v[1:2], 2, v[1:2]
	v_mov_b32_e32 v3, s1
	v_add_co_u32_e32 v1, vcc, s0, v1
	v_addc_co_u32_e32 v2, vcc, v3, v2, vcc
	global_load_dword v1, v[1:2], off
	s_cmp_lt_i32 s15, 21
	s_mov_b64 s[8:9], 0
	s_cbranch_scc1 .LBB13_518
; %bb.516:
	s_cmp_eq_u32 s15, 21
	s_cbranch_scc0 .LBB13_519
; %bb.517:
	s_add_i32 s10, s6, 1
	s_mul_i32 s10, s10, s14
	v_add_u32_e32 v2, s10, v0
	v_mov_b32_e32 v3, 0
	v_lshlrev_b64 v[2:3], 2, v[2:3]
	v_mov_b32_e32 v4, s1
	v_add_co_u32_e32 v2, vcc, s0, v2
	v_addc_co_u32_e32 v3, vcc, v4, v3, vcc
	global_load_dword v2, v[2:3], off
	s_mov_b64 s[10:11], 0
	s_waitcnt vmcnt(0)
	v_alignbit_b32 v2, v2, v1, 31
	v_and_b32_e32 v25, 7, v2
	s_branch .LBB13_520
.LBB13_518:
                                        ; implicit-def: $vgpr25
	s_mov_b64 s[10:11], 0
	s_cbranch_execnz .LBB13_521
	s_branch .LBB13_522
.LBB13_519:
	s_mov_b64 s[10:11], -1
                                        ; implicit-def: $vgpr25
.LBB13_520:
	s_branch .LBB13_522
.LBB13_521:
	s_cmp_lg_u32 s15, 10
	s_mov_b64 s[8:9], -1
	s_cselect_b64 s[10:11], -1, 0
.LBB13_522:
	s_andn2_b64 vcc, exec, s[10:11]
	s_cbranch_vccz .LBB13_528
; %bb.523:
	s_andn2_b64 vcc, exec, s[8:9]
	s_cbranch_vccnz .LBB13_525
.LBB13_524:
	s_add_i32 s6, s6, 1
	s_mul_i32 s6, s6, s14
	v_add_u32_e32 v2, s6, v0
	v_mov_b32_e32 v3, 0
	v_lshlrev_b64 v[2:3], 2, v[2:3]
	v_mov_b32_e32 v4, s1
	v_add_co_u32_e32 v2, vcc, s0, v2
	v_addc_co_u32_e32 v3, vcc, v4, v3, vcc
	global_load_dword v2, v[2:3], off
	s_waitcnt vmcnt(0)
	v_alignbit_b32 v1, v2, v1, 30
	v_and_b32_e32 v25, 7, v1
.LBB13_525:
	s_load_dword s6, s[4:5], 0x54
	s_waitcnt lgkmcnt(0)
	s_ashr_i32 s8, s6, 31
	s_lshr_b32 s8, s8, 27
	s_add_i32 s8, s6, s8
	s_ashr_i32 s12, s8, 5
	s_andn2_b32 s8, s8, 31
	s_sub_i32 s16, s6, s8
	s_cmp_lt_i32 s16, 21
	s_mul_i32 s12, s12, 3
	s_cbranch_scc1 .LBB13_529
; %bb.526:
	s_cmp_eq_u32 s16, 21
	s_cbranch_scc0 .LBB13_530
; %bb.527:
	s_add_i32 s15, s12, 1
	s_mov_b64 s[8:9], 0
	s_branch .LBB13_531
.LBB13_528:
	v_mov_b32_e32 v2, 0
	s_waitcnt vmcnt(0)
	v_lshrrev_b64 v[2:3], s16, v[1:2]
	v_and_b32_e32 v25, 7, v2
	s_cbranch_execz .LBB13_524
	s_branch .LBB13_525
.LBB13_529:
	s_mov_b64 s[8:9], 0
                                        ; implicit-def: $sgpr15
	s_cbranch_execnz .LBB13_532
	s_branch .LBB13_533
.LBB13_530:
	s_mov_b64 s[8:9], -1
                                        ; implicit-def: $sgpr15
.LBB13_531:
	s_branch .LBB13_533
.LBB13_532:
	s_cmp_lg_u32 s16, 10
	s_cselect_b64 s[8:9], -1, 0
	s_mov_b32 s15, s12
.LBB13_533:
	s_andn2_b64 vcc, exec, s[8:9]
	s_mov_b32 s6, 28
	s_cbranch_vccnz .LBB13_540
; %bb.534:
	s_cmp_gt_i32 s16, 21
	s_mul_i32 s10, s16, 3
	s_cbranch_scc1 .LBB13_538
; %bb.535:
	s_cmp_lt_i32 s16, 11
	s_mov_b32 s6, s10
	s_mov_b32 s15, s12
	s_cbranch_scc1 .LBB13_537
; %bb.536:
	s_sub_i32 s6, s10, 32
	s_add_i32 s15, s12, 1
.LBB13_537:
	s_cbranch_execz .LBB13_539
	s_branch .LBB13_540
.LBB13_538:
                                        ; implicit-def: $sgpr6
                                        ; implicit-def: $sgpr15
.LBB13_539:
	s_sub_i32 s6, s10, 64
	s_add_i32 s15, s12, 2
.LBB13_540:
	s_mul_i32 s8, s15, s14
	s_waitcnt vmcnt(0)
	v_add_u32_e32 v1, s8, v0
	v_mov_b32_e32 v2, 0
	v_lshlrev_b64 v[1:2], 2, v[1:2]
	v_mov_b32_e32 v3, s1
	v_add_co_u32_e32 v1, vcc, s0, v1
	v_addc_co_u32_e32 v2, vcc, v3, v2, vcc
	global_load_dword v1, v[1:2], off
	s_cmp_lt_i32 s16, 21
	s_mov_b64 s[8:9], 0
	s_cbranch_scc1 .LBB13_543
; %bb.541:
	s_cmp_eq_u32 s16, 21
	s_cbranch_scc0 .LBB13_544
; %bb.542:
	s_add_i32 s10, s15, 1
	s_mul_i32 s10, s10, s14
	v_add_u32_e32 v2, s10, v0
	v_mov_b32_e32 v3, 0
	v_lshlrev_b64 v[2:3], 2, v[2:3]
	v_mov_b32_e32 v4, s1
	v_add_co_u32_e32 v2, vcc, s0, v2
	v_addc_co_u32_e32 v3, vcc, v4, v3, vcc
	global_load_dword v2, v[2:3], off
	s_mov_b64 s[10:11], 0
	s_waitcnt vmcnt(0)
	v_alignbit_b32 v2, v2, v1, 31
	v_and_b32_e32 v26, 7, v2
	s_branch .LBB13_545
.LBB13_543:
                                        ; implicit-def: $vgpr26
	s_mov_b64 s[10:11], 0
	s_cbranch_execnz .LBB13_546
	s_branch .LBB13_547
.LBB13_544:
	s_mov_b64 s[10:11], -1
                                        ; implicit-def: $vgpr26
.LBB13_545:
	s_branch .LBB13_547
.LBB13_546:
	s_cmp_lg_u32 s16, 10
	s_mov_b64 s[8:9], -1
	s_cselect_b64 s[10:11], -1, 0
.LBB13_547:
	s_andn2_b64 vcc, exec, s[10:11]
	s_cbranch_vccz .LBB13_553
; %bb.548:
	s_andn2_b64 vcc, exec, s[8:9]
	s_cbranch_vccnz .LBB13_550
.LBB13_549:
	s_add_i32 s8, s15, 1
	s_mul_i32 s8, s8, s14
	v_add_u32_e32 v2, s8, v0
	v_mov_b32_e32 v3, 0
	v_lshlrev_b64 v[2:3], 2, v[2:3]
	v_mov_b32_e32 v4, s1
	v_add_co_u32_e32 v2, vcc, s0, v2
	v_addc_co_u32_e32 v3, vcc, v4, v3, vcc
	global_load_dword v2, v[2:3], off
	s_waitcnt vmcnt(0)
	v_alignbit_b32 v1, v2, v1, 30
	v_and_b32_e32 v26, 7, v1
.LBB13_550:
	s_load_dword s8, s[4:5], 0x58
	s_waitcnt lgkmcnt(0)
	s_ashr_i32 s9, s8, 31
	s_lshr_b32 s9, s9, 27
	s_add_i32 s9, s8, s9
	s_ashr_i32 s12, s9, 5
	s_andn2_b32 s9, s9, 31
	s_sub_i32 s16, s8, s9
	s_cmp_lt_i32 s16, 21
	s_mul_i32 s12, s12, 3
	s_cbranch_scc1 .LBB13_554
; %bb.551:
	s_cmp_eq_u32 s16, 21
	s_cbranch_scc0 .LBB13_555
; %bb.552:
	s_add_i32 s15, s12, 1
	s_mov_b64 s[8:9], 0
	s_branch .LBB13_556
.LBB13_553:
	v_mov_b32_e32 v2, 0
	s_waitcnt vmcnt(0)
	v_lshrrev_b64 v[2:3], s6, v[1:2]
	v_and_b32_e32 v26, 7, v2
	s_cbranch_execz .LBB13_549
	s_branch .LBB13_550
.LBB13_554:
	s_mov_b64 s[8:9], 0
                                        ; implicit-def: $sgpr15
	s_cbranch_execnz .LBB13_557
	s_branch .LBB13_558
.LBB13_555:
	s_mov_b64 s[8:9], -1
                                        ; implicit-def: $sgpr15
.LBB13_556:
	s_branch .LBB13_558
.LBB13_557:
	s_cmp_lg_u32 s16, 10
	s_cselect_b64 s[8:9], -1, 0
	s_mov_b32 s15, s12
.LBB13_558:
	s_andn2_b64 vcc, exec, s[8:9]
	s_cbranch_vccnz .LBB13_565
; %bb.559:
	s_cmp_gt_i32 s16, 21
	s_mul_i32 s10, s16, 3
	s_cbranch_scc1 .LBB13_563
; %bb.560:
	s_cmp_lt_i32 s16, 11
	s_mov_b32 s6, s10
	s_mov_b32 s15, s12
	s_cbranch_scc1 .LBB13_562
; %bb.561:
	s_sub_i32 s6, s10, 32
	s_add_i32 s15, s12, 1
.LBB13_562:
	s_cbranch_execz .LBB13_564
	s_branch .LBB13_565
.LBB13_563:
                                        ; implicit-def: $sgpr6
                                        ; implicit-def: $sgpr15
.LBB13_564:
	s_sub_i32 s6, s10, 64
	s_add_i32 s15, s12, 2
.LBB13_565:
	s_mul_i32 s8, s15, s14
	s_waitcnt vmcnt(0)
	v_add_u32_e32 v1, s8, v0
	v_mov_b32_e32 v2, 0
	v_lshlrev_b64 v[1:2], 2, v[1:2]
	v_mov_b32_e32 v3, s1
	v_add_co_u32_e32 v1, vcc, s0, v1
	v_addc_co_u32_e32 v2, vcc, v3, v2, vcc
	global_load_dword v1, v[1:2], off
	s_cmp_lt_i32 s16, 21
	s_mov_b64 s[8:9], 0
	s_cbranch_scc1 .LBB13_568
; %bb.566:
	s_cmp_eq_u32 s16, 21
	s_cbranch_scc0 .LBB13_569
; %bb.567:
	s_add_i32 s10, s15, 1
	s_mul_i32 s10, s10, s14
	v_add_u32_e32 v2, s10, v0
	v_mov_b32_e32 v3, 0
	v_lshlrev_b64 v[2:3], 2, v[2:3]
	v_mov_b32_e32 v4, s1
	v_add_co_u32_e32 v2, vcc, s0, v2
	v_addc_co_u32_e32 v3, vcc, v4, v3, vcc
	global_load_dword v2, v[2:3], off
	s_mov_b64 s[10:11], 0
	s_waitcnt vmcnt(0)
	v_alignbit_b32 v2, v2, v1, 31
	v_and_b32_e32 v27, 7, v2
	s_branch .LBB13_570
.LBB13_568:
                                        ; implicit-def: $vgpr27
	s_mov_b64 s[10:11], 0
	s_cbranch_execnz .LBB13_571
	s_branch .LBB13_572
.LBB13_569:
	s_mov_b64 s[10:11], -1
                                        ; implicit-def: $vgpr27
.LBB13_570:
	s_branch .LBB13_572
.LBB13_571:
	s_cmp_lg_u32 s16, 10
	s_mov_b64 s[8:9], -1
	s_cselect_b64 s[10:11], -1, 0
.LBB13_572:
	s_andn2_b64 vcc, exec, s[10:11]
	s_cbranch_vccz .LBB13_578
; %bb.573:
	s_andn2_b64 vcc, exec, s[8:9]
	s_cbranch_vccnz .LBB13_575
.LBB13_574:
	s_add_i32 s6, s15, 1
	s_mul_i32 s6, s6, s14
	v_add_u32_e32 v2, s6, v0
	v_mov_b32_e32 v3, 0
	v_lshlrev_b64 v[2:3], 2, v[2:3]
	v_mov_b32_e32 v4, s1
	v_add_co_u32_e32 v2, vcc, s0, v2
	v_addc_co_u32_e32 v3, vcc, v4, v3, vcc
	global_load_dword v2, v[2:3], off
	s_waitcnt vmcnt(0)
	v_alignbit_b32 v1, v2, v1, 30
	v_and_b32_e32 v27, 7, v1
.LBB13_575:
	s_load_dword s6, s[4:5], 0x5c
	s_waitcnt lgkmcnt(0)
	s_ashr_i32 s8, s6, 31
	s_lshr_b32 s8, s8, 27
	s_add_i32 s8, s6, s8
	s_ashr_i32 s12, s8, 5
	s_andn2_b32 s8, s8, 31
	s_sub_i32 s15, s6, s8
	s_cmp_lt_i32 s15, 21
	s_mul_i32 s12, s12, 3
	s_cbranch_scc1 .LBB13_579
; %bb.576:
	s_cmp_eq_u32 s15, 21
	s_cbranch_scc0 .LBB13_580
; %bb.577:
	s_add_i32 s6, s12, 1
	s_mov_b64 s[8:9], 0
	s_branch .LBB13_581
.LBB13_578:
	v_mov_b32_e32 v2, 0
	s_waitcnt vmcnt(0)
	v_lshrrev_b64 v[2:3], s6, v[1:2]
	v_and_b32_e32 v27, 7, v2
	s_cbranch_execz .LBB13_574
	s_branch .LBB13_575
.LBB13_579:
	s_mov_b64 s[8:9], 0
                                        ; implicit-def: $sgpr6
	s_cbranch_execnz .LBB13_582
	s_branch .LBB13_583
.LBB13_580:
	s_mov_b64 s[8:9], -1
                                        ; implicit-def: $sgpr6
.LBB13_581:
	s_branch .LBB13_583
.LBB13_582:
	s_cmp_lg_u32 s15, 10
	s_cselect_b64 s[8:9], -1, 0
	s_mov_b32 s6, s12
.LBB13_583:
	s_andn2_b64 vcc, exec, s[8:9]
	s_mov_b32 s16, 2
	s_cbranch_vccnz .LBB13_590
; %bb.584:
	s_cmp_gt_i32 s15, 21
	s_mul_i32 s10, s15, 3
	s_cbranch_scc1 .LBB13_588
; %bb.585:
	s_cmp_lt_i32 s15, 11
	s_mov_b32 s16, s10
	s_mov_b32 s6, s12
	s_cbranch_scc1 .LBB13_587
; %bb.586:
	s_sub_i32 s16, s10, 32
	s_add_i32 s6, s12, 1
.LBB13_587:
	s_cbranch_execz .LBB13_589
	s_branch .LBB13_590
.LBB13_588:
                                        ; implicit-def: $sgpr16
                                        ; implicit-def: $sgpr6
.LBB13_589:
	s_sub_i32 s16, s10, 64
	s_add_i32 s6, s12, 2
.LBB13_590:
	s_mul_i32 s8, s6, s14
	s_waitcnt vmcnt(0)
	v_add_u32_e32 v1, s8, v0
	v_mov_b32_e32 v2, 0
	v_lshlrev_b64 v[1:2], 2, v[1:2]
	v_mov_b32_e32 v3, s1
	v_add_co_u32_e32 v1, vcc, s0, v1
	v_addc_co_u32_e32 v2, vcc, v3, v2, vcc
	global_load_dword v1, v[1:2], off
	s_cmp_lt_i32 s15, 21
	s_mov_b64 s[8:9], 0
	s_cbranch_scc1 .LBB13_593
; %bb.591:
	s_cmp_eq_u32 s15, 21
	s_cbranch_scc0 .LBB13_594
; %bb.592:
	s_add_i32 s10, s6, 1
	s_mul_i32 s10, s10, s14
	v_add_u32_e32 v2, s10, v0
	v_mov_b32_e32 v3, 0
	v_lshlrev_b64 v[2:3], 2, v[2:3]
	v_mov_b32_e32 v4, s1
	v_add_co_u32_e32 v2, vcc, s0, v2
	v_addc_co_u32_e32 v3, vcc, v4, v3, vcc
	global_load_dword v2, v[2:3], off
	s_mov_b64 s[10:11], 0
	s_waitcnt vmcnt(0)
	v_alignbit_b32 v2, v2, v1, 31
	v_and_b32_e32 v28, 7, v2
	s_branch .LBB13_595
.LBB13_593:
                                        ; implicit-def: $vgpr28
	s_mov_b64 s[10:11], 0
	s_cbranch_execnz .LBB13_596
	s_branch .LBB13_597
.LBB13_594:
	s_mov_b64 s[10:11], -1
                                        ; implicit-def: $vgpr28
.LBB13_595:
	s_branch .LBB13_597
.LBB13_596:
	s_cmp_lg_u32 s15, 10
	s_mov_b64 s[8:9], -1
	s_cselect_b64 s[10:11], -1, 0
.LBB13_597:
	s_andn2_b64 vcc, exec, s[10:11]
	s_cbranch_vccz .LBB13_603
; %bb.598:
	s_andn2_b64 vcc, exec, s[8:9]
	s_cbranch_vccnz .LBB13_600
.LBB13_599:
	s_add_i32 s6, s6, 1
	s_mul_i32 s6, s6, s14
	v_add_u32_e32 v2, s6, v0
	v_mov_b32_e32 v3, 0
	v_lshlrev_b64 v[2:3], 2, v[2:3]
	v_mov_b32_e32 v4, s1
	v_add_co_u32_e32 v2, vcc, s0, v2
	v_addc_co_u32_e32 v3, vcc, v4, v3, vcc
	global_load_dword v2, v[2:3], off
	s_waitcnt vmcnt(0)
	v_alignbit_b32 v1, v2, v1, 30
	v_and_b32_e32 v28, 7, v1
.LBB13_600:
	s_load_dword s6, s[4:5], 0x60
	s_waitcnt lgkmcnt(0)
	s_ashr_i32 s8, s6, 31
	s_lshr_b32 s8, s8, 27
	s_add_i32 s8, s6, s8
	s_ashr_i32 s12, s8, 5
	s_andn2_b32 s8, s8, 31
	s_sub_i32 s15, s6, s8
	s_cmp_lt_i32 s15, 21
	s_mul_i32 s12, s12, 3
	s_cbranch_scc1 .LBB13_604
; %bb.601:
	s_cmp_eq_u32 s15, 21
	s_cbranch_scc0 .LBB13_605
; %bb.602:
	s_add_i32 s6, s12, 1
	s_mov_b64 s[8:9], 0
	s_branch .LBB13_606
.LBB13_603:
	v_mov_b32_e32 v2, 0
	s_waitcnt vmcnt(0)
	v_lshrrev_b64 v[2:3], s16, v[1:2]
	v_and_b32_e32 v28, 7, v2
	s_cbranch_execz .LBB13_599
	s_branch .LBB13_600
.LBB13_604:
	s_mov_b64 s[8:9], 0
                                        ; implicit-def: $sgpr6
	s_cbranch_execnz .LBB13_607
	s_branch .LBB13_608
.LBB13_605:
	s_mov_b64 s[8:9], -1
                                        ; implicit-def: $sgpr6
.LBB13_606:
	s_branch .LBB13_608
.LBB13_607:
	s_cmp_lg_u32 s15, 10
	s_cselect_b64 s[8:9], -1, 0
	s_mov_b32 s6, s12
.LBB13_608:
	s_andn2_b64 vcc, exec, s[8:9]
	s_mov_b32 s16, 5
	s_cbranch_vccnz .LBB13_615
; %bb.609:
	s_cmp_gt_i32 s15, 21
	s_mul_i32 s10, s15, 3
	s_cbranch_scc1 .LBB13_613
; %bb.610:
	s_cmp_lt_i32 s15, 11
	s_mov_b32 s16, s10
	s_mov_b32 s6, s12
	s_cbranch_scc1 .LBB13_612
; %bb.611:
	s_sub_i32 s16, s10, 32
	s_add_i32 s6, s12, 1
.LBB13_612:
	s_cbranch_execz .LBB13_614
	s_branch .LBB13_615
.LBB13_613:
                                        ; implicit-def: $sgpr16
                                        ; implicit-def: $sgpr6
.LBB13_614:
	s_sub_i32 s16, s10, 64
	s_add_i32 s6, s12, 2
.LBB13_615:
	s_mul_i32 s8, s6, s14
	s_waitcnt vmcnt(0)
	v_add_u32_e32 v1, s8, v0
	v_mov_b32_e32 v2, 0
	v_lshlrev_b64 v[1:2], 2, v[1:2]
	v_mov_b32_e32 v3, s1
	v_add_co_u32_e32 v1, vcc, s0, v1
	v_addc_co_u32_e32 v2, vcc, v3, v2, vcc
	global_load_dword v1, v[1:2], off
	s_cmp_lt_i32 s15, 21
	s_mov_b64 s[8:9], 0
	s_cbranch_scc1 .LBB13_618
; %bb.616:
	s_cmp_eq_u32 s15, 21
	s_cbranch_scc0 .LBB13_619
; %bb.617:
	s_add_i32 s10, s6, 1
	s_mul_i32 s10, s10, s14
	v_add_u32_e32 v2, s10, v0
	v_mov_b32_e32 v3, 0
	v_lshlrev_b64 v[2:3], 2, v[2:3]
	v_mov_b32_e32 v4, s1
	v_add_co_u32_e32 v2, vcc, s0, v2
	v_addc_co_u32_e32 v3, vcc, v4, v3, vcc
	global_load_dword v2, v[2:3], off
	s_mov_b64 s[10:11], 0
	s_waitcnt vmcnt(0)
	v_alignbit_b32 v2, v2, v1, 31
	v_and_b32_e32 v29, 7, v2
	s_branch .LBB13_620
.LBB13_618:
                                        ; implicit-def: $vgpr29
	s_mov_b64 s[10:11], 0
	s_cbranch_execnz .LBB13_621
	s_branch .LBB13_622
.LBB13_619:
	s_mov_b64 s[10:11], -1
                                        ; implicit-def: $vgpr29
.LBB13_620:
	s_branch .LBB13_622
.LBB13_621:
	s_cmp_lg_u32 s15, 10
	s_mov_b64 s[8:9], -1
	s_cselect_b64 s[10:11], -1, 0
.LBB13_622:
	s_andn2_b64 vcc, exec, s[10:11]
	s_cbranch_vccz .LBB13_628
; %bb.623:
	s_andn2_b64 vcc, exec, s[8:9]
	s_cbranch_vccnz .LBB13_625
.LBB13_624:
	s_add_i32 s6, s6, 1
	s_mul_i32 s6, s6, s14
	v_add_u32_e32 v2, s6, v0
	v_mov_b32_e32 v3, 0
	v_lshlrev_b64 v[2:3], 2, v[2:3]
	v_mov_b32_e32 v4, s1
	v_add_co_u32_e32 v2, vcc, s0, v2
	v_addc_co_u32_e32 v3, vcc, v4, v3, vcc
	global_load_dword v2, v[2:3], off
	s_waitcnt vmcnt(0)
	v_alignbit_b32 v1, v2, v1, 30
	v_and_b32_e32 v29, 7, v1
.LBB13_625:
	s_load_dword s6, s[4:5], 0x64
	s_waitcnt lgkmcnt(0)
	s_ashr_i32 s8, s6, 31
	s_lshr_b32 s8, s8, 27
	s_add_i32 s8, s6, s8
	s_ashr_i32 s12, s8, 5
	s_andn2_b32 s8, s8, 31
	s_sub_i32 s15, s6, s8
	s_cmp_lt_i32 s15, 21
	s_mul_i32 s12, s12, 3
	s_cbranch_scc1 .LBB13_629
; %bb.626:
	s_cmp_eq_u32 s15, 21
	s_cbranch_scc0 .LBB13_630
; %bb.627:
	s_add_i32 s6, s12, 1
	s_mov_b64 s[8:9], 0
	s_branch .LBB13_631
.LBB13_628:
	v_mov_b32_e32 v2, 0
	s_waitcnt vmcnt(0)
	v_lshrrev_b64 v[2:3], s16, v[1:2]
	v_and_b32_e32 v29, 7, v2
	s_cbranch_execz .LBB13_624
	s_branch .LBB13_625
.LBB13_629:
	s_mov_b64 s[8:9], 0
                                        ; implicit-def: $sgpr6
	s_cbranch_execnz .LBB13_632
	s_branch .LBB13_633
.LBB13_630:
	s_mov_b64 s[8:9], -1
                                        ; implicit-def: $sgpr6
.LBB13_631:
	s_branch .LBB13_633
.LBB13_632:
	s_cmp_lg_u32 s15, 10
	s_cselect_b64 s[8:9], -1, 0
	s_mov_b32 s6, s12
.LBB13_633:
	s_andn2_b64 vcc, exec, s[8:9]
	s_mov_b32 s16, 8
	s_cbranch_vccnz .LBB13_640
; %bb.634:
	s_cmp_gt_i32 s15, 21
	s_mul_i32 s10, s15, 3
	s_cbranch_scc1 .LBB13_638
; %bb.635:
	s_cmp_lt_i32 s15, 11
	s_mov_b32 s16, s10
	s_mov_b32 s6, s12
	s_cbranch_scc1 .LBB13_637
; %bb.636:
	s_sub_i32 s16, s10, 32
	s_add_i32 s6, s12, 1
.LBB13_637:
	s_cbranch_execz .LBB13_639
	s_branch .LBB13_640
.LBB13_638:
                                        ; implicit-def: $sgpr16
                                        ; implicit-def: $sgpr6
.LBB13_639:
	s_sub_i32 s16, s10, 64
	s_add_i32 s6, s12, 2
.LBB13_640:
	s_mul_i32 s8, s6, s14
	s_waitcnt vmcnt(0)
	v_add_u32_e32 v1, s8, v0
	v_mov_b32_e32 v2, 0
	v_lshlrev_b64 v[1:2], 2, v[1:2]
	v_mov_b32_e32 v3, s1
	v_add_co_u32_e32 v1, vcc, s0, v1
	v_addc_co_u32_e32 v2, vcc, v3, v2, vcc
	global_load_dword v1, v[1:2], off
	s_cmp_lt_i32 s15, 21
	s_mov_b64 s[8:9], 0
	s_cbranch_scc1 .LBB13_643
; %bb.641:
	s_cmp_eq_u32 s15, 21
	s_cbranch_scc0 .LBB13_644
; %bb.642:
	s_add_i32 s10, s6, 1
	s_mul_i32 s10, s10, s14
	v_add_u32_e32 v2, s10, v0
	v_mov_b32_e32 v3, 0
	v_lshlrev_b64 v[2:3], 2, v[2:3]
	v_mov_b32_e32 v4, s1
	v_add_co_u32_e32 v2, vcc, s0, v2
	v_addc_co_u32_e32 v3, vcc, v4, v3, vcc
	global_load_dword v2, v[2:3], off
	s_mov_b64 s[10:11], 0
	s_waitcnt vmcnt(0)
	v_alignbit_b32 v2, v2, v1, 31
	v_and_b32_e32 v30, 7, v2
	s_branch .LBB13_645
.LBB13_643:
                                        ; implicit-def: $vgpr30
	s_mov_b64 s[10:11], 0
	s_cbranch_execnz .LBB13_646
	s_branch .LBB13_647
.LBB13_644:
	s_mov_b64 s[10:11], -1
                                        ; implicit-def: $vgpr30
.LBB13_645:
	s_branch .LBB13_647
.LBB13_646:
	s_cmp_lg_u32 s15, 10
	s_mov_b64 s[8:9], -1
	s_cselect_b64 s[10:11], -1, 0
.LBB13_647:
	s_andn2_b64 vcc, exec, s[10:11]
	s_cbranch_vccz .LBB13_653
; %bb.648:
	s_andn2_b64 vcc, exec, s[8:9]
	s_cbranch_vccnz .LBB13_650
.LBB13_649:
	s_add_i32 s6, s6, 1
	s_mul_i32 s6, s6, s14
	v_add_u32_e32 v2, s6, v0
	v_mov_b32_e32 v3, 0
	v_lshlrev_b64 v[2:3], 2, v[2:3]
	v_mov_b32_e32 v4, s1
	v_add_co_u32_e32 v2, vcc, s0, v2
	v_addc_co_u32_e32 v3, vcc, v4, v3, vcc
	global_load_dword v2, v[2:3], off
	s_waitcnt vmcnt(0)
	v_alignbit_b32 v1, v2, v1, 30
	v_and_b32_e32 v30, 7, v1
.LBB13_650:
	s_load_dword s6, s[4:5], 0x68
	s_waitcnt lgkmcnt(0)
	s_ashr_i32 s8, s6, 31
	s_lshr_b32 s8, s8, 27
	s_add_i32 s8, s6, s8
	s_ashr_i32 s12, s8, 5
	s_andn2_b32 s8, s8, 31
	s_sub_i32 s15, s6, s8
	s_cmp_lt_i32 s15, 21
	s_mul_i32 s12, s12, 3
	s_cbranch_scc1 .LBB13_654
; %bb.651:
	s_cmp_eq_u32 s15, 21
	s_cbranch_scc0 .LBB13_655
; %bb.652:
	s_add_i32 s6, s12, 1
	s_mov_b64 s[8:9], 0
	s_branch .LBB13_656
.LBB13_653:
	v_mov_b32_e32 v2, 0
	s_waitcnt vmcnt(0)
	v_lshrrev_b64 v[2:3], s16, v[1:2]
	v_and_b32_e32 v30, 7, v2
	s_cbranch_execz .LBB13_649
	s_branch .LBB13_650
.LBB13_654:
	s_mov_b64 s[8:9], 0
                                        ; implicit-def: $sgpr6
	s_cbranch_execnz .LBB13_657
	s_branch .LBB13_658
.LBB13_655:
	s_mov_b64 s[8:9], -1
                                        ; implicit-def: $sgpr6
.LBB13_656:
	s_branch .LBB13_658
.LBB13_657:
	s_cmp_lg_u32 s15, 10
	s_cselect_b64 s[8:9], -1, 0
	s_mov_b32 s6, s12
.LBB13_658:
	s_andn2_b64 vcc, exec, s[8:9]
	s_mov_b32 s16, 11
	s_cbranch_vccnz .LBB13_665
; %bb.659:
	s_cmp_gt_i32 s15, 21
	s_mul_i32 s10, s15, 3
	s_cbranch_scc1 .LBB13_663
; %bb.660:
	s_cmp_lt_i32 s15, 11
	s_mov_b32 s16, s10
	s_mov_b32 s6, s12
	s_cbranch_scc1 .LBB13_662
; %bb.661:
	s_sub_i32 s16, s10, 32
	s_add_i32 s6, s12, 1
.LBB13_662:
	s_cbranch_execz .LBB13_664
	s_branch .LBB13_665
.LBB13_663:
                                        ; implicit-def: $sgpr16
                                        ; implicit-def: $sgpr6
.LBB13_664:
	s_sub_i32 s16, s10, 64
	s_add_i32 s6, s12, 2
.LBB13_665:
	s_mul_i32 s8, s6, s14
	s_waitcnt vmcnt(0)
	v_add_u32_e32 v1, s8, v0
	v_mov_b32_e32 v2, 0
	v_lshlrev_b64 v[1:2], 2, v[1:2]
	v_mov_b32_e32 v3, s1
	v_add_co_u32_e32 v1, vcc, s0, v1
	v_addc_co_u32_e32 v2, vcc, v3, v2, vcc
	global_load_dword v1, v[1:2], off
	s_cmp_lt_i32 s15, 21
	s_mov_b64 s[8:9], 0
	s_cbranch_scc1 .LBB13_668
; %bb.666:
	s_cmp_eq_u32 s15, 21
	s_cbranch_scc0 .LBB13_669
; %bb.667:
	s_add_i32 s10, s6, 1
	s_mul_i32 s10, s10, s14
	v_add_u32_e32 v2, s10, v0
	v_mov_b32_e32 v3, 0
	v_lshlrev_b64 v[2:3], 2, v[2:3]
	v_mov_b32_e32 v4, s1
	v_add_co_u32_e32 v2, vcc, s0, v2
	v_addc_co_u32_e32 v3, vcc, v4, v3, vcc
	global_load_dword v2, v[2:3], off
	s_mov_b64 s[10:11], 0
	s_waitcnt vmcnt(0)
	v_alignbit_b32 v2, v2, v1, 31
	v_and_b32_e32 v31, 7, v2
	s_branch .LBB13_670
.LBB13_668:
                                        ; implicit-def: $vgpr31
	s_mov_b64 s[10:11], 0
	s_cbranch_execnz .LBB13_671
	s_branch .LBB13_672
.LBB13_669:
	s_mov_b64 s[10:11], -1
                                        ; implicit-def: $vgpr31
.LBB13_670:
	s_branch .LBB13_672
.LBB13_671:
	s_cmp_lg_u32 s15, 10
	s_mov_b64 s[8:9], -1
	s_cselect_b64 s[10:11], -1, 0
.LBB13_672:
	s_andn2_b64 vcc, exec, s[10:11]
	s_cbranch_vccz .LBB13_678
; %bb.673:
	s_andn2_b64 vcc, exec, s[8:9]
	s_cbranch_vccnz .LBB13_675
.LBB13_674:
	s_add_i32 s6, s6, 1
	s_mul_i32 s6, s6, s14
	v_add_u32_e32 v2, s6, v0
	v_mov_b32_e32 v3, 0
	v_lshlrev_b64 v[2:3], 2, v[2:3]
	v_mov_b32_e32 v4, s1
	v_add_co_u32_e32 v2, vcc, s0, v2
	v_addc_co_u32_e32 v3, vcc, v4, v3, vcc
	global_load_dword v2, v[2:3], off
	s_waitcnt vmcnt(0)
	v_alignbit_b32 v1, v2, v1, 30
	v_and_b32_e32 v31, 7, v1
.LBB13_675:
	s_load_dword s6, s[4:5], 0x6c
	s_waitcnt lgkmcnt(0)
	s_ashr_i32 s8, s6, 31
	s_lshr_b32 s8, s8, 27
	s_add_i32 s8, s6, s8
	s_ashr_i32 s12, s8, 5
	s_andn2_b32 s8, s8, 31
	s_sub_i32 s15, s6, s8
	s_cmp_lt_i32 s15, 21
	s_mul_i32 s12, s12, 3
	s_cbranch_scc1 .LBB13_679
; %bb.676:
	s_cmp_eq_u32 s15, 21
	s_cbranch_scc0 .LBB13_680
; %bb.677:
	s_add_i32 s6, s12, 1
	s_mov_b64 s[8:9], 0
	s_branch .LBB13_681
.LBB13_678:
	v_mov_b32_e32 v2, 0
	s_waitcnt vmcnt(0)
	v_lshrrev_b64 v[2:3], s16, v[1:2]
	v_and_b32_e32 v31, 7, v2
	s_cbranch_execz .LBB13_674
	s_branch .LBB13_675
.LBB13_679:
	s_mov_b64 s[8:9], 0
                                        ; implicit-def: $sgpr6
	s_cbranch_execnz .LBB13_682
	s_branch .LBB13_683
.LBB13_680:
	s_mov_b64 s[8:9], -1
                                        ; implicit-def: $sgpr6
.LBB13_681:
	s_branch .LBB13_683
.LBB13_682:
	s_cmp_lg_u32 s15, 10
	s_cselect_b64 s[8:9], -1, 0
	s_mov_b32 s6, s12
.LBB13_683:
	s_andn2_b64 vcc, exec, s[8:9]
	s_mov_b32 s16, 14
	s_cbranch_vccnz .LBB13_690
; %bb.684:
	s_cmp_gt_i32 s15, 21
	s_mul_i32 s10, s15, 3
	s_cbranch_scc1 .LBB13_688
; %bb.685:
	s_cmp_lt_i32 s15, 11
	s_mov_b32 s16, s10
	s_mov_b32 s6, s12
	s_cbranch_scc1 .LBB13_687
; %bb.686:
	s_sub_i32 s16, s10, 32
	s_add_i32 s6, s12, 1
.LBB13_687:
	s_cbranch_execz .LBB13_689
	s_branch .LBB13_690
.LBB13_688:
                                        ; implicit-def: $sgpr16
                                        ; implicit-def: $sgpr6
.LBB13_689:
	s_sub_i32 s16, s10, 64
	s_add_i32 s6, s12, 2
.LBB13_690:
	s_mul_i32 s8, s6, s14
	s_waitcnt vmcnt(0)
	v_add_u32_e32 v1, s8, v0
	v_mov_b32_e32 v2, 0
	v_lshlrev_b64 v[1:2], 2, v[1:2]
	v_mov_b32_e32 v3, s1
	v_add_co_u32_e32 v1, vcc, s0, v1
	v_addc_co_u32_e32 v2, vcc, v3, v2, vcc
	global_load_dword v1, v[1:2], off
	s_cmp_lt_i32 s15, 21
	s_mov_b64 s[8:9], 0
	s_cbranch_scc1 .LBB13_693
; %bb.691:
	s_cmp_eq_u32 s15, 21
	s_cbranch_scc0 .LBB13_694
; %bb.692:
	s_add_i32 s10, s6, 1
	s_mul_i32 s10, s10, s14
	v_add_u32_e32 v2, s10, v0
	v_mov_b32_e32 v3, 0
	v_lshlrev_b64 v[2:3], 2, v[2:3]
	v_mov_b32_e32 v4, s1
	v_add_co_u32_e32 v2, vcc, s0, v2
	v_addc_co_u32_e32 v3, vcc, v4, v3, vcc
	global_load_dword v2, v[2:3], off
	s_mov_b64 s[10:11], 0
	s_waitcnt vmcnt(0)
	v_alignbit_b32 v2, v2, v1, 31
	v_and_b32_e32 v32, 7, v2
	s_branch .LBB13_695
.LBB13_693:
                                        ; implicit-def: $vgpr32
	s_mov_b64 s[10:11], 0
	s_cbranch_execnz .LBB13_696
	s_branch .LBB13_697
.LBB13_694:
	s_mov_b64 s[10:11], -1
                                        ; implicit-def: $vgpr32
.LBB13_695:
	s_branch .LBB13_697
.LBB13_696:
	s_cmp_lg_u32 s15, 10
	s_mov_b64 s[8:9], -1
	s_cselect_b64 s[10:11], -1, 0
.LBB13_697:
	s_andn2_b64 vcc, exec, s[10:11]
	s_cbranch_vccz .LBB13_703
; %bb.698:
	s_andn2_b64 vcc, exec, s[8:9]
	s_cbranch_vccnz .LBB13_700
.LBB13_699:
	s_add_i32 s6, s6, 1
	s_mul_i32 s6, s6, s14
	v_add_u32_e32 v2, s6, v0
	v_mov_b32_e32 v3, 0
	v_lshlrev_b64 v[2:3], 2, v[2:3]
	v_mov_b32_e32 v4, s1
	v_add_co_u32_e32 v2, vcc, s0, v2
	v_addc_co_u32_e32 v3, vcc, v4, v3, vcc
	global_load_dword v2, v[2:3], off
	s_waitcnt vmcnt(0)
	v_alignbit_b32 v1, v2, v1, 30
	v_and_b32_e32 v32, 7, v1
.LBB13_700:
	s_load_dword s6, s[4:5], 0x70
	s_waitcnt lgkmcnt(0)
	s_ashr_i32 s8, s6, 31
	s_lshr_b32 s8, s8, 27
	s_add_i32 s8, s6, s8
	s_ashr_i32 s12, s8, 5
	s_andn2_b32 s8, s8, 31
	s_sub_i32 s15, s6, s8
	s_cmp_lt_i32 s15, 21
	s_mul_i32 s12, s12, 3
	s_cbranch_scc1 .LBB13_704
; %bb.701:
	s_cmp_eq_u32 s15, 21
	s_cbranch_scc0 .LBB13_705
; %bb.702:
	s_add_i32 s6, s12, 1
	s_mov_b64 s[8:9], 0
	s_branch .LBB13_706
.LBB13_703:
	v_mov_b32_e32 v2, 0
	s_waitcnt vmcnt(0)
	v_lshrrev_b64 v[2:3], s16, v[1:2]
	v_and_b32_e32 v32, 7, v2
	s_cbranch_execz .LBB13_699
	s_branch .LBB13_700
.LBB13_704:
	s_mov_b64 s[8:9], 0
                                        ; implicit-def: $sgpr6
	s_cbranch_execnz .LBB13_707
	s_branch .LBB13_708
.LBB13_705:
	s_mov_b64 s[8:9], -1
                                        ; implicit-def: $sgpr6
.LBB13_706:
	s_branch .LBB13_708
.LBB13_707:
	s_cmp_lg_u32 s15, 10
	s_cselect_b64 s[8:9], -1, 0
	s_mov_b32 s6, s12
.LBB13_708:
	s_andn2_b64 vcc, exec, s[8:9]
	s_mov_b32 s16, 17
	s_cbranch_vccnz .LBB13_715
; %bb.709:
	s_cmp_gt_i32 s15, 21
	s_mul_i32 s10, s15, 3
	s_cbranch_scc1 .LBB13_713
; %bb.710:
	s_cmp_lt_i32 s15, 11
	s_mov_b32 s16, s10
	s_mov_b32 s6, s12
	s_cbranch_scc1 .LBB13_712
; %bb.711:
	s_sub_i32 s16, s10, 32
	s_add_i32 s6, s12, 1
.LBB13_712:
	s_cbranch_execz .LBB13_714
	s_branch .LBB13_715
.LBB13_713:
                                        ; implicit-def: $sgpr16
                                        ; implicit-def: $sgpr6
.LBB13_714:
	s_sub_i32 s16, s10, 64
	s_add_i32 s6, s12, 2
.LBB13_715:
	s_mul_i32 s8, s6, s14
	s_waitcnt vmcnt(0)
	v_add_u32_e32 v1, s8, v0
	v_mov_b32_e32 v2, 0
	v_lshlrev_b64 v[1:2], 2, v[1:2]
	v_mov_b32_e32 v3, s1
	v_add_co_u32_e32 v1, vcc, s0, v1
	v_addc_co_u32_e32 v2, vcc, v3, v2, vcc
	global_load_dword v1, v[1:2], off
	s_cmp_lt_i32 s15, 21
	s_mov_b64 s[8:9], 0
	s_cbranch_scc1 .LBB13_718
; %bb.716:
	s_cmp_eq_u32 s15, 21
	s_cbranch_scc0 .LBB13_719
; %bb.717:
	s_add_i32 s10, s6, 1
	s_mul_i32 s10, s10, s14
	v_add_u32_e32 v2, s10, v0
	v_mov_b32_e32 v3, 0
	v_lshlrev_b64 v[2:3], 2, v[2:3]
	v_mov_b32_e32 v4, s1
	v_add_co_u32_e32 v2, vcc, s0, v2
	v_addc_co_u32_e32 v3, vcc, v4, v3, vcc
	global_load_dword v2, v[2:3], off
	s_mov_b64 s[10:11], 0
	s_waitcnt vmcnt(0)
	v_alignbit_b32 v2, v2, v1, 31
	v_and_b32_e32 v33, 7, v2
	s_branch .LBB13_720
.LBB13_718:
                                        ; implicit-def: $vgpr33
	s_mov_b64 s[10:11], 0
	s_cbranch_execnz .LBB13_721
	s_branch .LBB13_722
.LBB13_719:
	s_mov_b64 s[10:11], -1
                                        ; implicit-def: $vgpr33
.LBB13_720:
	s_branch .LBB13_722
.LBB13_721:
	s_cmp_lg_u32 s15, 10
	s_mov_b64 s[8:9], -1
	s_cselect_b64 s[10:11], -1, 0
.LBB13_722:
	s_andn2_b64 vcc, exec, s[10:11]
	s_cbranch_vccz .LBB13_728
; %bb.723:
	s_andn2_b64 vcc, exec, s[8:9]
	s_cbranch_vccnz .LBB13_725
.LBB13_724:
	s_add_i32 s6, s6, 1
	s_mul_i32 s6, s6, s14
	v_add_u32_e32 v2, s6, v0
	v_mov_b32_e32 v3, 0
	v_lshlrev_b64 v[2:3], 2, v[2:3]
	v_mov_b32_e32 v4, s1
	v_add_co_u32_e32 v2, vcc, s0, v2
	v_addc_co_u32_e32 v3, vcc, v4, v3, vcc
	global_load_dword v2, v[2:3], off
	s_waitcnt vmcnt(0)
	v_alignbit_b32 v1, v2, v1, 30
	v_and_b32_e32 v33, 7, v1
.LBB13_725:
	s_load_dword s6, s[4:5], 0x74
	s_waitcnt lgkmcnt(0)
	s_ashr_i32 s8, s6, 31
	s_lshr_b32 s8, s8, 27
	s_add_i32 s8, s6, s8
	s_ashr_i32 s12, s8, 5
	s_andn2_b32 s8, s8, 31
	s_sub_i32 s15, s6, s8
	s_cmp_lt_i32 s15, 21
	s_mul_i32 s12, s12, 3
	s_cbranch_scc1 .LBB13_729
; %bb.726:
	s_cmp_eq_u32 s15, 21
	s_cbranch_scc0 .LBB13_730
; %bb.727:
	s_add_i32 s6, s12, 1
	s_mov_b64 s[8:9], 0
	s_branch .LBB13_731
.LBB13_728:
	v_mov_b32_e32 v2, 0
	s_waitcnt vmcnt(0)
	v_lshrrev_b64 v[2:3], s16, v[1:2]
	v_and_b32_e32 v33, 7, v2
	s_cbranch_execz .LBB13_724
	s_branch .LBB13_725
.LBB13_729:
	s_mov_b64 s[8:9], 0
                                        ; implicit-def: $sgpr6
	s_cbranch_execnz .LBB13_732
	s_branch .LBB13_733
.LBB13_730:
	s_mov_b64 s[8:9], -1
                                        ; implicit-def: $sgpr6
.LBB13_731:
	s_branch .LBB13_733
.LBB13_732:
	s_cmp_lg_u32 s15, 10
	s_cselect_b64 s[8:9], -1, 0
	s_mov_b32 s6, s12
.LBB13_733:
	s_andn2_b64 vcc, exec, s[8:9]
	s_mov_b32 s16, 20
	s_cbranch_vccnz .LBB13_740
; %bb.734:
	s_cmp_gt_i32 s15, 21
	s_mul_i32 s10, s15, 3
	s_cbranch_scc1 .LBB13_738
; %bb.735:
	s_cmp_lt_i32 s15, 11
	s_mov_b32 s16, s10
	s_mov_b32 s6, s12
	s_cbranch_scc1 .LBB13_737
; %bb.736:
	s_sub_i32 s16, s10, 32
	s_add_i32 s6, s12, 1
.LBB13_737:
	s_cbranch_execz .LBB13_739
	s_branch .LBB13_740
.LBB13_738:
                                        ; implicit-def: $sgpr16
                                        ; implicit-def: $sgpr6
.LBB13_739:
	s_sub_i32 s16, s10, 64
	s_add_i32 s6, s12, 2
.LBB13_740:
	s_mul_i32 s8, s6, s14
	s_waitcnt vmcnt(0)
	v_add_u32_e32 v1, s8, v0
	v_mov_b32_e32 v2, 0
	v_lshlrev_b64 v[1:2], 2, v[1:2]
	v_mov_b32_e32 v3, s1
	v_add_co_u32_e32 v1, vcc, s0, v1
	v_addc_co_u32_e32 v2, vcc, v3, v2, vcc
	global_load_dword v1, v[1:2], off
	s_cmp_lt_i32 s15, 21
	s_mov_b64 s[8:9], 0
	s_cbranch_scc1 .LBB13_743
; %bb.741:
	s_cmp_eq_u32 s15, 21
	s_cbranch_scc0 .LBB13_744
; %bb.742:
	s_add_i32 s10, s6, 1
	s_mul_i32 s10, s10, s14
	v_add_u32_e32 v2, s10, v0
	v_mov_b32_e32 v3, 0
	v_lshlrev_b64 v[2:3], 2, v[2:3]
	v_mov_b32_e32 v4, s1
	v_add_co_u32_e32 v2, vcc, s0, v2
	v_addc_co_u32_e32 v3, vcc, v4, v3, vcc
	global_load_dword v2, v[2:3], off
	s_mov_b64 s[10:11], 0
	s_waitcnt vmcnt(0)
	v_alignbit_b32 v2, v2, v1, 31
	v_and_b32_e32 v34, 7, v2
	s_branch .LBB13_745
.LBB13_743:
                                        ; implicit-def: $vgpr34
	s_mov_b64 s[10:11], 0
	s_cbranch_execnz .LBB13_746
	s_branch .LBB13_747
.LBB13_744:
	s_mov_b64 s[10:11], -1
                                        ; implicit-def: $vgpr34
.LBB13_745:
	s_branch .LBB13_747
.LBB13_746:
	s_cmp_lg_u32 s15, 10
	s_mov_b64 s[8:9], -1
	s_cselect_b64 s[10:11], -1, 0
.LBB13_747:
	s_andn2_b64 vcc, exec, s[10:11]
	s_cbranch_vccz .LBB13_753
; %bb.748:
	s_andn2_b64 vcc, exec, s[8:9]
	s_cbranch_vccnz .LBB13_750
.LBB13_749:
	s_add_i32 s6, s6, 1
	s_mul_i32 s6, s6, s14
	v_add_u32_e32 v2, s6, v0
	v_mov_b32_e32 v3, 0
	v_lshlrev_b64 v[2:3], 2, v[2:3]
	v_mov_b32_e32 v4, s1
	v_add_co_u32_e32 v2, vcc, s0, v2
	v_addc_co_u32_e32 v3, vcc, v4, v3, vcc
	global_load_dword v2, v[2:3], off
	s_waitcnt vmcnt(0)
	v_alignbit_b32 v1, v2, v1, 30
	v_and_b32_e32 v34, 7, v1
.LBB13_750:
	s_load_dword s6, s[4:5], 0x78
	s_waitcnt lgkmcnt(0)
	s_ashr_i32 s8, s6, 31
	s_lshr_b32 s8, s8, 27
	s_add_i32 s8, s6, s8
	s_ashr_i32 s12, s8, 5
	s_andn2_b32 s8, s8, 31
	s_sub_i32 s15, s6, s8
	s_cmp_lt_i32 s15, 21
	s_mul_i32 s12, s12, 3
	s_cbranch_scc1 .LBB13_754
; %bb.751:
	s_cmp_eq_u32 s15, 21
	s_cbranch_scc0 .LBB13_755
; %bb.752:
	s_add_i32 s6, s12, 1
	s_mov_b64 s[8:9], 0
	s_branch .LBB13_756
.LBB13_753:
	v_mov_b32_e32 v2, 0
	s_waitcnt vmcnt(0)
	v_lshrrev_b64 v[2:3], s16, v[1:2]
	v_and_b32_e32 v34, 7, v2
	s_cbranch_execz .LBB13_749
	s_branch .LBB13_750
.LBB13_754:
	s_mov_b64 s[8:9], 0
                                        ; implicit-def: $sgpr6
	s_cbranch_execnz .LBB13_757
	s_branch .LBB13_758
.LBB13_755:
	s_mov_b64 s[8:9], -1
                                        ; implicit-def: $sgpr6
.LBB13_756:
	s_branch .LBB13_758
.LBB13_757:
	s_cmp_lg_u32 s15, 10
	s_cselect_b64 s[8:9], -1, 0
	s_mov_b32 s6, s12
.LBB13_758:
	s_andn2_b64 vcc, exec, s[8:9]
	s_mov_b32 s16, 23
	s_cbranch_vccnz .LBB13_765
; %bb.759:
	s_cmp_gt_i32 s15, 21
	s_mul_i32 s10, s15, 3
	s_cbranch_scc1 .LBB13_763
; %bb.760:
	s_cmp_lt_i32 s15, 11
	s_mov_b32 s16, s10
	s_mov_b32 s6, s12
	s_cbranch_scc1 .LBB13_762
; %bb.761:
	s_sub_i32 s16, s10, 32
	s_add_i32 s6, s12, 1
.LBB13_762:
	s_cbranch_execz .LBB13_764
	s_branch .LBB13_765
.LBB13_763:
                                        ; implicit-def: $sgpr16
                                        ; implicit-def: $sgpr6
.LBB13_764:
	s_sub_i32 s16, s10, 64
	s_add_i32 s6, s12, 2
.LBB13_765:
	s_mul_i32 s8, s6, s14
	s_waitcnt vmcnt(0)
	v_add_u32_e32 v1, s8, v0
	v_mov_b32_e32 v2, 0
	v_lshlrev_b64 v[1:2], 2, v[1:2]
	v_mov_b32_e32 v3, s1
	v_add_co_u32_e32 v1, vcc, s0, v1
	v_addc_co_u32_e32 v2, vcc, v3, v2, vcc
	global_load_dword v1, v[1:2], off
	s_cmp_lt_i32 s15, 21
	s_mov_b64 s[8:9], 0
	s_cbranch_scc1 .LBB13_768
; %bb.766:
	s_cmp_eq_u32 s15, 21
	s_cbranch_scc0 .LBB13_769
; %bb.767:
	s_add_i32 s10, s6, 1
	s_mul_i32 s10, s10, s14
	v_add_u32_e32 v2, s10, v0
	v_mov_b32_e32 v3, 0
	v_lshlrev_b64 v[2:3], 2, v[2:3]
	v_mov_b32_e32 v4, s1
	v_add_co_u32_e32 v2, vcc, s0, v2
	v_addc_co_u32_e32 v3, vcc, v4, v3, vcc
	global_load_dword v2, v[2:3], off
	s_mov_b64 s[10:11], 0
	s_waitcnt vmcnt(0)
	v_alignbit_b32 v2, v2, v1, 31
	v_and_b32_e32 v35, 7, v2
	s_branch .LBB13_770
.LBB13_768:
                                        ; implicit-def: $vgpr35
	s_mov_b64 s[10:11], 0
	s_cbranch_execnz .LBB13_771
	s_branch .LBB13_772
.LBB13_769:
	s_mov_b64 s[10:11], -1
                                        ; implicit-def: $vgpr35
.LBB13_770:
	s_branch .LBB13_772
.LBB13_771:
	s_cmp_lg_u32 s15, 10
	s_mov_b64 s[8:9], -1
	s_cselect_b64 s[10:11], -1, 0
.LBB13_772:
	s_andn2_b64 vcc, exec, s[10:11]
	s_cbranch_vccz .LBB13_778
; %bb.773:
	s_andn2_b64 vcc, exec, s[8:9]
	s_cbranch_vccnz .LBB13_775
.LBB13_774:
	s_add_i32 s6, s6, 1
	s_mul_i32 s6, s6, s14
	v_add_u32_e32 v2, s6, v0
	v_mov_b32_e32 v3, 0
	v_lshlrev_b64 v[2:3], 2, v[2:3]
	v_mov_b32_e32 v4, s1
	v_add_co_u32_e32 v2, vcc, s0, v2
	v_addc_co_u32_e32 v3, vcc, v4, v3, vcc
	global_load_dword v2, v[2:3], off
	s_waitcnt vmcnt(0)
	v_alignbit_b32 v1, v2, v1, 30
	v_and_b32_e32 v35, 7, v1
.LBB13_775:
	s_load_dword s4, s[4:5], 0x7c
	s_waitcnt lgkmcnt(0)
	s_ashr_i32 s5, s4, 31
	s_lshr_b32 s5, s5, 27
	s_add_i32 s5, s4, s5
	s_ashr_i32 s10, s5, 5
	s_andn2_b32 s5, s5, 31
	s_sub_i32 s6, s4, s5
	s_cmp_lt_i32 s6, 21
	s_mul_i32 s10, s10, 3
	s_cbranch_scc1 .LBB13_779
; %bb.776:
	s_cmp_eq_u32 s6, 21
	s_cbranch_scc0 .LBB13_780
; %bb.777:
	s_add_i32 s11, s10, 1
	s_mov_b64 s[4:5], 0
	s_branch .LBB13_781
.LBB13_778:
	v_mov_b32_e32 v2, 0
	s_waitcnt vmcnt(0)
	v_lshrrev_b64 v[2:3], s16, v[1:2]
	v_and_b32_e32 v35, 7, v2
	s_cbranch_execz .LBB13_774
	s_branch .LBB13_775
.LBB13_779:
	s_mov_b64 s[4:5], 0
                                        ; implicit-def: $sgpr11
	s_cbranch_execnz .LBB13_782
	s_branch .LBB13_783
.LBB13_780:
	s_mov_b64 s[4:5], -1
                                        ; implicit-def: $sgpr11
.LBB13_781:
	s_branch .LBB13_783
.LBB13_782:
	s_cmp_lg_u32 s6, 10
	s_cselect_b64 s[4:5], -1, 0
	s_mov_b32 s11, s10
.LBB13_783:
	s_andn2_b64 vcc, exec, s[4:5]
	s_mov_b32 s12, 26
	s_cbranch_vccnz .LBB13_790
; %bb.784:
	s_cmp_gt_i32 s6, 21
	s_mul_i32 s8, s6, 3
	s_cbranch_scc1 .LBB13_788
; %bb.785:
	s_cmp_lt_i32 s6, 11
	s_mov_b32 s12, s8
	s_mov_b32 s11, s10
	s_cbranch_scc1 .LBB13_787
; %bb.786:
	s_sub_i32 s12, s8, 32
	s_add_i32 s11, s10, 1
.LBB13_787:
	s_cbranch_execz .LBB13_789
	s_branch .LBB13_790
.LBB13_788:
                                        ; implicit-def: $sgpr12
                                        ; implicit-def: $sgpr11
.LBB13_789:
	s_sub_i32 s12, s8, 64
	s_add_i32 s11, s10, 2
.LBB13_790:
	s_mul_i32 s4, s11, s14
	v_add_u32_e32 v3, s4, v0
	v_mov_b32_e32 v4, 0
	s_waitcnt vmcnt(0)
	v_lshlrev_b64 v[1:2], 2, v[3:4]
	v_mov_b32_e32 v4, s1
	v_add_co_u32_e32 v1, vcc, s0, v1
	v_addc_co_u32_e32 v2, vcc, v4, v2, vcc
	global_load_dword v1, v[1:2], off
	s_cmp_lt_i32 s6, 21
	s_mov_b64 s[4:5], 0
	s_cbranch_scc1 .LBB13_793
; %bb.791:
	s_cmp_eq_u32 s6, 21
	s_cbranch_scc0 .LBB13_794
; %bb.792:
	v_add_u32_e32 v36, s14, v3
	v_mov_b32_e32 v37, 0
	v_lshlrev_b64 v[36:37], 2, v[36:37]
	v_mov_b32_e32 v2, s1
	v_add_co_u32_e32 v36, vcc, s0, v36
	v_addc_co_u32_e32 v37, vcc, v2, v37, vcc
	global_load_dword v2, v[36:37], off
	s_mov_b64 s[8:9], 0
	s_waitcnt vmcnt(0)
	v_alignbit_b32 v2, v2, v1, 31
	v_and_b32_e32 v2, 7, v2
	s_branch .LBB13_795
.LBB13_793:
                                        ; implicit-def: $vgpr2
	s_mov_b64 s[8:9], 0
	s_cbranch_execnz .LBB13_796
	s_branch .LBB13_797
.LBB13_794:
	s_mov_b64 s[8:9], -1
                                        ; implicit-def: $vgpr2
.LBB13_795:
	s_branch .LBB13_797
.LBB13_796:
	s_cmp_lg_u32 s6, 10
	s_mov_b64 s[4:5], -1
	s_cselect_b64 s[8:9], -1, 0
.LBB13_797:
	s_andn2_b64 vcc, exec, s[8:9]
	s_cbranch_vccz .LBB13_802
; %bb.798:
	s_andn2_b64 vcc, exec, s[4:5]
	s_cbranch_vccnz .LBB13_800
.LBB13_799:
	v_add_u32_e32 v2, s14, v3
	v_mov_b32_e32 v3, 0
	v_lshlrev_b64 v[2:3], 2, v[2:3]
	v_mov_b32_e32 v4, s1
	v_add_co_u32_e32 v2, vcc, s0, v2
	v_addc_co_u32_e32 v3, vcc, v4, v3, vcc
	global_load_dword v2, v[2:3], off
	s_waitcnt vmcnt(0)
	v_alignbit_b32 v1, v2, v1, 30
	v_and_b32_e32 v2, 7, v1
.LBB13_800:
	s_waitcnt vmcnt(0)
	v_lshrrev_b32_e32 v1, 1, v26
	v_lshlrev_b32_e32 v3, 2, v27
	v_lshlrev_b32_e32 v4, 5, v28
	v_or3_b32 v1, v1, v3, v4
	v_lshlrev_b32_e32 v3, 8, v29
	v_lshlrev_b32_e32 v4, 11, v30
	v_or3_b32 v1, v1, v3, v4
	;; [unrolled: 3-line block ×4, first 2 shown]
	v_lshrrev_b32_e32 v1, 2, v15
	v_lshl_or_b32 v1, v16, 1, v1
	v_lshlrev_b32_e32 v16, 4, v17
	v_lshlrev_b32_e32 v17, 7, v18
	v_or3_b32 v1, v1, v16, v17
	v_lshlrev_b32_e32 v16, 10, v19
	v_lshlrev_b32_e32 v17, 13, v20
	v_or3_b32 v1, v1, v16, v17
	;; [unrolled: 3-line block ×9, first 2 shown]
	v_lshlrev_b32_e32 v5, 27, v14
	v_lshlrev_b32_e32 v6, 30, v15
	s_mul_i32 s7, s7, s14
	v_or3_b32 v5, v1, v5, v6
	v_mad_u64_u32 v[0:1], s[0:1], s7, 3, v[0:1]
	v_lshlrev_b32_e32 v4, 26, v35
	v_lshlrev_b32_e32 v1, 29, v2
	v_or3_b32 v4, v3, v4, v1
	v_mov_b32_e32 v1, 0
	v_lshlrev_b64 v[2:3], 2, v[0:1]
	v_mov_b32_e32 v6, s3
	v_add_co_u32_e32 v2, vcc, s2, v2
	v_addc_co_u32_e32 v3, vcc, v6, v3, vcc
	v_add_u32_e32 v0, s14, v0
	global_store_dword v[2:3], v5, off
	v_lshlrev_b64 v[2:3], 2, v[0:1]
	v_add_u32_e32 v0, s14, v0
	v_mov_b32_e32 v5, s3
	v_add_co_u32_e32 v2, vcc, s2, v2
	v_lshlrev_b64 v[0:1], 2, v[0:1]
	v_addc_co_u32_e32 v3, vcc, v5, v3, vcc
	global_store_dword v[2:3], v16, off
	v_mov_b32_e32 v2, s3
	v_add_co_u32_e32 v0, vcc, s2, v0
	v_addc_co_u32_e32 v1, vcc, v2, v1, vcc
	global_store_dword v[0:1], v4, off
.LBB13_801:
	s_endpgm
.LBB13_802:
	v_mov_b32_e32 v2, 0
	s_waitcnt vmcnt(0)
	v_lshrrev_b64 v[36:37], s12, v[1:2]
	v_and_b32_e32 v2, 7, v36
	s_cbranch_execz .LBB13_799
	s_branch .LBB13_800
	.section	.rodata,"a",@progbits
	.p2align	6, 0x0
	.amdhsa_kernel _ZN4vllm4gptq27make_sequential_3bit_kernelEPKjPjPKii
		.amdhsa_group_segment_fixed_size 0
		.amdhsa_private_segment_fixed_size 0
		.amdhsa_kernarg_size 28
		.amdhsa_user_sgpr_count 6
		.amdhsa_user_sgpr_private_segment_buffer 1
		.amdhsa_user_sgpr_dispatch_ptr 0
		.amdhsa_user_sgpr_queue_ptr 0
		.amdhsa_user_sgpr_kernarg_segment_ptr 1
		.amdhsa_user_sgpr_dispatch_id 0
		.amdhsa_user_sgpr_flat_scratch_init 0
		.amdhsa_user_sgpr_private_segment_size 0
		.amdhsa_uses_dynamic_stack 0
		.amdhsa_system_sgpr_private_segment_wavefront_offset 0
		.amdhsa_system_sgpr_workgroup_id_x 1
		.amdhsa_system_sgpr_workgroup_id_y 1
		.amdhsa_system_sgpr_workgroup_id_z 0
		.amdhsa_system_sgpr_workgroup_info 0
		.amdhsa_system_vgpr_workitem_id 0
		.amdhsa_next_free_vgpr 38
		.amdhsa_next_free_sgpr 17
		.amdhsa_reserve_vcc 1
		.amdhsa_reserve_flat_scratch 0
		.amdhsa_float_round_mode_32 0
		.amdhsa_float_round_mode_16_64 0
		.amdhsa_float_denorm_mode_32 3
		.amdhsa_float_denorm_mode_16_64 3
		.amdhsa_dx10_clamp 1
		.amdhsa_ieee_mode 1
		.amdhsa_fp16_overflow 0
		.amdhsa_exception_fp_ieee_invalid_op 0
		.amdhsa_exception_fp_denorm_src 0
		.amdhsa_exception_fp_ieee_div_zero 0
		.amdhsa_exception_fp_ieee_overflow 0
		.amdhsa_exception_fp_ieee_underflow 0
		.amdhsa_exception_fp_ieee_inexact 0
		.amdhsa_exception_int_div_zero 0
	.end_amdhsa_kernel
	.text
.Lfunc_end13:
	.size	_ZN4vllm4gptq27make_sequential_3bit_kernelEPKjPjPKii, .Lfunc_end13-_ZN4vllm4gptq27make_sequential_3bit_kernelEPKjPjPKii
                                        ; -- End function
	.set _ZN4vllm4gptq27make_sequential_3bit_kernelEPKjPjPKii.num_vgpr, 38
	.set _ZN4vllm4gptq27make_sequential_3bit_kernelEPKjPjPKii.num_agpr, 0
	.set _ZN4vllm4gptq27make_sequential_3bit_kernelEPKjPjPKii.numbered_sgpr, 17
	.set _ZN4vllm4gptq27make_sequential_3bit_kernelEPKjPjPKii.num_named_barrier, 0
	.set _ZN4vllm4gptq27make_sequential_3bit_kernelEPKjPjPKii.private_seg_size, 0
	.set _ZN4vllm4gptq27make_sequential_3bit_kernelEPKjPjPKii.uses_vcc, 1
	.set _ZN4vllm4gptq27make_sequential_3bit_kernelEPKjPjPKii.uses_flat_scratch, 0
	.set _ZN4vllm4gptq27make_sequential_3bit_kernelEPKjPjPKii.has_dyn_sized_stack, 0
	.set _ZN4vllm4gptq27make_sequential_3bit_kernelEPKjPjPKii.has_recursion, 0
	.set _ZN4vllm4gptq27make_sequential_3bit_kernelEPKjPjPKii.has_indirect_call, 0
	.section	.AMDGPU.csdata,"",@progbits
; Kernel info:
; codeLenInByte = 14244
; TotalNumSgprs: 21
; NumVgprs: 38
; ScratchSize: 0
; MemoryBound: 0
; FloatMode: 240
; IeeeMode: 1
; LDSByteSize: 0 bytes/workgroup (compile time only)
; SGPRBlocks: 2
; VGPRBlocks: 9
; NumSGPRsForWavesPerEU: 21
; NumVGPRsForWavesPerEU: 38
; Occupancy: 6
; WaveLimiterHint : 0
; COMPUTE_PGM_RSRC2:SCRATCH_EN: 0
; COMPUTE_PGM_RSRC2:USER_SGPR: 6
; COMPUTE_PGM_RSRC2:TRAP_HANDLER: 0
; COMPUTE_PGM_RSRC2:TGID_X_EN: 1
; COMPUTE_PGM_RSRC2:TGID_Y_EN: 1
; COMPUTE_PGM_RSRC2:TGID_Z_EN: 0
; COMPUTE_PGM_RSRC2:TIDIG_COMP_CNT: 0
	.text
	.protected	_ZN4vllm4gptq27make_sequential_8bit_kernelEPKjPjPKii ; -- Begin function _ZN4vllm4gptq27make_sequential_8bit_kernelEPKjPjPKii
	.globl	_ZN4vllm4gptq27make_sequential_8bit_kernelEPKjPjPKii
	.p2align	8
	.type	_ZN4vllm4gptq27make_sequential_8bit_kernelEPKjPjPKii,@function
_ZN4vllm4gptq27make_sequential_8bit_kernelEPKjPjPKii: ; @_ZN4vllm4gptq27make_sequential_8bit_kernelEPKjPjPKii
; %bb.0:
	s_load_dword s0, s[4:5], 0x18
	v_lshl_add_u32 v0, s6, 5, v0
	s_waitcnt lgkmcnt(0)
	s_ashr_i32 s12, s0, 1
	v_cmp_gt_u32_e32 vcc, s12, v0
	s_and_saveexec_b64 s[0:1], vcc
	s_cbranch_execz .LBB14_2
; %bb.1:
	s_load_dwordx2 s[8:9], s[4:5], 0x10
	s_load_dwordx4 s[0:3], s[4:5], 0x0
	s_lshl_b32 s4, s7, 2
	s_ashr_i32 s5, s4, 31
	s_lshl_b64 s[4:5], s[4:5], 2
	s_waitcnt lgkmcnt(0)
	s_add_u32 s4, s8, s4
	s_addc_u32 s5, s9, s5
	s_load_dwordx4 s[8:11], s[4:5], 0x0
	v_mov_b32_e32 v2, 0
	v_mov_b32_e32 v5, s1
	;; [unrolled: 1-line block ×3, first 2 shown]
	s_waitcnt lgkmcnt(0)
	s_ashr_i32 s4, s8, 2
	s_mul_i32 s4, s4, s12
	v_add_u32_e32 v1, s4, v0
	v_lshlrev_b64 v[3:4], 3, v[1:2]
	s_ashr_i32 s4, s9, 2
	s_mul_i32 s4, s4, s12
	v_add_co_u32_e32 v3, vcc, s0, v3
	v_add_u32_e32 v1, s4, v0
	v_addc_co_u32_e32 v4, vcc, v5, v4, vcc
	v_lshlrev_b64 v[5:6], 3, v[1:2]
	s_ashr_i32 s4, s10, 2
	v_mov_b32_e32 v1, s1
	v_add_co_u32_e32 v5, vcc, s0, v5
	s_mul_i32 s4, s4, s12
	v_addc_co_u32_e32 v6, vcc, v1, v6, vcc
	v_add_u32_e32 v1, s4, v0
	v_lshlrev_b64 v[7:8], 3, v[1:2]
	s_ashr_i32 s4, s11, 2
	v_mov_b32_e32 v1, s1
	v_add_co_u32_e32 v7, vcc, s0, v7
	s_mul_i32 s4, s4, s12
	v_addc_co_u32_e32 v8, vcc, v1, v8, vcc
	v_add_u32_e32 v1, s4, v0
	global_load_dwordx2 v[9:10], v[3:4], off
	global_load_dwordx2 v[11:12], v[5:6], off
	;; [unrolled: 1-line block ×3, first 2 shown]
	v_lshlrev_b64 v[3:4], 3, v[1:2]
	v_mov_b32_e32 v1, s1
	v_add_co_u32_e32 v3, vcc, s0, v3
	v_addc_co_u32_e32 v4, vcc, v1, v4, vcc
	global_load_dwordx2 v[3:4], v[3:4], off
	s_lshl_b32 s1, s9, 3
	s_mul_i32 s12, s12, s7
	s_lshl_b32 s0, s8, 3
	s_lshl_b32 s3, s10, 3
	;; [unrolled: 1-line block ×3, first 2 shown]
	s_and_b32 s1, s1, 24
	s_and_b32 s0, s0, 24
	;; [unrolled: 1-line block ×4, first 2 shown]
	v_add_u32_e32 v1, s12, v0
	v_lshlrev_b64 v[0:1], 3, v[1:2]
	v_add_co_u32_e32 v0, vcc, s2, v0
	v_addc_co_u32_e32 v1, vcc, v15, v1, vcc
	s_waitcnt vmcnt(3)
	v_lshrrev_b64 v[5:6], s0, v[9:10]
	s_waitcnt vmcnt(2)
	v_lshrrev_b64 v[7:8], s1, v[11:12]
	;; [unrolled: 2-line block ×3, first 2 shown]
	v_lshlrev_b64 v[7:8], 8, v[7:8]
	v_lshlrev_b64 v[9:10], 16, v[9:10]
	v_and_b32_e32 v7, 0xff00, v7
	v_or_b32_sdwa v5, v7, v5 dst_sel:DWORD dst_unused:UNUSED_PAD src0_sel:DWORD src1_sel:BYTE_0
	v_and_b32_e32 v7, 0xff0000, v9
	s_waitcnt vmcnt(0)
	v_lshrrev_b64 v[2:3], s4, v[3:4]
	v_and_b32_e32 v4, 0xff00, v8
	v_lshlrev_b64 v[2:3], 24, v[2:3]
	v_or_b32_sdwa v4, v4, v6 dst_sel:DWORD dst_unused:UNUSED_PAD src0_sel:DWORD src1_sel:BYTE_0
	v_and_b32_e32 v6, 0xff0000, v10
	v_and_b32_e32 v3, 0xff000000, v3
	v_or3_b32 v2, v7, v5, v2
	v_or3_b32 v3, v6, v4, v3
	global_store_dwordx2 v[0:1], v[2:3], off
.LBB14_2:
	s_endpgm
	.section	.rodata,"a",@progbits
	.p2align	6, 0x0
	.amdhsa_kernel _ZN4vllm4gptq27make_sequential_8bit_kernelEPKjPjPKii
		.amdhsa_group_segment_fixed_size 0
		.amdhsa_private_segment_fixed_size 0
		.amdhsa_kernarg_size 28
		.amdhsa_user_sgpr_count 6
		.amdhsa_user_sgpr_private_segment_buffer 1
		.amdhsa_user_sgpr_dispatch_ptr 0
		.amdhsa_user_sgpr_queue_ptr 0
		.amdhsa_user_sgpr_kernarg_segment_ptr 1
		.amdhsa_user_sgpr_dispatch_id 0
		.amdhsa_user_sgpr_flat_scratch_init 0
		.amdhsa_user_sgpr_private_segment_size 0
		.amdhsa_uses_dynamic_stack 0
		.amdhsa_system_sgpr_private_segment_wavefront_offset 0
		.amdhsa_system_sgpr_workgroup_id_x 1
		.amdhsa_system_sgpr_workgroup_id_y 1
		.amdhsa_system_sgpr_workgroup_id_z 0
		.amdhsa_system_sgpr_workgroup_info 0
		.amdhsa_system_vgpr_workitem_id 0
		.amdhsa_next_free_vgpr 16
		.amdhsa_next_free_sgpr 13
		.amdhsa_reserve_vcc 1
		.amdhsa_reserve_flat_scratch 0
		.amdhsa_float_round_mode_32 0
		.amdhsa_float_round_mode_16_64 0
		.amdhsa_float_denorm_mode_32 3
		.amdhsa_float_denorm_mode_16_64 3
		.amdhsa_dx10_clamp 1
		.amdhsa_ieee_mode 1
		.amdhsa_fp16_overflow 0
		.amdhsa_exception_fp_ieee_invalid_op 0
		.amdhsa_exception_fp_denorm_src 0
		.amdhsa_exception_fp_ieee_div_zero 0
		.amdhsa_exception_fp_ieee_overflow 0
		.amdhsa_exception_fp_ieee_underflow 0
		.amdhsa_exception_fp_ieee_inexact 0
		.amdhsa_exception_int_div_zero 0
	.end_amdhsa_kernel
	.text
.Lfunc_end14:
	.size	_ZN4vllm4gptq27make_sequential_8bit_kernelEPKjPjPKii, .Lfunc_end14-_ZN4vllm4gptq27make_sequential_8bit_kernelEPKjPjPKii
                                        ; -- End function
	.set _ZN4vllm4gptq27make_sequential_8bit_kernelEPKjPjPKii.num_vgpr, 16
	.set _ZN4vllm4gptq27make_sequential_8bit_kernelEPKjPjPKii.num_agpr, 0
	.set _ZN4vllm4gptq27make_sequential_8bit_kernelEPKjPjPKii.numbered_sgpr, 13
	.set _ZN4vllm4gptq27make_sequential_8bit_kernelEPKjPjPKii.num_named_barrier, 0
	.set _ZN4vllm4gptq27make_sequential_8bit_kernelEPKjPjPKii.private_seg_size, 0
	.set _ZN4vllm4gptq27make_sequential_8bit_kernelEPKjPjPKii.uses_vcc, 1
	.set _ZN4vllm4gptq27make_sequential_8bit_kernelEPKjPjPKii.uses_flat_scratch, 0
	.set _ZN4vllm4gptq27make_sequential_8bit_kernelEPKjPjPKii.has_dyn_sized_stack, 0
	.set _ZN4vllm4gptq27make_sequential_8bit_kernelEPKjPjPKii.has_recursion, 0
	.set _ZN4vllm4gptq27make_sequential_8bit_kernelEPKjPjPKii.has_indirect_call, 0
	.section	.AMDGPU.csdata,"",@progbits
; Kernel info:
; codeLenInByte = 468
; TotalNumSgprs: 17
; NumVgprs: 16
; ScratchSize: 0
; MemoryBound: 0
; FloatMode: 240
; IeeeMode: 1
; LDSByteSize: 0 bytes/workgroup (compile time only)
; SGPRBlocks: 2
; VGPRBlocks: 3
; NumSGPRsForWavesPerEU: 17
; NumVGPRsForWavesPerEU: 16
; Occupancy: 10
; WaveLimiterHint : 1
; COMPUTE_PGM_RSRC2:SCRATCH_EN: 0
; COMPUTE_PGM_RSRC2:USER_SGPR: 6
; COMPUTE_PGM_RSRC2:TRAP_HANDLER: 0
; COMPUTE_PGM_RSRC2:TGID_X_EN: 1
; COMPUTE_PGM_RSRC2:TGID_Y_EN: 1
; COMPUTE_PGM_RSRC2:TGID_Z_EN: 0
; COMPUTE_PGM_RSRC2:TIDIG_COMP_CNT: 0
	.section	.text._ZN4vllm4gptq33gemm_half_q_half_gptq_2bit_kernelILb1ELi1EEEvPK6__halfPKjS6_S4_PS2_iiiibPKi,"axG",@progbits,_ZN4vllm4gptq33gemm_half_q_half_gptq_2bit_kernelILb1ELi1EEEvPK6__halfPKjS6_S4_PS2_iiiibPKi,comdat
	.protected	_ZN4vllm4gptq33gemm_half_q_half_gptq_2bit_kernelILb1ELi1EEEvPK6__halfPKjS6_S4_PS2_iiiibPKi ; -- Begin function _ZN4vllm4gptq33gemm_half_q_half_gptq_2bit_kernelILb1ELi1EEEvPK6__halfPKjS6_S4_PS2_iiiibPKi
	.globl	_ZN4vllm4gptq33gemm_half_q_half_gptq_2bit_kernelILb1ELi1EEEvPK6__halfPKjS6_S4_PS2_iiiibPKi
	.p2align	8
	.type	_ZN4vllm4gptq33gemm_half_q_half_gptq_2bit_kernelILb1ELi1EEEvPK6__halfPKjS6_S4_PS2_iiiibPKi,@function
_ZN4vllm4gptq33gemm_half_q_half_gptq_2bit_kernelILb1ELi1EEEvPK6__halfPKjS6_S4_PS2_iiiibPKi: ; @_ZN4vllm4gptq33gemm_half_q_half_gptq_2bit_kernelILb1ELi1EEEvPK6__halfPKjS6_S4_PS2_iiiibPKi
; %bb.0:
	s_load_dwordx4 s[0:3], s[4:5], 0x2c
	s_lshl_b32 s22, s8, 7
	s_add_i32 s8, s22, 0x80
	v_cvt_f64_u32_e32 v[1:2], s8
	s_load_dwordx8 s[8:15], s[4:5], 0x8
	s_waitcnt lgkmcnt(0)
	v_cvt_f64_i32_e32 v[3:4], s1
	v_min_f64 v[1:2], v[1:2], v[3:4]
	v_cvt_i32_f64_e32 v2, v[1:2]
	v_add_u32_e32 v1, s22, v0
	v_readfirstlane_b32 s23, v2
	v_cmp_lt_u32_e32 vcc, v1, v2
	s_and_saveexec_b64 s[16:17], vcc
	s_cbranch_execz .LBB15_4
; %bb.1:
	s_load_dwordx2 s[20:21], s[4:5], 0x40
	s_load_dwordx2 s[18:19], s[4:5], 0x0
	v_mov_b32_e32 v2, 0
	s_waitcnt lgkmcnt(0)
	s_cmp_eq_u64 s[20:21], 0
	s_cbranch_scc1 .LBB15_3
; %bb.2:
	v_lshlrev_b64 v[1:2], 2, v[1:2]
	v_mov_b32_e32 v3, s21
	v_add_co_u32_e32 v1, vcc, s20, v1
	v_addc_co_u32_e32 v2, vcc, v3, v2, vcc
	global_load_dword v1, v[1:2], off
	s_waitcnt vmcnt(0)
	v_ashrrev_i32_e32 v2, 31, v1
.LBB15_3:
	s_mul_i32 s4, s1, s7
	s_ashr_i32 s5, s4, 31
	s_lshl_b64 s[4:5], s[4:5], 1
	s_add_u32 s4, s18, s4
	v_lshlrev_b64 v[1:2], 1, v[1:2]
	s_addc_u32 s5, s19, s5
	v_mov_b32_e32 v3, s5
	v_add_co_u32_e32 v1, vcc, s4, v1
	v_addc_co_u32_e32 v2, vcc, v3, v2, vcc
	global_load_ushort v1, v[1:2], off
	v_lshlrev_b32_e32 v2, 1, v0
	s_waitcnt vmcnt(0)
	ds_write_b16 v2, v1
.LBB15_4:
	s_or_b64 exec, exec, s[16:17]
	v_lshlrev_b32_e32 v1, 2, v0
	v_lshl_add_u32 v4, s6, 9, v1
	v_cmp_gt_i32_e32 vcc, s0, v4
	s_and_saveexec_b64 s[4:5], vcc
	s_cbranch_execz .LBB15_16
; %bb.5:
	s_abs_i32 s5, s2
	v_cvt_f32_u32_e32 v1, s5
	s_cmp_ge_i32 s22, s23
	s_mov_b32 s4, 0
	s_waitcnt lgkmcnt(0)
	v_rcp_iflag_f32_e32 v1, v1
	s_barrier
	v_mul_f32_e32 v1, 0x4f7ffffe, v1
	v_cvt_u32_f32_e32 v1, v1
	v_readfirstlane_b32 s6, v1
	s_cbranch_scc1 .LBB15_10
; %bb.6:
	s_sub_i32 s17, 0, s5
	s_mul_i32 s17, s17, s6
	s_mul_hi_u32 s17, s6, s17
	s_ashr_i32 s16, s1, 31
	s_abs_i32 s1, s1
	s_add_i32 s6, s6, s17
	s_ashr_i32 s2, s2, 31
	s_mul_hi_u32 s6, s1, s6
	s_xor_b32 s2, s16, s2
	s_mul_i32 s16, s6, s5
	s_sub_i32 s1, s1, s16
	s_add_i32 s16, s6, 1
	s_sub_i32 s17, s1, s5
	s_cmp_ge_u32 s1, s5
	s_cselect_b32 s6, s16, s6
	s_cselect_b32 s1, s17, s1
	s_add_i32 s16, s6, 1
	s_cmp_ge_u32 s1, s5
	s_cselect_b32 s1, s16, s6
	s_xor_b32 s1, s1, s2
	s_sub_i32 s5, s1, s2
	v_cvt_f32_u32_e32 v1, s5
	s_bitcmp1_b32 s3, 0
	s_cselect_b64 s[2:3], -1, 0
	s_sub_i32 s1, 0, s5
	v_rcp_iflag_f32_e32 v1, v1
	s_xor_b64 s[2:3], s[2:3], -1
	v_ashrrev_i32_e32 v5, 31, v4
	v_lshrrev_b32_e32 v2, 28, v5
	v_mul_f32_e32 v1, 0x4f7ffffe, v1
	v_cvt_u32_f32_e32 v1, v1
	v_add_u32_e32 v2, v4, v2
	v_ashrrev_i32_e32 v18, 4, v2
	v_mov_b32_e32 v3, s11
	v_readfirstlane_b32 s6, v1
	s_mul_i32 s1, s1, s6
	s_mul_hi_u32 s1, s6, s1
	s_add_i32 s6, s6, s1
	s_mul_hi_u32 s1, s22, s6
	s_mul_i32 s6, s1, s5
	s_sub_i32 s6, s22, s6
	s_add_i32 s16, s1, 1
	s_sub_i32 s17, s6, s5
	s_cmp_ge_u32 s6, s5
	s_cselect_b32 s1, s16, s1
	s_cselect_b32 s6, s17, s6
	s_add_i32 s16, s1, 1
	s_cmp_ge_u32 s6, s5
	s_cselect_b32 s6, s16, s1
	s_mul_i32 s1, s6, s0
	s_ashr_i32 s16, s1, 31
	s_lshr_b32 s16, s16, 28
	v_add_u32_e32 v1, s1, v4
	s_add_i32 s1, s1, s16
	s_ashr_i32 s1, s1, 4
	v_add_u32_e32 v6, s1, v18
	v_ashrrev_i32_e32 v7, 31, v6
	v_lshlrev_b64 v[6:7], 2, v[6:7]
	v_ashrrev_i32_e32 v2, 31, v1
	v_lshlrev_b64 v[1:2], 1, v[1:2]
	v_add_co_u32_e32 v6, vcc, s10, v6
	v_addc_co_u32_e32 v7, vcc, v3, v7, vcc
	global_load_dword v3, v[6:7], off
	v_mov_b32_e32 v6, s13
	v_add_co_u32_e32 v1, vcc, s12, v1
	v_addc_co_u32_e32 v2, vcc, v6, v2, vcc
	global_load_dwordx2 v[6:7], v[1:2], off
	v_lshlrev_b32_e32 v2, 3, v0
	v_lshlrev_b64 v[0:1], 2, v[4:5]
	v_cndmask_b32_e64 v5, 0, 1, s[2:3]
	s_lshr_b32 s2, s22, 4
	s_mul_i32 s2, s0, s2
	s_ashr_i32 s3, s2, 31
	s_add_i32 s21, s5, s22
	s_ashr_i32 s1, s0, 31
	s_lshl_b64 s[2:3], s[2:3], 2
	s_add_u32 s8, s8, s2
	s_addc_u32 s9, s9, s3
	v_mov_b32_e32 v8, s9
	v_add_co_u32_e32 v0, vcc, s8, v0
	v_addc_co_u32_e32 v1, vcc, v8, v1, vcc
	v_and_b32_e32 v22, 24, v2
	v_add_co_u32_e32 v8, vcc, 8, v0
	v_mov_b32_e32 v19, 0
	v_mov_b32_e32 v20, 0
	s_mov_b32 s16, 0x10001
	s_movk_i32 s17, 0x3400
	s_movk_i32 s18, 0x2c00
	;; [unrolled: 1-line block ×3, first 2 shown]
	s_mov_b32 s20, 0x7060302
	v_mov_b32_e32 v21, 0xe400e400
	s_lshl_b64 s[2:3], s[0:1], 2
	v_addc_co_u32_e32 v9, vcc, 0, v1, vcc
	v_mov_b32_e32 v23, 0
	s_waitcnt vmcnt(1)
	v_lshrrev_b32_e32 v0, v2, v3
	v_bfe_u32 v24, v3, v22, 2
	v_bfe_u32 v25, v0, 6, 2
	;; [unrolled: 1-line block ×4, first 2 shown]
	s_branch .LBB15_8
.LBB15_7:                               ;   in Loop: Header=BB15_8 Depth=1
	global_load_dwordx4 v[0:3], v[8:9], off offset:-8
	v_add_u32_e32 v10, v24, v5
	v_add_u32_e32 v11, v27, v5
	;; [unrolled: 1-line block ×4, first 2 shown]
	v_cvt_f32_u32_e32 v32, v10
	v_cvt_f32_u32_e32 v33, v11
	;; [unrolled: 1-line block ×4, first 2 shown]
	v_cvt_f16_f32_e32 v32, v32
	v_cvt_f16_f32_e32 v33, v33
	;; [unrolled: 1-line block ×4, first 2 shown]
	v_mov_b32_e32 v12, s4
	v_mad_u32_u24 v31, v10, s16, v21
	v_mad_u32_u24 v30, v11, s16, v21
	;; [unrolled: 1-line block ×4, first 2 shown]
	ds_read2_b32 v[14:15], v12 offset1:1
	ds_read2_b32 v[10:11], v12 offset0:2 offset1:3
	ds_read2_b32 v[16:17], v12 offset0:4 offset1:5
	ds_read2_b32 v[12:13], v12 offset0:6 offset1:7
	v_sub_f16_e32 v36, 0xdc00, v32
	v_sub_f16_e32 v37, 0xdc00, v33
	;; [unrolled: 1-line block ×6, first 2 shown]
	v_mul_u32_u24_e32 v36, 0x10001, v36
	v_mul_u32_u24_e32 v37, 0x10001, v37
	;; [unrolled: 1-line block ×6, first 2 shown]
	v_sub_f16_e32 v32, 0xcc00, v32
	v_mul_u32_u24_e32 v32, 0x10001, v32
	v_sub_f16_e32 v33, 0xcc00, v33
	v_mul_u32_u24_e32 v33, 0x10001, v33
	s_add_i32 s4, s4, 32
	s_add_i32 s22, s22, 16
	v_add_co_u32_e32 v8, vcc, s2, v8
	s_cmp_ge_i32 s22, s23
	s_waitcnt vmcnt(0)
	v_and_b32_e32 v42, 0x30003, v0
	v_and_b32_e32 v46, 0x30003, v1
	;; [unrolled: 1-line block ×6, first 2 shown]
	v_or_b32_e32 v42, 0x64006400, v42
	v_or_b32_e32 v46, 0x64006400, v46
	v_and_b32_e32 v44, 0x300030, v0
	v_and_b32_e32 v48, 0x300030, v1
	;; [unrolled: 1-line block ×4, first 2 shown]
	v_or_b32_e32 v43, 0x64006400, v43
	v_or_b32_e32 v47, 0x64006400, v47
	v_or_b32_e32 v50, 0x64006400, v50
	v_or_b32_e32 v54, 0x64006400, v54
	v_pk_add_f16 v42, v31, v42
	v_pk_add_f16 v46, v30, v46
	v_or_b32_e32 v51, 0x64006400, v51
	v_or_b32_e32 v55, 0x64006400, v55
	;; [unrolled: 1-line block ×4, first 2 shown]
	v_pk_fma_f16 v43, v43, s17, v36 op_sel_hi:[1,0,1]
	v_pk_fma_f16 v47, v47, s17, v37 op_sel_hi:[1,0,1]
	v_pk_add_f16 v50, v29, v50
	v_pk_add_f16 v54, v28, v54
	s_waitcnt lgkmcnt(3)
	v_pk_fma_f16 v42, v42, v14, 0
	v_pk_fma_f16 v46, v46, v14, 0
	v_and_b32_e32 v45, 0xc000c0, v0
	v_pk_fma_f16 v51, v51, s17, v38 op_sel_hi:[1,0,1]
	v_pk_fma_f16 v55, v55, s17, v39 op_sel_hi:[1,0,1]
	;; [unrolled: 1-line block ×4, first 2 shown]
	v_pk_fma_f16 v50, v50, v14, 0
	v_pk_fma_f16 v14, v54, v14, 0
	;; [unrolled: 1-line block ×6, first 2 shown]
	s_waitcnt lgkmcnt(2)
	v_pk_fma_f16 v15, v44, v10, v42
	v_pk_fma_f16 v42, v48, v10, v43
	v_or_b32_e32 v43, 0x64006400, v45
	v_and_b32_e32 v49, 0xc000c0, v1
	v_pk_fma_f16 v43, v43, s19, v32 op_sel_hi:[1,0,1]
	v_pk_fma_f16 v15, v43, v11, v15
	v_or_b32_e32 v43, 0x64006400, v49
	v_pk_fma_f16 v43, v43, s19, v33 op_sel_hi:[1,0,1]
	v_and_b32_e32 v52, 0x300030, v2
	v_pk_fma_f16 v42, v43, v11, v42
	v_sub_f16_e32 v43, 0xd400, v34
	v_and_b32_e32 v53, 0xc000c0, v2
	v_mul_u32_u24_e32 v43, 0x10001, v43
	v_or_b32_e32 v44, 0x64006400, v52
	v_sub_f16_e32 v34, 0xcc00, v34
	v_pk_fma_f16 v44, v44, s18, v43 op_sel_hi:[1,0,1]
	v_mul_u32_u24_e32 v34, 0x10001, v34
	v_or_b32_e32 v45, 0x64006400, v53
	v_pk_fma_f16 v44, v44, v10, v46
	v_pk_fma_f16 v45, v45, s19, v34 op_sel_hi:[1,0,1]
	v_and_b32_e32 v56, 0x300030, v3
	v_pk_fma_f16 v44, v45, v11, v44
	v_sub_f16_e32 v45, 0xd400, v35
	v_mul_u32_u24_e32 v45, 0x10001, v45
	v_or_b32_e32 v46, 0x64006400, v56
	v_pk_fma_f16 v46, v46, s18, v45 op_sel_hi:[1,0,1]
	v_and_b32_e32 v57, 0xc000c0, v3
	v_pk_fma_f16 v10, v46, v10, v14
	v_sub_f16_e32 v14, 0xcc00, v35
	v_mul_u32_u24_e32 v14, 0x10001, v14
	v_or_b32_e32 v35, 0x64006400, v57
	v_lshrrev_b32_e32 v0, 8, v0
	v_lshrrev_b32_e32 v1, 8, v1
	v_pk_fma_f16 v35, v35, s19, v14 op_sel_hi:[1,0,1]
	v_pk_fma_f16 v10, v35, v11, v10
	v_and_b32_e32 v11, 0x30003, v0
	v_and_b32_e32 v35, 0x30003, v1
	v_or_b32_e32 v11, 0x64006400, v11
	v_or_b32_e32 v35, 0x64006400, v35
	v_pk_add_f16 v11, v31, v11
	v_and_b32_e32 v31, 0xc000c, v0
	v_pk_add_f16 v30, v30, v35
	v_and_b32_e32 v35, 0xc000c, v1
	v_lshrrev_b32_e32 v2, 8, v2
	v_lshrrev_b32_e32 v3, 8, v3
	v_or_b32_e32 v31, 0x64006400, v31
	v_or_b32_e32 v35, 0x64006400, v35
	v_pk_fma_f16 v31, v31, s17, v36 op_sel_hi:[1,0,1]
	v_pk_fma_f16 v35, v35, s17, v37 op_sel_hi:[1,0,1]
	v_and_b32_e32 v36, 0x30003, v2
	v_and_b32_e32 v37, 0x30003, v3
	v_or_b32_e32 v36, 0x64006400, v36
	v_or_b32_e32 v37, 0x64006400, v37
	v_pk_add_f16 v29, v29, v36
	v_and_b32_e32 v36, 0xc000c, v2
	v_pk_add_f16 v28, v28, v37
	v_and_b32_e32 v37, 0xc000c, v3
	v_or_b32_e32 v36, 0x64006400, v36
	v_or_b32_e32 v37, 0x64006400, v37
	v_pk_fma_f16 v36, v36, s17, v38 op_sel_hi:[1,0,1]
	v_pk_fma_f16 v37, v37, s17, v39 op_sel_hi:[1,0,1]
	s_waitcnt lgkmcnt(1)
	v_pk_fma_f16 v11, v11, v16, v15
	v_pk_fma_f16 v15, v30, v16, v42
	;; [unrolled: 1-line block ×4, first 2 shown]
	v_and_b32_e32 v16, 0x300030, v0
	v_pk_fma_f16 v11, v31, v17, v11
	v_pk_fma_f16 v15, v35, v17, v15
	;; [unrolled: 1-line block ×4, first 2 shown]
	v_or_b32_e32 v16, 0x64006400, v16
	v_and_b32_e32 v0, 0xc000c0, v0
	v_and_b32_e32 v17, 0x300030, v1
	v_pk_fma_f16 v16, v16, s18, v40 op_sel_hi:[1,0,1]
	v_or_b32_e32 v0, 0x64006400, v0
	v_or_b32_e32 v17, 0x64006400, v17
	v_and_b32_e32 v1, 0xc000c0, v1
	v_pk_fma_f16 v0, v0, s19, v32 op_sel_hi:[1,0,1]
	v_pk_fma_f16 v17, v17, s18, v41 op_sel_hi:[1,0,1]
	v_or_b32_e32 v1, 0x64006400, v1
	v_and_b32_e32 v28, 0x300030, v2
	s_waitcnt lgkmcnt(0)
	v_pk_fma_f16 v11, v16, v12, v11
	v_pk_fma_f16 v1, v1, s19, v33 op_sel_hi:[1,0,1]
	v_or_b32_e32 v28, 0x64006400, v28
	v_and_b32_e32 v2, 0xc000c0, v2
	v_and_b32_e32 v30, 0x300030, v3
	v_pk_fma_f16 v0, v0, v13, v11
	v_pk_fma_f16 v11, v17, v12, v15
	v_pk_fma_f16 v28, v28, s18, v43 op_sel_hi:[1,0,1]
	v_or_b32_e32 v2, 0x64006400, v2
	v_or_b32_e32 v30, 0x64006400, v30
	v_and_b32_e32 v3, 0xc000c0, v3
	v_pk_fma_f16 v1, v1, v13, v11
	v_pk_fma_f16 v2, v2, s19, v34 op_sel_hi:[1,0,1]
	v_pk_fma_f16 v30, v30, s18, v45 op_sel_hi:[1,0,1]
	v_or_b32_e32 v3, 0x64006400, v3
	v_pack_b32_f16 v11, v0, v1
	v_perm_b32 v0, v1, v0, s20
	v_pk_fma_f16 v1, v28, v12, v29
	v_pk_fma_f16 v3, v3, s19, v14 op_sel_hi:[1,0,1]
	v_pk_fma_f16 v1, v2, v13, v1
	v_pk_fma_f16 v2, v30, v12, v10
	v_pk_add_f16 v0, v11, v0
	v_pk_fma_f16 v2, v3, v13, v2
	v_lshrrev_b32_e32 v10, 16, v7
	v_add_f16_sdwa v1, v1, v1 dst_sel:DWORD dst_unused:UNUSED_PAD src0_sel:DWORD src1_sel:WORD_1
	v_add_f16_sdwa v2, v2, v2 dst_sel:DWORD dst_unused:UNUSED_PAD src0_sel:DWORD src1_sel:WORD_1
	v_pk_fma_f16 v19, v0, v6, v19
	v_mov_b32_e32 v0, s3
	v_fma_f16 v23, v1, v7, v23
	v_fma_f16 v20, v2, v10, v20
	v_addc_co_u32_e32 v9, vcc, v9, v0, vcc
	s_cbranch_scc1 .LBB15_11
.LBB15_8:                               ; =>This Inner Loop Header: Depth=1
	s_cmp_lg_u32 s22, s21
	s_cbranch_scc1 .LBB15_7
; %bb.9:                                ;   in Loop: Header=BB15_8 Depth=1
	s_add_i32 s6, s6, 1
	s_mul_i32 s1, s6, s0
	s_ashr_i32 s8, s1, 31
	s_lshr_b32 s8, s8, 28
	s_add_i32 s8, s1, s8
	s_ashr_i32 s8, s8, 4
	v_add_u32_e32 v0, s8, v18
	v_ashrrev_i32_e32 v1, 31, v0
	v_lshlrev_b64 v[0:1], 2, v[0:1]
	v_mov_b32_e32 v2, s11
	v_add_co_u32_e32 v0, vcc, s10, v0
	v_addc_co_u32_e32 v1, vcc, v2, v1, vcc
	global_load_dword v2, v[0:1], off
	v_add_u32_e32 v0, s1, v4
	v_ashrrev_i32_e32 v1, 31, v0
	v_lshlrev_b64 v[0:1], 1, v[0:1]
	v_mov_b32_e32 v3, s13
	v_add_co_u32_e32 v0, vcc, s12, v0
	v_addc_co_u32_e32 v1, vcc, v3, v1, vcc
	global_load_dwordx2 v[6:7], v[0:1], off
	s_add_i32 s21, s21, s5
	s_waitcnt vmcnt(1)
	v_lshrrev_b32_e32 v0, v22, v2
	v_bfe_u32 v24, v2, v22, 2
	v_bfe_u32 v27, v0, 2, 2
	;; [unrolled: 1-line block ×4, first 2 shown]
	s_branch .LBB15_7
.LBB15_10:
	v_mov_b32_e32 v5, 0
	v_mov_b32_e32 v19, 0
	v_mov_b32_e32 v6, 0
	s_branch .LBB15_12
.LBB15_11:
	v_and_b32_e32 v6, 0xffff, v23
	v_lshlrev_b32_e32 v5, 16, v20
.LBB15_12:
	s_mul_i32 s0, s0, s7
	v_add_u32_e32 v0, s0, v4
	v_ashrrev_i32_e32 v1, 31, v0
	v_lshlrev_b64 v[0:1], 1, v[0:1]
	v_mov_b32_e32 v2, s15
	v_add_co_u32_e32 v0, vcc, s14, v0
	v_addc_co_u32_e32 v1, vcc, v2, v1, vcc
	global_load_dword v3, v[0:1], off
	s_mov_b64 s[0:1], 0
.LBB15_13:                              ; =>This Inner Loop Header: Depth=1
	s_waitcnt vmcnt(0)
	v_pk_add_f16 v2, v19, v3
	global_atomic_cmpswap v2, v[0:1], v[2:3], off glc
	s_waitcnt vmcnt(0)
	v_cmp_eq_u32_e32 vcc, v3, v2
	s_or_b64 s[0:1], vcc, s[0:1]
	v_mov_b32_e32 v3, v2
	s_andn2_b64 exec, exec, s[0:1]
	s_cbranch_execnz .LBB15_13
; %bb.14:
	s_or_b64 exec, exec, s[0:1]
	global_load_dword v3, v[0:1], off offset:4
	v_or_b32_e32 v4, v5, v6
	s_mov_b64 s[0:1], 0
.LBB15_15:                              ; =>This Inner Loop Header: Depth=1
	s_waitcnt vmcnt(0)
	v_pk_add_f16 v2, v4, v3
	global_atomic_cmpswap v2, v[0:1], v[2:3], off offset:4 glc
	s_waitcnt vmcnt(0)
	v_cmp_eq_u32_e32 vcc, v3, v2
	s_or_b64 s[0:1], vcc, s[0:1]
	v_mov_b32_e32 v3, v2
	s_andn2_b64 exec, exec, s[0:1]
	s_cbranch_execnz .LBB15_15
.LBB15_16:
	s_endpgm
	.section	.rodata,"a",@progbits
	.p2align	6, 0x0
	.amdhsa_kernel _ZN4vllm4gptq33gemm_half_q_half_gptq_2bit_kernelILb1ELi1EEEvPK6__halfPKjS6_S4_PS2_iiiibPKi
		.amdhsa_group_segment_fixed_size 256
		.amdhsa_private_segment_fixed_size 0
		.amdhsa_kernarg_size 72
		.amdhsa_user_sgpr_count 6
		.amdhsa_user_sgpr_private_segment_buffer 1
		.amdhsa_user_sgpr_dispatch_ptr 0
		.amdhsa_user_sgpr_queue_ptr 0
		.amdhsa_user_sgpr_kernarg_segment_ptr 1
		.amdhsa_user_sgpr_dispatch_id 0
		.amdhsa_user_sgpr_flat_scratch_init 0
		.amdhsa_user_sgpr_private_segment_size 0
		.amdhsa_uses_dynamic_stack 0
		.amdhsa_system_sgpr_private_segment_wavefront_offset 0
		.amdhsa_system_sgpr_workgroup_id_x 1
		.amdhsa_system_sgpr_workgroup_id_y 1
		.amdhsa_system_sgpr_workgroup_id_z 1
		.amdhsa_system_sgpr_workgroup_info 0
		.amdhsa_system_vgpr_workitem_id 0
		.amdhsa_next_free_vgpr 58
		.amdhsa_next_free_sgpr 24
		.amdhsa_reserve_vcc 1
		.amdhsa_reserve_flat_scratch 0
		.amdhsa_float_round_mode_32 0
		.amdhsa_float_round_mode_16_64 0
		.amdhsa_float_denorm_mode_32 3
		.amdhsa_float_denorm_mode_16_64 3
		.amdhsa_dx10_clamp 1
		.amdhsa_ieee_mode 1
		.amdhsa_fp16_overflow 0
		.amdhsa_exception_fp_ieee_invalid_op 0
		.amdhsa_exception_fp_denorm_src 0
		.amdhsa_exception_fp_ieee_div_zero 0
		.amdhsa_exception_fp_ieee_overflow 0
		.amdhsa_exception_fp_ieee_underflow 0
		.amdhsa_exception_fp_ieee_inexact 0
		.amdhsa_exception_int_div_zero 0
	.end_amdhsa_kernel
	.section	.text._ZN4vllm4gptq33gemm_half_q_half_gptq_2bit_kernelILb1ELi1EEEvPK6__halfPKjS6_S4_PS2_iiiibPKi,"axG",@progbits,_ZN4vllm4gptq33gemm_half_q_half_gptq_2bit_kernelILb1ELi1EEEvPK6__halfPKjS6_S4_PS2_iiiibPKi,comdat
.Lfunc_end15:
	.size	_ZN4vllm4gptq33gemm_half_q_half_gptq_2bit_kernelILb1ELi1EEEvPK6__halfPKjS6_S4_PS2_iiiibPKi, .Lfunc_end15-_ZN4vllm4gptq33gemm_half_q_half_gptq_2bit_kernelILb1ELi1EEEvPK6__halfPKjS6_S4_PS2_iiiibPKi
                                        ; -- End function
	.set _ZN4vllm4gptq33gemm_half_q_half_gptq_2bit_kernelILb1ELi1EEEvPK6__halfPKjS6_S4_PS2_iiiibPKi.num_vgpr, 58
	.set _ZN4vllm4gptq33gemm_half_q_half_gptq_2bit_kernelILb1ELi1EEEvPK6__halfPKjS6_S4_PS2_iiiibPKi.num_agpr, 0
	.set _ZN4vllm4gptq33gemm_half_q_half_gptq_2bit_kernelILb1ELi1EEEvPK6__halfPKjS6_S4_PS2_iiiibPKi.numbered_sgpr, 24
	.set _ZN4vllm4gptq33gemm_half_q_half_gptq_2bit_kernelILb1ELi1EEEvPK6__halfPKjS6_S4_PS2_iiiibPKi.num_named_barrier, 0
	.set _ZN4vllm4gptq33gemm_half_q_half_gptq_2bit_kernelILb1ELi1EEEvPK6__halfPKjS6_S4_PS2_iiiibPKi.private_seg_size, 0
	.set _ZN4vllm4gptq33gemm_half_q_half_gptq_2bit_kernelILb1ELi1EEEvPK6__halfPKjS6_S4_PS2_iiiibPKi.uses_vcc, 1
	.set _ZN4vllm4gptq33gemm_half_q_half_gptq_2bit_kernelILb1ELi1EEEvPK6__halfPKjS6_S4_PS2_iiiibPKi.uses_flat_scratch, 0
	.set _ZN4vllm4gptq33gemm_half_q_half_gptq_2bit_kernelILb1ELi1EEEvPK6__halfPKjS6_S4_PS2_iiiibPKi.has_dyn_sized_stack, 0
	.set _ZN4vllm4gptq33gemm_half_q_half_gptq_2bit_kernelILb1ELi1EEEvPK6__halfPKjS6_S4_PS2_iiiibPKi.has_recursion, 0
	.set _ZN4vllm4gptq33gemm_half_q_half_gptq_2bit_kernelILb1ELi1EEEvPK6__halfPKjS6_S4_PS2_iiiibPKi.has_indirect_call, 0
	.section	.AMDGPU.csdata,"",@progbits
; Kernel info:
; codeLenInByte = 2548
; TotalNumSgprs: 28
; NumVgprs: 58
; ScratchSize: 0
; MemoryBound: 0
; FloatMode: 240
; IeeeMode: 1
; LDSByteSize: 256 bytes/workgroup (compile time only)
; SGPRBlocks: 3
; VGPRBlocks: 14
; NumSGPRsForWavesPerEU: 28
; NumVGPRsForWavesPerEU: 58
; Occupancy: 4
; WaveLimiterHint : 0
; COMPUTE_PGM_RSRC2:SCRATCH_EN: 0
; COMPUTE_PGM_RSRC2:USER_SGPR: 6
; COMPUTE_PGM_RSRC2:TRAP_HANDLER: 0
; COMPUTE_PGM_RSRC2:TGID_X_EN: 1
; COMPUTE_PGM_RSRC2:TGID_Y_EN: 1
; COMPUTE_PGM_RSRC2:TGID_Z_EN: 1
; COMPUTE_PGM_RSRC2:TIDIG_COMP_CNT: 0
	.section	.text._ZN4vllm4gptq33gemm_half_q_half_gptq_3bit_kernelILb1ELi1EEEvPK6__halfPKjS6_S4_PS2_iiiibPKi,"axG",@progbits,_ZN4vllm4gptq33gemm_half_q_half_gptq_3bit_kernelILb1ELi1EEEvPK6__halfPKjS6_S4_PS2_iiiibPKi,comdat
	.protected	_ZN4vllm4gptq33gemm_half_q_half_gptq_3bit_kernelILb1ELi1EEEvPK6__halfPKjS6_S4_PS2_iiiibPKi ; -- Begin function _ZN4vllm4gptq33gemm_half_q_half_gptq_3bit_kernelILb1ELi1EEEvPK6__halfPKjS6_S4_PS2_iiiibPKi
	.globl	_ZN4vllm4gptq33gemm_half_q_half_gptq_3bit_kernelILb1ELi1EEEvPK6__halfPKjS6_S4_PS2_iiiibPKi
	.p2align	8
	.type	_ZN4vllm4gptq33gemm_half_q_half_gptq_3bit_kernelILb1ELi1EEEvPK6__halfPKjS6_S4_PS2_iiiibPKi,@function
_ZN4vllm4gptq33gemm_half_q_half_gptq_3bit_kernelILb1ELi1EEEvPK6__halfPKjS6_S4_PS2_iiiibPKi: ; @_ZN4vllm4gptq33gemm_half_q_half_gptq_3bit_kernelILb1ELi1EEEvPK6__halfPKjS6_S4_PS2_iiiibPKi
; %bb.0:
	s_mov_b64 s[42:43], s[2:3]
	s_load_dwordx4 s[16:19], s[4:5], 0x2c
	s_mov_b64 s[40:41], s[0:1]
	s_add_u32 s40, s40, s9
	s_addc_u32 s41, s41, 0
	s_lshl_b32 s26, s8, 7
	s_add_i32 s0, s26, 0x80
	v_cvt_f64_u32_e32 v[1:2], s0
	s_waitcnt lgkmcnt(0)
	v_cvt_f64_i32_e32 v[3:4], s17
	s_load_dwordx8 s[8:15], s[4:5], 0x8
	v_min_f64 v[1:2], v[1:2], v[3:4]
	v_cvt_i32_f64_e32 v2, v[1:2]
	v_add_u32_e32 v1, s26, v0
	v_readfirstlane_b32 s27, v2
	v_cmp_lt_u32_e32 vcc, v1, v2
	s_and_saveexec_b64 s[0:1], vcc
	s_cbranch_execz .LBB16_4
; %bb.1:
	s_load_dwordx2 s[20:21], s[4:5], 0x40
	s_load_dwordx2 s[2:3], s[4:5], 0x0
	v_mov_b32_e32 v2, 0
	s_waitcnt lgkmcnt(0)
	s_cmp_eq_u64 s[20:21], 0
	s_cbranch_scc1 .LBB16_3
; %bb.2:
	v_lshlrev_b64 v[1:2], 2, v[1:2]
	v_mov_b32_e32 v3, s21
	v_add_co_u32_e32 v1, vcc, s20, v1
	v_addc_co_u32_e32 v2, vcc, v3, v2, vcc
	global_load_dword v1, v[1:2], off
	s_waitcnt vmcnt(0)
	v_ashrrev_i32_e32 v2, 31, v1
.LBB16_3:
	s_mul_i32 s4, s17, s7
	s_ashr_i32 s5, s4, 31
	s_lshl_b64 s[4:5], s[4:5], 1
	s_add_u32 s2, s2, s4
	v_lshlrev_b64 v[1:2], 1, v[1:2]
	s_addc_u32 s3, s3, s5
	v_mov_b32_e32 v3, s3
	v_add_co_u32_e32 v1, vcc, s2, v1
	v_addc_co_u32_e32 v2, vcc, v3, v2, vcc
	global_load_ushort v1, v[1:2], off
	v_lshlrev_b32_e32 v2, 1, v0
	s_waitcnt vmcnt(0)
	ds_write_b16 v2, v1
.LBB16_4:
	s_or_b64 exec, exec, s[0:1]
	v_lshlrev_b32_e32 v0, 2, v0
	v_lshl_add_u32 v2, s6, 9, v0
	v_mov_b32_e32 v1, v2
	buffer_store_dword v1, off, s[40:43], 0 offset:40 ; 4-byte Folded Spill
	s_nop 0
	buffer_store_dword v2, off, s[40:43], 0 offset:44 ; 4-byte Folded Spill
	v_cmp_gt_i32_e32 vcc, s16, v2
	s_and_saveexec_b64 s[0:1], vcc
	s_cbranch_execz .LBB16_48
; %bb.5:
	s_abs_i32 s0, s18
	v_cvt_f32_u32_e32 v1, s0
	s_sub_i32 s3, 0, s0
	s_abs_i32 s2, s17
	s_xor_b32 s1, s17, s18
	v_rcp_iflag_f32_e32 v1, v1
	s_ashr_i32 s1, s1, 31
	v_and_b32_e32 v2, 28, v0
	v_cmp_lt_u32_e32 vcc, 4, v2
	v_mul_f32_e32 v1, 0x4f7ffffe, v1
	v_cvt_u32_f32_e32 v1, v1
	s_waitcnt vmcnt(0) lgkmcnt(0)
	s_barrier
	v_readfirstlane_b32 s4, v1
	s_mul_i32 s3, s3, s4
	s_mul_hi_u32 s3, s4, s3
	s_add_i32 s4, s4, s3
	s_mul_hi_u32 s3, s2, s4
	s_mul_i32 s4, s3, s0
	s_sub_i32 s2, s2, s4
	s_add_i32 s5, s3, 1
	s_sub_i32 s4, s2, s0
	s_cmp_ge_u32 s2, s0
	s_cselect_b32 s3, s5, s3
	s_cselect_b32 s2, s4, s2
	s_add_i32 s4, s3, 1
	s_cmp_ge_u32 s2, s0
	s_cselect_b32 s0, s4, s3
	s_xor_b32 s0, s0, s1
	s_sub_i32 s6, s0, s1
	v_cvt_f32_u32_e32 v1, s6
	s_sub_i32 s0, 0, s6
                                        ; implicit-def: $vgpr3
	v_rcp_iflag_f32_e32 v1, v1
	v_mul_f32_e32 v1, 0x4f7ffffe, v1
	v_cvt_u32_f32_e32 v1, v1
	v_readfirstlane_b32 s1, v1
	s_mul_i32 s0, s0, s1
	s_mul_hi_u32 s0, s1, s0
	s_add_i32 s1, s1, s0
	s_mul_hi_u32 s0, s26, s1
	s_mul_i32 s1, s0, s6
	s_sub_i32 s1, s26, s1
	s_add_i32 s2, s0, 1
	s_sub_i32 s3, s1, s6
	s_cmp_ge_u32 s1, s6
	s_cselect_b32 s0, s2, s0
	s_cselect_b32 s1, s3, s1
	s_add_i32 s2, s0, 1
	s_cmp_ge_u32 s1, s6
	s_cselect_b32 s28, s2, s0
	s_mul_i32 s17, s28, s16
	s_and_saveexec_b64 s[0:1], vcc
	s_xor_b64 s[2:3], exec, s[0:1]
	s_cbranch_execz .LBB16_19
; %bb.6:
	v_cmp_ne_u32_e64 s[0:1], 8, v2
                                        ; implicit-def: $vgpr3
	s_and_saveexec_b64 s[4:5], s[0:1]
	s_xor_b64 s[4:5], exec, s[4:5]
	s_cbranch_execz .LBB16_16
; %bb.7:
	v_cmp_lt_u32_e64 s[0:1], 16, v2
                                        ; implicit-def: $vgpr3
	s_and_saveexec_b64 s[20:21], s[0:1]
	s_xor_b64 s[20:21], exec, s[20:21]
	s_cbranch_execz .LBB16_13
; %bb.8:
	buffer_load_dword v0, off, s[40:43], 0 offset:40 ; 4-byte Folded Reload
	buffer_load_dword v1, off, s[40:43], 0 offset:44 ; 4-byte Folded Reload
	s_ashr_i32 s0, s17, 31
	s_lshr_b32 s0, s0, 27
	s_add_i32 s0, s17, s0
	s_ashr_i32 s0, s0, 5
	v_mov_b32_e32 v3, s11
	s_waitcnt vmcnt(1)
	v_lshl_add_u32 v0, v0, 1, v0
	s_waitcnt vmcnt(0)
	v_ashrrev_i32_e32 v1, 31, v0
	v_lshrrev_b32_e32 v1, 27, v1
	v_add_u32_e32 v0, v0, v1
	v_ashrrev_i32_e32 v0, 5, v0
	v_mad_u64_u32 v[0:1], s[0:1], s0, 3, v[0:1]
	v_ashrrev_i32_e32 v1, 31, v0
	v_lshlrev_b64 v[0:1], 2, v[0:1]
	v_add_co_u32_e64 v0, s[0:1], s10, v0
	v_addc_co_u32_e64 v1, s[0:1], v3, v1, s[0:1]
	global_load_dword v4, v[0:1], off
	v_cmp_ne_u32_e64 s[0:1], 20, v2
                                        ; implicit-def: $vgpr3
	s_and_saveexec_b64 s[22:23], s[0:1]
	s_xor_b64 s[0:1], exec, s[22:23]
	s_cbranch_execz .LBB16_10
; %bb.9:
	v_not_b32_e32 v0, 63
	v_mad_u32_u24 v0, v2, 3, v0
	s_waitcnt vmcnt(0)
	v_lshrrev_b32_e32 v3, v0, v4
                                        ; implicit-def: $vgpr0_vgpr1
                                        ; implicit-def: $vgpr4
.LBB16_10:
	s_andn2_saveexec_b64 s[0:1], s[0:1]
	s_cbranch_execz .LBB16_12
; %bb.11:
	global_load_dword v0, v[0:1], off offset:4
	s_waitcnt vmcnt(0)
	v_alignbit_b32 v0, v0, v4, 28
	v_and_b32_e32 v3, 0xfff, v0
.LBB16_12:
	s_or_b64 exec, exec, s[0:1]
.LBB16_13:
	s_andn2_saveexec_b64 s[20:21], s[20:21]
	s_cbranch_execz .LBB16_15
; %bb.14:
	buffer_load_dword v0, off, s[40:43], 0 offset:40 ; 4-byte Folded Reload
	buffer_load_dword v1, off, s[40:43], 0 offset:44 ; 4-byte Folded Reload
	s_ashr_i32 s0, s17, 31
	s_lshr_b32 s0, s0, 27
	s_add_i32 s0, s17, s0
	s_ashr_i32 s0, s0, 5
	v_mov_b32_e32 v3, s11
	s_waitcnt vmcnt(1)
	v_lshl_add_u32 v0, v0, 1, v0
	s_waitcnt vmcnt(0)
	v_ashrrev_i32_e32 v1, 31, v0
	v_lshrrev_b32_e32 v1, 27, v1
	v_add_u32_e32 v0, v0, v1
	v_ashrrev_i32_e32 v0, 5, v0
	v_mad_u64_u32 v[0:1], s[0:1], s0, 3, v[0:1]
	v_ashrrev_i32_e32 v1, 31, v0
	v_lshlrev_b64 v[0:1], 2, v[0:1]
	v_add_co_u32_e64 v0, s[0:1], s10, v0
	v_addc_co_u32_e64 v1, s[0:1], v3, v1, s[0:1]
	global_load_dword v0, v[0:1], off
	v_not_b32_e32 v1, 31
	v_mad_u32_u24 v1, v2, 3, v1
	s_waitcnt vmcnt(0)
	v_lshrrev_b32_e32 v3, v1, v0
.LBB16_15:
	s_or_b64 exec, exec, s[20:21]
.LBB16_16:
	s_andn2_saveexec_b64 s[4:5], s[4:5]
	s_cbranch_execz .LBB16_18
; %bb.17:
	buffer_load_dword v0, off, s[40:43], 0 offset:40 ; 4-byte Folded Reload
	buffer_load_dword v1, off, s[40:43], 0 offset:44 ; 4-byte Folded Reload
	s_ashr_i32 s0, s17, 31
	s_lshr_b32 s0, s0, 27
	s_add_i32 s0, s17, s0
	s_ashr_i32 s0, s0, 5
	v_mov_b32_e32 v3, s11
	s_waitcnt vmcnt(1)
	v_lshl_add_u32 v0, v0, 1, v0
	s_waitcnt vmcnt(0)
	v_ashrrev_i32_e32 v1, 31, v0
	v_lshrrev_b32_e32 v1, 27, v1
	v_add_u32_e32 v0, v0, v1
	v_ashrrev_i32_e32 v0, 5, v0
	v_mad_u64_u32 v[0:1], s[0:1], s0, 3, v[0:1]
	v_ashrrev_i32_e32 v1, 31, v0
	v_lshlrev_b64 v[0:1], 2, v[0:1]
	v_add_co_u32_e64 v0, s[0:1], s10, v0
	v_addc_co_u32_e64 v1, s[0:1], v3, v1, s[0:1]
	global_load_dwordx2 v[0:1], v[0:1], off
	s_mov_b32 s0, 0x2010007
	s_waitcnt vmcnt(0)
	v_perm_b32 v0, v0, v1, s0
	v_and_b32_e32 v3, 0xfff, v0
.LBB16_18:
	s_or_b64 exec, exec, s[4:5]
.LBB16_19:
	s_or_saveexec_b64 s[2:3], s[2:3]
	buffer_load_dword v0, off, s[40:43], 0 offset:40 ; 4-byte Folded Reload
	buffer_load_dword v1, off, s[40:43], 0 offset:44 ; 4-byte Folded Reload
	s_waitcnt vmcnt(2)
	v_mul_u32_u24_e32 v4, 3, v2
	buffer_store_dword v4, off, s[40:43], 0 offset:56 ; 4-byte Folded Spill
	s_waitcnt vmcnt(2)
	v_lshl_add_u32 v0, v0, 1, v0
	s_waitcnt vmcnt(1)
	v_ashrrev_i32_e32 v1, 31, v0
	s_xor_b64 exec, exec, s[2:3]
	s_cbranch_execz .LBB16_21
; %bb.20:
	s_ashr_i32 s0, s17, 31
	s_lshr_b32 s0, s0, 27
	v_lshrrev_b32_e32 v3, 27, v1
	s_add_i32 s0, s17, s0
	v_add_u32_e32 v3, v0, v3
	s_ashr_i32 s0, s0, 5
	v_ashrrev_i32_e32 v3, 5, v3
	v_mad_u64_u32 v[3:4], s[0:1], s0, 3, v[3:4]
	v_mov_b32_e32 v5, s11
	v_ashrrev_i32_e32 v4, 31, v3
	v_lshlrev_b64 v[3:4], 2, v[3:4]
	v_add_co_u32_e64 v3, s[0:1], s10, v3
	v_addc_co_u32_e64 v4, s[0:1], v5, v4, s[0:1]
	global_load_dword v3, v[3:4], off
	v_mul_u32_u24_e32 v4, 3, v2
	s_waitcnt vmcnt(0)
	v_lshrrev_b32_e32 v3, v4, v3
.LBB16_21:
	s_or_b64 exec, exec, s[2:3]
	s_cmp_ge_i32 s26, s27
	s_cbranch_scc1 .LBB16_42
; %bb.22:
	buffer_load_dword v4, off, s[40:43], 0 offset:40 ; 4-byte Folded Reload
	buffer_load_dword v5, off, s[40:43], 0 offset:44 ; 4-byte Folded Reload
	v_mov_b32_e32 v6, s13
	v_lshrrev_b32_e32 v1, 27, v1
	v_add_u32_e32 v0, v0, v1
	v_ashrrev_i32_e32 v0, 5, v0
	s_add_i32 s29, s6, s26
	v_cmp_lt_u32_e64 s[2:3], 16, v2
	v_cmp_ne_u32_e64 s[4:5], 20, v2
	s_mul_hi_i32 s30, s16, 12
	s_mul_i32 s31, s16, 12
	v_mov_b32_e32 v15, 0
	s_mov_b32 s33, 0x2010007
	s_mov_b32 s34, 0x10001
	;; [unrolled: 1-line block ×3, first 2 shown]
	s_movk_i32 s36, 0x3000
	s_movk_i32 s37, 0x2400
	s_mov_b32 s38, 0x7060302
	v_mov_b32_e32 v17, 0
	s_waitcnt vmcnt(1)
	v_mov_b32_e32 v7, v4
	v_add_u32_e32 v4, s17, v7
	s_waitcnt vmcnt(0)
	v_ashrrev_i32_e32 v5, 31, v4
	v_lshlrev_b64 v[4:5], 1, v[4:5]
	v_ashrrev_i32_e32 v8, 31, v7
	v_add_co_u32_e64 v4, s[0:1], s12, v4
	v_addc_co_u32_e64 v5, s[0:1], v6, v5, s[0:1]
	global_load_dwordx2 v[26:27], v[4:5], off
	v_bfe_u32 v4, v3, 9, 3
	buffer_store_dword v4, off, s[40:43], 0 offset:24 ; 4-byte Folded Spill
	v_bfe_u32 v4, v3, 6, 3
	buffer_store_dword v4, off, s[40:43], 0 offset:28 ; 4-byte Folded Spill
	v_bfe_u32 v4, v3, 3, 3
	v_and_b32_e32 v3, 7, v3
	buffer_store_dword v4, off, s[40:43], 0 offset:32 ; 4-byte Folded Spill
	buffer_store_dword v3, off, s[40:43], 0 offset:36 ; 4-byte Folded Spill
	;; [unrolled: 1-line block ×3, first 2 shown]
	s_nop 0
	buffer_store_dword v1, off, s[40:43], 0 offset:52 ; 4-byte Folded Spill
	s_lshr_b32 s0, s26, 5
	s_mul_i32 s0, s0, s16
	v_not_b32_e32 v0, 63
	s_mul_i32 s20, s0, 3
	v_mad_u32_u24 v0, v2, 3, v0
	s_ashr_i32 s21, s20, 31
	buffer_store_dword v0, off, s[40:43], 0 offset:64 ; 4-byte Folded Spill
	v_not_b32_e32 v0, 31
	s_bitcmp1_b32 s19, 0
	v_mad_u32_u24 v0, v2, 3, v0
	s_cselect_b64 s[0:1], -1, 0
	buffer_store_dword v0, off, s[40:43], 0 offset:60 ; 4-byte Folded Spill
	v_mov_b32_e32 v0, v7
	s_xor_b64 s[0:1], s[0:1], -1
	s_ashr_i32 s17, s16, 31
	s_lshl_b64 s[18:19], s[20:21], 2
	s_add_u32 s8, s8, s18
	s_addc_u32 s9, s9, s19
	v_cndmask_b32_e64 v12, 0, 1, s[0:1]
	v_cmp_ne_u32_e64 s[0:1], 8, v2
	v_mov_b32_e32 v2, s9
	s_lshl_b64 s[18:19], s[16:17], 2
	s_mov_b32 s17, 0
	v_mov_b32_e32 v5, 0
	buffer_store_dword v0, off, s[40:43], 0 offset:40 ; 4-byte Folded Spill
	s_nop 0
	buffer_store_dword v1, off, s[40:43], 0 offset:44 ; 4-byte Folded Spill
	v_lshlrev_b64 v[0:1], 2, v[7:8]
	v_add_co_u32_e64 v7, s[8:9], s8, v0
	v_addc_co_u32_e64 v8, s[8:9], v2, v1, s[8:9]
	s_branch .LBB16_25
.LBB16_23:                              ;   in Loop: Header=BB16_25 Depth=1
	s_or_b64 exec, exec, s[8:9]
	buffer_load_dword v0, off, s[40:43], 0 offset:40 ; 4-byte Folded Reload
	buffer_load_dword v1, off, s[40:43], 0 offset:44 ; 4-byte Folded Reload
	s_waitcnt vmcnt(2)
	v_mov_b32_e32 v3, s13
	s_add_i32 s29, s29, s6
	s_waitcnt vmcnt(1)
	v_add_u32_e32 v0, s39, v0
	s_waitcnt vmcnt(0)
	v_ashrrev_i32_e32 v1, 31, v0
	v_lshlrev_b64 v[0:1], 1, v[0:1]
	v_add_co_u32_e64 v0, s[8:9], s12, v0
	v_addc_co_u32_e64 v1, s[8:9], v3, v1, s[8:9]
	global_load_dwordx2 v[26:27], v[0:1], off
	v_and_b32_e32 v0, 7, v2
	buffer_store_dword v0, off, s[40:43], 0 offset:36 ; 4-byte Folded Spill
	v_bfe_u32 v0, v2, 3, 3
	buffer_store_dword v0, off, s[40:43], 0 offset:32 ; 4-byte Folded Spill
	v_bfe_u32 v0, v2, 6, 3
	;; [unrolled: 2-line block ×3, first 2 shown]
	buffer_store_dword v0, off, s[40:43], 0 offset:24 ; 4-byte Folded Spill
.LBB16_24:                              ;   in Loop: Header=BB16_25 Depth=1
	global_load_dwordx4 v[0:3], v[7:8], off
	v_mov_b32_e32 v4, s19
	v_add_co_u32_e64 v13, s[8:9], s18, v7
	v_addc_co_u32_e64 v14, s[8:9], v8, v4, s[8:9]
	buffer_load_dword v10, off, s[40:43], 0 offset:36 ; 4-byte Folded Reload
	global_load_dwordx4 v[18:21], v[13:14], off
	v_add_co_u32_e64 v13, s[8:9], s18, v13
	v_addc_co_u32_e64 v14, s[8:9], v14, v4, s[8:9]
	global_load_dwordx4 v[35:38], v[13:14], off
	v_mov_b32_e32 v25, 0xe400e400
	v_mov_b32_e32 v51, s17
	s_add_i32 s17, s17, 64
	s_add_i32 s26, s26, 32
	v_add_co_u32_e64 v7, s[8:9], s31, v7
	s_cmp_ge_i32 s26, s27
	s_waitcnt vmcnt(3)
	v_and_b32_e32 v4, 0x70007, v0
	v_and_b32_e32 v9, 0x380038, v0
	v_lshrrev_b32_e32 v6, 6, v0
	v_lshrrev_b32_e32 v0, 15, v0
	buffer_store_dword v0, off, s[40:43], 0 offset:12 ; 4-byte Folded Spill
	v_lshrrev_b32_e32 v0, 15, v1
	buffer_store_dword v0, off, s[40:43], 0 offset:8 ; 4-byte Folded Spill
	;; [unrolled: 2-line block ×3, first 2 shown]
	v_lshrrev_b32_e32 v0, 15, v3
	s_waitcnt vmcnt(5)
	v_add_u32_e32 v10, v10, v12
	v_and_b32_e32 v46, 0x70007, v2
	v_and_b32_e32 v22, 0x380038, v2
	v_lshrrev_b32_e32 v63, 6, v2
	buffer_store_dword v0, off, s[40:43], 0 ; 4-byte Folded Spill
	s_waitcnt vmcnt(5)
	v_and_b32_e32 v61, 0x70007, v18
	v_and_b32_e32 v0, 0x380038, v18
	v_lshrrev_b32_e32 v56, 6, v18
	v_lshrrev_b32_e32 v2, 14, v18
	v_cvt_f32_u32_e32 v18, v10
	s_waitcnt vmcnt(4)
	v_and_b32_e32 v50, 0x70007, v36
	v_and_b32_e32 v47, 0x380038, v36
	v_lshrrev_b32_e32 v31, 6, v36
	v_cvt_f16_f32_e32 v60, v18
	v_lshrrev_b32_e32 v32, 13, v36
	v_mad_u32_u24 v36, v10, s34, v25
	v_or_b32_e32 v9, 0x64006400, v9
	v_sub_f16_e32 v10, 0xd800, v60
	v_mul_u32_u24_e32 v42, 0x10001, v10
	v_pk_fma_f16 v18, v9, s36, v42 op_sel_hi:[1,0,1]
	ds_read2_b32 v[9:10], v51 offset1:1
	v_or_b32_e32 v4, 0x64006400, v4
	v_pk_add_f16 v4, v36, v4
	v_and_b32_e32 v16, 0x70007, v1
	v_and_b32_e32 v41, 0x380038, v1
	v_lshrrev_b32_e32 v62, 6, v1
	v_and_b32_e32 v23, 0x70007, v3
	v_and_b32_e32 v24, 0x380038, v3
	v_lshrrev_b32_e32 v1, 6, v3
	v_lshrrev_b32_e32 v3, 14, v19
	s_waitcnt lgkmcnt(0)
	v_pk_fma_f16 v4, v4, v9, 0
	buffer_store_dword v3, off, s[40:43], 0 offset:20 ; 4-byte Folded Spill
	v_and_b32_e32 v14, 0x70007, v20
	v_and_b32_e32 v58, 0x380038, v20
	v_lshrrev_b32_e32 v53, 6, v20
	v_lshrrev_b32_e32 v3, 14, v20
	v_pk_fma_f16 v20, v18, v10, v4
	buffer_load_dword v4, off, s[40:43], 0 offset:32 ; 4-byte Folded Reload
	v_and_b32_e32 v48, 0x70007, v37
	v_and_b32_e32 v45, 0x380038, v37
	v_lshrrev_b32_e32 v29, 6, v37
	v_lshrrev_b32_e32 v30, 13, v37
	v_or_b32_e32 v16, 0x64006400, v16
	buffer_store_dword v3, off, s[40:43], 0 offset:16 ; 4-byte Folded Spill
	v_and_b32_e32 v13, 0x70007, v21
	v_and_b32_e32 v57, 0x380038, v21
	v_lshrrev_b32_e32 v52, 6, v21
	v_lshrrev_b32_e32 v3, 14, v21
	v_and_b32_e32 v40, 0x70007, v38
	v_and_b32_e32 v39, 0x380038, v38
	v_lshrrev_b32_e32 v28, 6, v38
	v_lshrrev_b32_e32 v34, 13, v38
	v_and_b32_e32 v11, 0x70007, v19
	v_and_b32_e32 v59, 0x380038, v19
	v_lshrrev_b32_e32 v55, 6, v19
	v_or_b32_e32 v19, 0x64006400, v22
	v_or_b32_e32 v11, 0x64006400, v11
	;; [unrolled: 1-line block ×4, first 2 shown]
	v_and_b32_e32 v54, 0x70007, v35
	v_and_b32_e32 v49, 0x380038, v35
	v_lshrrev_b32_e32 v33, 6, v35
	v_lshrrev_b32_e32 v35, 13, v35
	v_and_b32_e32 v3, 0x20002, v3
	s_waitcnt vmcnt(1)
	v_add_u32_e32 v18, v4, v12
	v_cvt_f32_u32_e32 v4, v18
	v_mad_u32_u24 v37, v18, s34, v25
	v_pk_add_f16 v16, v37, v16
	v_pk_fma_f16 v16, v16, v9, 0
	v_cvt_f16_f32_e32 v4, v4
	v_pk_add_f16 v11, v37, v11
	v_sub_f16_e32 v18, 0xd800, v4
	v_mul_u32_u24_e32 v43, 0x10001, v18
	v_or_b32_e32 v18, 0x64006400, v41
	v_pk_fma_f16 v18, v18, s36, v43 op_sel_hi:[1,0,1]
	v_pk_fma_f16 v21, v18, v10, v16
	buffer_load_dword v16, off, s[40:43], 0 offset:28 ; 4-byte Folded Reload
	v_sub_f16_e32 v4, 0xcc00, v4
	s_waitcnt vmcnt(0)
	v_add_u32_e32 v16, v16, v12
	v_cvt_f32_u32_e32 v18, v16
	v_mad_u32_u24 v38, v16, s34, v25
	v_pk_add_f16 v14, v38, v14
	v_cvt_f16_f32_e32 v18, v18
	v_sub_f16_e32 v16, 0xd800, v18
	v_mul_u32_u24_e32 v44, 0x10001, v16
	v_or_b32_e32 v16, 0x64006400, v46
	v_pk_add_f16 v16, v38, v16
	v_pk_fma_f16 v19, v19, s36, v44 op_sel_hi:[1,0,1]
	v_pk_fma_f16 v16, v16, v9, 0
	v_pk_fma_f16 v16, v19, v10, v16
	buffer_load_dword v19, off, s[40:43], 0 offset:24 ; 4-byte Folded Reload
	s_waitcnt vmcnt(0)
	v_add_u32_e32 v22, v19, v12
	v_cvt_f32_u32_e32 v19, v22
	v_mad_u32_u24 v41, v22, s34, v25
	v_cvt_f16_f32_e32 v19, v19
	v_sub_f16_e32 v22, 0xd800, v19
	v_mul_u32_u24_e32 v46, 0x10001, v22
	v_or_b32_e32 v22, 0x64006400, v23
	v_or_b32_e32 v23, 0x64006400, v24
	v_pk_add_f16 v22, v41, v22
	v_pk_fma_f16 v23, v23, s36, v46 op_sel_hi:[1,0,1]
	v_pk_fma_f16 v9, v22, v9, 0
	v_pk_fma_f16 v22, v23, v10, v9
	v_and_b32_e32 v9, 0x70007, v6
	v_or_b32_e32 v9, 0x64006400, v9
	v_pk_add_f16 v23, v36, v9
	ds_read2_b32 v[9:10], v51 offset0:2 offset1:3
	s_waitcnt lgkmcnt(0)
	v_pk_fma_f16 v20, v23, v9, v20
	v_and_b32_e32 v23, 0x380038, v6
	v_or_b32_e32 v23, 0x64006400, v23
	v_pk_fma_f16 v23, v23, s36, v42 op_sel_hi:[1,0,1]
	v_pk_fma_f16 v20, v23, v10, v20
	v_and_b32_e32 v23, 0x70007, v62
	v_or_b32_e32 v23, 0x64006400, v23
	v_pk_add_f16 v23, v37, v23
	v_pk_fma_f16 v21, v23, v9, v21
	v_and_b32_e32 v23, 0x380038, v62
	v_or_b32_e32 v23, 0x64006400, v23
	v_pk_fma_f16 v23, v23, s36, v43 op_sel_hi:[1,0,1]
	v_pk_fma_f16 v21, v23, v10, v21
	v_and_b32_e32 v23, 0x70007, v63
	v_or_b32_e32 v23, 0x64006400, v23
	v_pk_add_f16 v23, v38, v23
	;; [unrolled: 8-line block ×3, first 2 shown]
	v_pk_fma_f16 v9, v23, v9, v22
	v_and_b32_e32 v22, 0x380038, v1
	v_or_b32_e32 v22, 0x64006400, v22
	v_pk_fma_f16 v22, v22, s36, v46 op_sel_hi:[1,0,1]
	v_pk_fma_f16 v22, v22, v10, v9
	v_sub_f16_e32 v9, 0xcc00, v60
	v_mul_u32_u24_e32 v60, 0x10001, v9
	ds_read2_b32 v[9:10], v51 offset0:4 offset1:5
	v_and_b32_e32 v6, 0x1c001c0, v6
	v_or_b32_e32 v6, 0x64006400, v6
	v_pk_fma_f16 v6, v6, s37, v60 op_sel_hi:[1,0,1]
	v_and_b32_e32 v1, 0x1c001c0, v1
	s_waitcnt lgkmcnt(0)
	v_pk_fma_f16 v6, v6, v9, v20
	v_or_b32_e32 v20, 0x64006400, v61
	v_mul_u32_u24_e32 v61, 0x10001, v4
	v_and_b32_e32 v4, 0x1c001c0, v62
	v_or_b32_e32 v4, 0x64006400, v4
	v_pk_fma_f16 v4, v4, s37, v61 op_sel_hi:[1,0,1]
	v_pk_fma_f16 v4, v4, v9, v21
	v_pk_fma_f16 v4, v11, v10, v4
	v_sub_f16_e32 v11, 0xcc00, v18
	v_mul_u32_u24_e32 v62, 0x10001, v11
	v_and_b32_e32 v11, 0x1c001c0, v63
	v_or_b32_e32 v11, 0x64006400, v11
	v_pk_fma_f16 v11, v11, s37, v62 op_sel_hi:[1,0,1]
	v_pk_fma_f16 v11, v11, v9, v16
	v_pk_fma_f16 v11, v14, v10, v11
	v_sub_f16_e32 v14, 0xcc00, v19
	v_mul_u32_u24_e32 v63, 0x10001, v14
	v_or_b32_e32 v1, 0x64006400, v1
	v_pk_fma_f16 v1, v1, s37, v63 op_sel_hi:[1,0,1]
	v_pk_fma_f16 v1, v1, v9, v22
	v_or_b32_e32 v9, 0x64006400, v13
	v_pk_add_f16 v9, v41, v9
	v_pk_fma_f16 v13, v9, v10, v1
	v_pk_fma_f16 v14, v0, s36, v42 op_sel_hi:[1,0,1]
	ds_read2_b32 v[0:1], v51 offset0:6 offset1:7
	v_pk_add_f16 v20, v36, v20
	v_and_b32_e32 v9, 0x70007, v56
	v_pk_fma_f16 v6, v20, v10, v6
	v_or_b32_e32 v9, 0x64006400, v9
	s_waitcnt lgkmcnt(0)
	v_pk_fma_f16 v6, v14, v0, v6
	v_pk_add_f16 v9, v36, v9
	v_pk_fma_f16 v6, v9, v1, v6
	v_or_b32_e32 v9, 0x64006400, v59
	v_pk_fma_f16 v9, v9, s36, v43 op_sel_hi:[1,0,1]
	v_pk_fma_f16 v4, v9, v0, v4
	v_and_b32_e32 v9, 0x70007, v55
	v_or_b32_e32 v9, 0x64006400, v9
	v_pk_add_f16 v9, v37, v9
	v_pk_fma_f16 v4, v9, v1, v4
	v_or_b32_e32 v9, 0x64006400, v58
	v_and_b32_e32 v10, 0x70007, v53
	v_pk_fma_f16 v9, v9, s36, v44 op_sel_hi:[1,0,1]
	v_or_b32_e32 v10, 0x64006400, v10
	v_pk_fma_f16 v9, v9, v0, v11
	v_pk_add_f16 v10, v38, v10
	v_pk_fma_f16 v9, v10, v1, v9
	v_or_b32_e32 v10, 0x64006400, v57
	v_pk_fma_f16 v10, v10, s36, v46 op_sel_hi:[1,0,1]
	v_pk_fma_f16 v0, v10, v0, v13
	v_and_b32_e32 v10, 0x70007, v52
	v_or_b32_e32 v10, 0x64006400, v10
	v_pk_add_f16 v10, v41, v10
	v_pk_fma_f16 v10, v10, v1, v0
	v_and_b32_e32 v0, 0x380038, v56
	v_or_b32_e32 v0, 0x64006400, v0
	v_pk_fma_f16 v11, v0, s36, v42 op_sel_hi:[1,0,1]
	ds_read2_b32 v[0:1], v51 offset0:8 offset1:9
	ds_read2_b32 v[13:14], v51 offset0:12 offset1:13
	v_or_b32_e32 v18, 0x64006400, v40
	v_pk_add_f16 v18, v41, v18
	v_and_b32_e32 v20, 0x70007, v33
	s_waitcnt lgkmcnt(1)
	v_pk_fma_f16 v6, v11, v0, v6
	v_and_b32_e32 v11, 0x1c001c0, v56
	v_or_b32_e32 v11, 0x64006400, v11
	v_pk_fma_f16 v11, v11, s37, v60 op_sel_hi:[1,0,1]
	v_pk_fma_f16 v6, v11, v1, v6
	v_and_b32_e32 v11, 0x380038, v55
	v_or_b32_e32 v11, 0x64006400, v11
	v_pk_fma_f16 v11, v11, s36, v43 op_sel_hi:[1,0,1]
	;; [unrolled: 4-line block ×7, first 2 shown]
	v_pk_fma_f16 v16, v9, v1, v0
	ds_read2_b32 v[9:10], v51 offset0:10 offset1:11
	v_or_b32_e32 v0, 0x64006400, v54
	v_pk_add_f16 v0, v36, v0
	v_or_b32_e32 v1, 0x64006400, v49
	v_pk_fma_f16 v1, v1, s36, v42 op_sel_hi:[1,0,1]
	s_waitcnt lgkmcnt(0)
	v_pk_fma_f16 v0, v0, v9, v6
	v_pk_fma_f16 v6, v1, v10, v0
	v_or_b32_e32 v0, 0x64006400, v50
	v_pk_add_f16 v0, v37, v0
	v_or_b32_e32 v1, 0x64006400, v47
	v_pk_fma_f16 v0, v0, v9, v4
	v_pk_fma_f16 v1, v1, s36, v43 op_sel_hi:[1,0,1]
	v_pk_fma_f16 v4, v1, v10, v0
	v_or_b32_e32 v0, 0x64006400, v48
	v_pk_add_f16 v0, v38, v0
	v_pk_fma_f16 v0, v0, v9, v11
	v_or_b32_e32 v1, 0x64006400, v45
	v_pk_fma_f16 v9, v18, v9, v16
	v_or_b32_e32 v16, 0x64006400, v39
	v_pk_fma_f16 v1, v1, s36, v44 op_sel_hi:[1,0,1]
	v_pk_fma_f16 v16, v16, s36, v46 op_sel_hi:[1,0,1]
	v_pk_fma_f16 v11, v1, v10, v0
	v_pk_fma_f16 v9, v16, v10, v9
	v_and_b32_e32 v10, 0x380038, v33
	v_or_b32_e32 v20, 0x64006400, v20
	v_or_b32_e32 v10, 0x64006400, v10
	v_pk_add_f16 v20, v36, v20
	v_pk_fma_f16 v10, v10, s36, v42 op_sel_hi:[1,0,1]
	v_pk_fma_f16 v6, v20, v13, v6
	v_pk_fma_f16 v6, v10, v14, v6
	v_and_b32_e32 v10, 0x70007, v31
	v_or_b32_e32 v10, 0x64006400, v10
	v_pk_add_f16 v10, v37, v10
	v_pk_fma_f16 v4, v10, v13, v4
	v_and_b32_e32 v10, 0x70007, v29
	v_or_b32_e32 v10, 0x64006400, v10
	v_pk_add_f16 v10, v38, v10
	;; [unrolled: 4-line block ×3, first 2 shown]
	v_pk_fma_f16 v9, v11, v13, v9
	v_and_b32_e32 v11, 0x20002, v2
	buffer_load_dword v2, off, s[40:43], 0 offset:12 ; 4-byte Folded Reload
	v_and_b32_e32 v16, 0x380038, v31
	v_and_b32_e32 v18, 0x380038, v29
	v_and_b32_e32 v19, 0x380038, v28
	v_or_b32_e32 v16, 0x64006400, v16
	v_or_b32_e32 v18, 0x64006400, v18
	;; [unrolled: 1-line block ×3, first 2 shown]
	v_pk_fma_f16 v16, v16, s36, v43 op_sel_hi:[1,0,1]
	v_pk_fma_f16 v18, v18, s36, v44 op_sel_hi:[1,0,1]
	;; [unrolled: 1-line block ×3, first 2 shown]
	v_pk_fma_f16 v4, v16, v14, v4
	v_pk_fma_f16 v10, v18, v14, v10
	;; [unrolled: 1-line block ×3, first 2 shown]
	buffer_load_dword v16, off, s[40:43], 0 offset:16 ; 4-byte Folded Reload
	buffer_load_dword v14, off, s[40:43], 0 offset:8 ; 4-byte Folded Reload
	buffer_load_dword v18, off, s[40:43], 0 offset:4 ; 4-byte Folded Reload
	buffer_load_dword v19, off, s[40:43], 0 ; 4-byte Folded Reload
	ds_read2_b32 v[0:1], v51 offset0:14 offset1:15
	v_and_b32_e32 v13, 0x40004, v35
	s_waitcnt vmcnt(4)
	v_and_or_b32 v11, v2, s34, v11
	buffer_load_dword v2, off, s[40:43], 0 offset:20 ; 4-byte Folded Reload
	v_or3_b32 v11, v11, v13, s35
	v_and_b32_e32 v13, 0x1c001c0, v33
	v_or_b32_e32 v13, 0x64006400, v13
	v_pk_fma_f16 v13, v13, s37, v60 op_sel_hi:[1,0,1]
	v_pk_add_f16 v11, v36, v11
	s_waitcnt lgkmcnt(0)
	v_pk_fma_f16 v6, v13, v0, v6
	v_pk_fma_f16 v6, v11, v1, v6
	s_waitcnt vmcnt(4)
	v_and_b32_e32 v16, 0x20002, v16
	s_waitcnt vmcnt(2)
	v_and_or_b32 v16, v18, s34, v16
	v_and_b32_e32 v18, 0x40004, v30
	s_waitcnt vmcnt(1)
	v_and_or_b32 v3, v19, s34, v3
	v_and_b32_e32 v19, 0x40004, v34
	v_or3_b32 v16, v16, v18, s35
	v_and_b32_e32 v18, 0x1c001c0, v29
	v_or3_b32 v3, v3, v19, s35
	v_and_b32_e32 v19, 0x1c001c0, v28
	v_or_b32_e32 v18, 0x64006400, v18
	v_or_b32_e32 v19, 0x64006400, v19
	v_pk_fma_f16 v18, v18, s37, v62 op_sel_hi:[1,0,1]
	v_pk_fma_f16 v19, v19, s37, v63 op_sel_hi:[1,0,1]
	v_pk_add_f16 v3, v41, v3
	v_pk_add_f16 v16, v38, v16
	s_waitcnt vmcnt(0)
	v_and_b32_e32 v2, 0x20002, v2
	v_and_or_b32 v2, v14, s34, v2
	v_and_b32_e32 v14, 0x40004, v32
	v_or3_b32 v2, v2, v14, s35
	v_and_b32_e32 v14, 0x1c001c0, v31
	v_or_b32_e32 v14, 0x64006400, v14
	v_pk_fma_f16 v14, v14, s37, v61 op_sel_hi:[1,0,1]
	v_pk_add_f16 v2, v37, v2
	v_pk_fma_f16 v4, v14, v0, v4
	v_pk_fma_f16 v2, v2, v1, v4
	v_pack_b32_f16 v4, v6, v2
	v_perm_b32 v2, v2, v6, s38
	v_pk_add_f16 v2, v4, v2
	v_pk_fma_f16 v4, v18, v0, v10
	v_pk_fma_f16 v0, v19, v0, v9
	;; [unrolled: 1-line block ×4, first 2 shown]
	v_lshrrev_b32_e32 v6, 16, v27
	v_add_f16_sdwa v0, v0, v0 dst_sel:DWORD dst_unused:UNUSED_PAD src0_sel:DWORD src1_sel:WORD_1
	v_add_f16_sdwa v4, v4, v4 dst_sel:DWORD dst_unused:UNUSED_PAD src0_sel:DWORD src1_sel:WORD_1
	v_fma_f16 v15, v0, v6, v15
	v_mov_b32_e32 v0, s30
	v_pk_fma_f16 v5, v2, v26, v5
	v_fma_f16 v17, v4, v27, v17
	v_addc_co_u32_e64 v8, s[8:9], v8, v0, s[8:9]
	s_cbranch_scc1 .LBB16_43
.LBB16_25:                              ; =>This Inner Loop Header: Depth=1
	s_cmp_lg_u32 s26, s29
	s_cbranch_scc1 .LBB16_24
; %bb.26:                               ;   in Loop: Header=BB16_25 Depth=1
	buffer_load_dword v0, off, s[40:43], 0 offset:48 ; 4-byte Folded Reload
	buffer_load_dword v1, off, s[40:43], 0 offset:52 ; 4-byte Folded Reload
	s_add_i32 s28, s28, 1
	s_mul_i32 s39, s28, s16
	s_ashr_i32 s8, s39, 31
	s_lshr_b32 s8, s8, 27
	s_add_i32 s8, s39, s8
	s_ashr_i32 s8, s8, 5
	v_mov_b32_e32 v2, s11
	s_waitcnt vmcnt(0)
	v_mad_u64_u32 v[0:1], s[8:9], s8, 3, v[0:1]
	v_ashrrev_i32_e32 v1, 31, v0
	v_lshlrev_b64 v[0:1], 2, v[0:1]
	v_add_co_u32_e64 v0, s[8:9], s10, v0
	v_addc_co_u32_e64 v1, s[8:9], v2, v1, s[8:9]
	global_load_dword v3, v[0:1], off
                                        ; implicit-def: $vgpr2
	s_and_saveexec_b64 s[8:9], vcc
	s_xor_b64 s[8:9], exec, s[8:9]
	s_cbranch_execz .LBB16_40
; %bb.27:                               ;   in Loop: Header=BB16_25 Depth=1
                                        ; implicit-def: $vgpr2
	s_and_saveexec_b64 s[20:21], s[0:1]
	s_xor_b64 s[20:21], exec, s[20:21]
	s_cbranch_execz .LBB16_37
; %bb.28:                               ;   in Loop: Header=BB16_25 Depth=1
                                        ; implicit-def: $vgpr2
	s_and_saveexec_b64 s[22:23], s[2:3]
	;; [unrolled: 5-line block ×3, first 2 shown]
	s_xor_b64 s[24:25], exec, s[24:25]
	s_cbranch_execz .LBB16_31
; %bb.30:                               ;   in Loop: Header=BB16_25 Depth=1
	buffer_load_dword v0, off, s[40:43], 0 offset:64 ; 4-byte Folded Reload
	s_waitcnt vmcnt(0)
	v_lshrrev_b32_e32 v2, v0, v3
                                        ; implicit-def: $vgpr0_vgpr1
                                        ; implicit-def: $vgpr3
.LBB16_31:                              ;   in Loop: Header=BB16_25 Depth=1
	s_andn2_saveexec_b64 s[24:25], s[24:25]
	s_cbranch_execz .LBB16_33
; %bb.32:                               ;   in Loop: Header=BB16_25 Depth=1
	global_load_dword v0, v[0:1], off offset:4
	s_waitcnt vmcnt(0)
	v_alignbit_b32 v0, v0, v3, 28
	v_and_b32_e32 v2, 0xfff, v0
.LBB16_33:                              ;   in Loop: Header=BB16_25 Depth=1
	s_or_b64 exec, exec, s[24:25]
                                        ; implicit-def: $vgpr3
.LBB16_34:                              ;   in Loop: Header=BB16_25 Depth=1
	s_andn2_saveexec_b64 s[22:23], s[22:23]
	s_cbranch_execz .LBB16_36
; %bb.35:                               ;   in Loop: Header=BB16_25 Depth=1
	buffer_load_dword v0, off, s[40:43], 0 offset:60 ; 4-byte Folded Reload
	s_waitcnt vmcnt(0)
	v_lshrrev_b32_e32 v2, v0, v3
.LBB16_36:                              ;   in Loop: Header=BB16_25 Depth=1
	s_or_b64 exec, exec, s[22:23]
                                        ; implicit-def: $vgpr0_vgpr1
                                        ; implicit-def: $vgpr3
.LBB16_37:                              ;   in Loop: Header=BB16_25 Depth=1
	s_andn2_saveexec_b64 s[20:21], s[20:21]
	s_cbranch_execz .LBB16_39
; %bb.38:                               ;   in Loop: Header=BB16_25 Depth=1
	global_load_dword v0, v[0:1], off offset:4
	s_waitcnt vmcnt(0)
	v_perm_b32 v0, v3, v0, s33
	v_and_b32_e32 v2, 0xfff, v0
.LBB16_39:                              ;   in Loop: Header=BB16_25 Depth=1
	s_or_b64 exec, exec, s[20:21]
                                        ; implicit-def: $vgpr3
.LBB16_40:                              ;   in Loop: Header=BB16_25 Depth=1
	s_andn2_saveexec_b64 s[8:9], s[8:9]
	s_cbranch_execz .LBB16_23
; %bb.41:                               ;   in Loop: Header=BB16_25 Depth=1
	buffer_load_dword v0, off, s[40:43], 0 offset:56 ; 4-byte Folded Reload
	s_waitcnt vmcnt(0)
	v_lshrrev_b32_e32 v2, v0, v3
	s_branch .LBB16_23
.LBB16_42:
	v_mov_b32_e32 v4, 0
	v_mov_b32_e32 v5, 0
	v_mov_b32_e32 v6, 0
	s_branch .LBB16_44
.LBB16_43:
	v_and_b32_e32 v6, 0xffff, v17
	v_lshlrev_b32_e32 v4, 16, v15
.LBB16_44:
	buffer_load_dword v0, off, s[40:43], 0 offset:40 ; 4-byte Folded Reload
	buffer_load_dword v1, off, s[40:43], 0 offset:44 ; 4-byte Folded Reload
	s_mul_i32 s0, s16, s7
	v_mov_b32_e32 v2, s15
	s_waitcnt vmcnt(1)
	v_add_u32_e32 v0, s0, v0
	s_waitcnt vmcnt(0)
	v_ashrrev_i32_e32 v1, 31, v0
	v_lshlrev_b64 v[0:1], 1, v[0:1]
	s_mov_b64 s[0:1], 0
	v_add_co_u32_e32 v0, vcc, s14, v0
	v_addc_co_u32_e32 v1, vcc, v2, v1, vcc
	global_load_dword v3, v[0:1], off
.LBB16_45:                              ; =>This Inner Loop Header: Depth=1
	s_waitcnt vmcnt(0)
	v_pk_add_f16 v2, v5, v3
	global_atomic_cmpswap v2, v[0:1], v[2:3], off glc
	s_waitcnt vmcnt(0)
	v_cmp_eq_u32_e32 vcc, v3, v2
	s_or_b64 s[0:1], vcc, s[0:1]
	v_mov_b32_e32 v3, v2
	s_andn2_b64 exec, exec, s[0:1]
	s_cbranch_execnz .LBB16_45
; %bb.46:
	s_or_b64 exec, exec, s[0:1]
	global_load_dword v3, v[0:1], off offset:4
	v_or_b32_e32 v4, v4, v6
	s_mov_b64 s[0:1], 0
.LBB16_47:                              ; =>This Inner Loop Header: Depth=1
	s_waitcnt vmcnt(0)
	v_pk_add_f16 v2, v4, v3
	global_atomic_cmpswap v2, v[0:1], v[2:3], off offset:4 glc
	s_waitcnt vmcnt(0)
	v_cmp_eq_u32_e32 vcc, v3, v2
	s_or_b64 s[0:1], vcc, s[0:1]
	v_mov_b32_e32 v3, v2
	s_andn2_b64 exec, exec, s[0:1]
	s_cbranch_execnz .LBB16_47
.LBB16_48:
	s_endpgm
	.section	.rodata,"a",@progbits
	.p2align	6, 0x0
	.amdhsa_kernel _ZN4vllm4gptq33gemm_half_q_half_gptq_3bit_kernelILb1ELi1EEEvPK6__halfPKjS6_S4_PS2_iiiibPKi
		.amdhsa_group_segment_fixed_size 256
		.amdhsa_private_segment_fixed_size 72
		.amdhsa_kernarg_size 72
		.amdhsa_user_sgpr_count 6
		.amdhsa_user_sgpr_private_segment_buffer 1
		.amdhsa_user_sgpr_dispatch_ptr 0
		.amdhsa_user_sgpr_queue_ptr 0
		.amdhsa_user_sgpr_kernarg_segment_ptr 1
		.amdhsa_user_sgpr_dispatch_id 0
		.amdhsa_user_sgpr_flat_scratch_init 0
		.amdhsa_user_sgpr_private_segment_size 0
		.amdhsa_uses_dynamic_stack 0
		.amdhsa_system_sgpr_private_segment_wavefront_offset 1
		.amdhsa_system_sgpr_workgroup_id_x 1
		.amdhsa_system_sgpr_workgroup_id_y 1
		.amdhsa_system_sgpr_workgroup_id_z 1
		.amdhsa_system_sgpr_workgroup_info 0
		.amdhsa_system_vgpr_workitem_id 0
		.amdhsa_next_free_vgpr 64
		.amdhsa_next_free_sgpr 44
		.amdhsa_reserve_vcc 1
		.amdhsa_reserve_flat_scratch 0
		.amdhsa_float_round_mode_32 0
		.amdhsa_float_round_mode_16_64 0
		.amdhsa_float_denorm_mode_32 3
		.amdhsa_float_denorm_mode_16_64 3
		.amdhsa_dx10_clamp 1
		.amdhsa_ieee_mode 1
		.amdhsa_fp16_overflow 0
		.amdhsa_exception_fp_ieee_invalid_op 0
		.amdhsa_exception_fp_denorm_src 0
		.amdhsa_exception_fp_ieee_div_zero 0
		.amdhsa_exception_fp_ieee_overflow 0
		.amdhsa_exception_fp_ieee_underflow 0
		.amdhsa_exception_fp_ieee_inexact 0
		.amdhsa_exception_int_div_zero 0
	.end_amdhsa_kernel
	.section	.text._ZN4vllm4gptq33gemm_half_q_half_gptq_3bit_kernelILb1ELi1EEEvPK6__halfPKjS6_S4_PS2_iiiibPKi,"axG",@progbits,_ZN4vllm4gptq33gemm_half_q_half_gptq_3bit_kernelILb1ELi1EEEvPK6__halfPKjS6_S4_PS2_iiiibPKi,comdat
.Lfunc_end16:
	.size	_ZN4vllm4gptq33gemm_half_q_half_gptq_3bit_kernelILb1ELi1EEEvPK6__halfPKjS6_S4_PS2_iiiibPKi, .Lfunc_end16-_ZN4vllm4gptq33gemm_half_q_half_gptq_3bit_kernelILb1ELi1EEEvPK6__halfPKjS6_S4_PS2_iiiibPKi
                                        ; -- End function
	.set _ZN4vllm4gptq33gemm_half_q_half_gptq_3bit_kernelILb1ELi1EEEvPK6__halfPKjS6_S4_PS2_iiiibPKi.num_vgpr, 64
	.set _ZN4vllm4gptq33gemm_half_q_half_gptq_3bit_kernelILb1ELi1EEEvPK6__halfPKjS6_S4_PS2_iiiibPKi.num_agpr, 0
	.set _ZN4vllm4gptq33gemm_half_q_half_gptq_3bit_kernelILb1ELi1EEEvPK6__halfPKjS6_S4_PS2_iiiibPKi.numbered_sgpr, 44
	.set _ZN4vllm4gptq33gemm_half_q_half_gptq_3bit_kernelILb1ELi1EEEvPK6__halfPKjS6_S4_PS2_iiiibPKi.num_named_barrier, 0
	.set _ZN4vllm4gptq33gemm_half_q_half_gptq_3bit_kernelILb1ELi1EEEvPK6__halfPKjS6_S4_PS2_iiiibPKi.private_seg_size, 72
	.set _ZN4vllm4gptq33gemm_half_q_half_gptq_3bit_kernelILb1ELi1EEEvPK6__halfPKjS6_S4_PS2_iiiibPKi.uses_vcc, 1
	.set _ZN4vllm4gptq33gemm_half_q_half_gptq_3bit_kernelILb1ELi1EEEvPK6__halfPKjS6_S4_PS2_iiiibPKi.uses_flat_scratch, 0
	.set _ZN4vllm4gptq33gemm_half_q_half_gptq_3bit_kernelILb1ELi1EEEvPK6__halfPKjS6_S4_PS2_iiiibPKi.has_dyn_sized_stack, 0
	.set _ZN4vllm4gptq33gemm_half_q_half_gptq_3bit_kernelILb1ELi1EEEvPK6__halfPKjS6_S4_PS2_iiiibPKi.has_recursion, 0
	.set _ZN4vllm4gptq33gemm_half_q_half_gptq_3bit_kernelILb1ELi1EEEvPK6__halfPKjS6_S4_PS2_iiiibPKi.has_indirect_call, 0
	.section	.AMDGPU.csdata,"",@progbits
; Kernel info:
; codeLenInByte = 5108
; TotalNumSgprs: 48
; NumVgprs: 64
; ScratchSize: 72
; MemoryBound: 0
; FloatMode: 240
; IeeeMode: 1
; LDSByteSize: 256 bytes/workgroup (compile time only)
; SGPRBlocks: 5
; VGPRBlocks: 15
; NumSGPRsForWavesPerEU: 48
; NumVGPRsForWavesPerEU: 64
; Occupancy: 4
; WaveLimiterHint : 0
; COMPUTE_PGM_RSRC2:SCRATCH_EN: 1
; COMPUTE_PGM_RSRC2:USER_SGPR: 6
; COMPUTE_PGM_RSRC2:TRAP_HANDLER: 0
; COMPUTE_PGM_RSRC2:TGID_X_EN: 1
; COMPUTE_PGM_RSRC2:TGID_Y_EN: 1
; COMPUTE_PGM_RSRC2:TGID_Z_EN: 1
; COMPUTE_PGM_RSRC2:TIDIG_COMP_CNT: 0
	.section	.text._ZN4vllm4gptq33gemm_half_q_half_gptq_4bit_kernelILb1ELi1EEEvPK6__halfPKjS6_S4_PS2_iiiibPKi,"axG",@progbits,_ZN4vllm4gptq33gemm_half_q_half_gptq_4bit_kernelILb1ELi1EEEvPK6__halfPKjS6_S4_PS2_iiiibPKi,comdat
	.protected	_ZN4vllm4gptq33gemm_half_q_half_gptq_4bit_kernelILb1ELi1EEEvPK6__halfPKjS6_S4_PS2_iiiibPKi ; -- Begin function _ZN4vllm4gptq33gemm_half_q_half_gptq_4bit_kernelILb1ELi1EEEvPK6__halfPKjS6_S4_PS2_iiiibPKi
	.globl	_ZN4vllm4gptq33gemm_half_q_half_gptq_4bit_kernelILb1ELi1EEEvPK6__halfPKjS6_S4_PS2_iiiibPKi
	.p2align	8
	.type	_ZN4vllm4gptq33gemm_half_q_half_gptq_4bit_kernelILb1ELi1EEEvPK6__halfPKjS6_S4_PS2_iiiibPKi,@function
_ZN4vllm4gptq33gemm_half_q_half_gptq_4bit_kernelILb1ELi1EEEvPK6__halfPKjS6_S4_PS2_iiiibPKi: ; @_ZN4vllm4gptq33gemm_half_q_half_gptq_4bit_kernelILb1ELi1EEEvPK6__halfPKjS6_S4_PS2_iiiibPKi
; %bb.0:
	s_load_dwordx4 s[0:3], s[4:5], 0x2c
	s_lshl_b32 s22, s8, 7
	s_add_i32 s8, s22, 0x80
	v_cvt_f64_u32_e32 v[1:2], s8
	s_load_dwordx8 s[8:15], s[4:5], 0x8
	s_waitcnt lgkmcnt(0)
	v_cvt_f64_i32_e32 v[3:4], s1
	v_min_f64 v[1:2], v[1:2], v[3:4]
	v_cvt_i32_f64_e32 v2, v[1:2]
	v_add_u32_e32 v1, s22, v0
	v_readfirstlane_b32 s23, v2
	v_cmp_lt_u32_e32 vcc, v1, v2
	s_and_saveexec_b64 s[16:17], vcc
	s_cbranch_execz .LBB17_4
; %bb.1:
	s_load_dwordx2 s[20:21], s[4:5], 0x40
	s_load_dwordx2 s[18:19], s[4:5], 0x0
	v_mov_b32_e32 v2, 0
	s_waitcnt lgkmcnt(0)
	s_cmp_eq_u64 s[20:21], 0
	s_cbranch_scc1 .LBB17_3
; %bb.2:
	v_lshlrev_b64 v[1:2], 2, v[1:2]
	v_mov_b32_e32 v3, s21
	v_add_co_u32_e32 v1, vcc, s20, v1
	v_addc_co_u32_e32 v2, vcc, v3, v2, vcc
	global_load_dword v1, v[1:2], off
	s_waitcnt vmcnt(0)
	v_ashrrev_i32_e32 v2, 31, v1
.LBB17_3:
	s_mul_i32 s4, s1, s7
	s_ashr_i32 s5, s4, 31
	s_lshl_b64 s[4:5], s[4:5], 1
	s_add_u32 s4, s18, s4
	v_lshlrev_b64 v[1:2], 1, v[1:2]
	s_addc_u32 s5, s19, s5
	v_mov_b32_e32 v3, s5
	v_add_co_u32_e32 v1, vcc, s4, v1
	v_addc_co_u32_e32 v2, vcc, v3, v2, vcc
	global_load_ushort v1, v[1:2], off
	v_lshlrev_b32_e32 v2, 1, v0
	s_waitcnt vmcnt(0)
	ds_write_b16 v2, v1
.LBB17_4:
	s_or_b64 exec, exec, s[16:17]
	v_lshlrev_b32_e32 v1, 2, v0
	v_lshl_add_u32 v1, s6, 9, v1
	v_cmp_gt_i32_e32 vcc, s0, v1
	s_and_saveexec_b64 s[4:5], vcc
	s_cbranch_execz .LBB17_14
; %bb.5:
	s_abs_i32 s4, s2
	v_cvt_f32_u32_e32 v2, s4
	v_mov_b32_e32 v12, 0
	v_mov_b32_e32 v9, 0
	;; [unrolled: 1-line block ×3, first 2 shown]
	v_rcp_iflag_f32_e32 v2, v2
	s_cmp_ge_i32 s22, s23
	v_mov_b32_e32 v10, 0
	s_waitcnt lgkmcnt(0)
	v_mul_f32_e32 v2, 0x4f7ffffe, v2
	v_cvt_u32_f32_e32 v2, v2
	s_barrier
	v_readfirstlane_b32 s5, v2
	s_cbranch_scc1 .LBB17_10
; %bb.6:
	s_sub_i32 s16, 0, s4
	s_mul_i32 s16, s16, s5
	s_mul_hi_u32 s16, s5, s16
	s_ashr_i32 s6, s1, 31
	s_abs_i32 s1, s1
	s_add_i32 s5, s5, s16
	s_ashr_i32 s2, s2, 31
	s_mul_hi_u32 s5, s1, s5
	s_xor_b32 s2, s6, s2
	s_mul_i32 s6, s5, s4
	s_sub_i32 s1, s1, s6
	s_add_i32 s6, s5, 1
	s_sub_i32 s16, s1, s4
	s_cmp_ge_u32 s1, s4
	s_cselect_b32 s5, s6, s5
	s_cselect_b32 s1, s16, s1
	s_add_i32 s6, s5, 1
	s_cmp_ge_u32 s1, s4
	s_cselect_b32 s1, s6, s5
	s_xor_b32 s1, s1, s2
	s_sub_i32 s6, s1, s2
	v_cvt_f32_u32_e32 v3, s6
	s_bitcmp1_b32 s3, 0
	s_cselect_b64 s[2:3], -1, 0
	s_sub_i32 s1, 0, s6
	v_rcp_iflag_f32_e32 v3, v3
	s_xor_b64 s[2:3], s[2:3], -1
	v_ashrrev_i32_e32 v2, 31, v1
	v_lshrrev_b32_e32 v4, 29, v2
	v_mul_f32_e32 v3, 0x4f7ffffe, v3
	v_cvt_u32_f32_e32 v3, v3
	v_add_u32_e32 v4, v1, v4
	v_ashrrev_i32_e32 v8, 3, v4
	v_mov_b32_e32 v9, s13
	v_readfirstlane_b32 s4, v3
	s_mul_i32 s1, s1, s4
	s_mul_hi_u32 s1, s4, s1
	s_add_i32 s4, s4, s1
	s_mul_hi_u32 s1, s22, s4
	s_mul_i32 s4, s1, s6
	s_sub_i32 s4, s22, s4
	s_add_i32 s5, s1, 1
	s_sub_i32 s16, s4, s6
	s_cmp_ge_u32 s4, s6
	s_cselect_b32 s1, s5, s1
	s_cselect_b32 s4, s16, s4
	s_add_i32 s5, s1, 1
	s_cmp_ge_u32 s4, s6
	s_cselect_b32 s16, s5, s1
	s_mul_i32 s1, s16, s0
	s_ashr_i32 s4, s1, 31
	s_lshr_b32 s4, s4, 29
	s_add_i32 s4, s1, s4
	v_add_u32_e32 v5, s1, v1
	s_ashr_i32 s4, s4, 3
	v_ashrrev_i32_e32 v6, 31, v5
	v_add_u32_e32 v3, s4, v8
	v_lshlrev_b64 v[5:6], 1, v[5:6]
	v_ashrrev_i32_e32 v4, 31, v3
	v_lshlrev_b64 v[3:4], 2, v[3:4]
	v_add_co_u32_e32 v5, vcc, s12, v5
	v_addc_co_u32_e32 v6, vcc, v9, v6, vcc
	v_mov_b32_e32 v7, s11
	v_add_co_u32_e32 v3, vcc, s10, v3
	v_addc_co_u32_e32 v4, vcc, v7, v4, vcc
	global_load_dwordx2 v[5:6], v[5:6], off
	s_lshr_b32 s1, s22, 3
	global_load_dword v4, v[3:4], off
	v_cndmask_b32_e64 v14, 0, 1, s[2:3]
	s_mul_i32 s2, s0, s1
	s_ashr_i32 s3, s2, 31
	v_lshlrev_b32_e32 v7, 4, v0
	s_lshl_b64 s[2:3], s[2:3], 2
	v_and_b32_e32 v13, 16, v7
	v_lshlrev_b64 v[2:3], 2, v[1:2]
	s_add_u32 s20, s8, s2
	s_addc_u32 s2, s9, s3
	s_mov_b32 s18, 0x10001
	v_mov_b32_e32 v0, 0xe400e400
	v_mov_b32_e32 v12, s2
	v_add_co_u32_e32 v2, vcc, s20, v2
	v_addc_co_u32_e32 v3, vcc, v12, v3, vcc
	s_ashr_i32 s1, s0, 31
	s_mov_b32 s17, 0
	s_movk_i32 s19, 0x2c00
	v_mov_b32_e32 v10, 0
	v_mov_b32_e32 v11, 0
	;; [unrolled: 1-line block ×3, first 2 shown]
	s_add_i32 s8, s6, s22
	s_lshl_b64 s[2:3], s[0:1], 4
	s_lshl_b64 s[4:5], s[0:1], 2
	s_waitcnt vmcnt(1)
	v_cvt_f32_f16_e32 v15, v5
	v_cvt_f32_f16_sdwa v16, v5 dst_sel:DWORD dst_unused:UNUSED_PAD src0_sel:WORD_1
	s_waitcnt vmcnt(0)
	v_lshrrev_b32_e32 v5, v7, v4
	v_cvt_f32_f16_e32 v17, v6
	v_cvt_f32_f16_sdwa v18, v6 dst_sel:DWORD dst_unused:UNUSED_PAD src0_sel:WORD_1
	v_bfe_u32 v4, v4, v13, 4
	v_bfe_u32 v6, v5, 12, 4
	v_bfe_u32 v7, v5, 8, 4
	v_bfe_u32 v5, v5, 4, 4
	v_add_u32_e32 v4, v4, v14
	v_add_u32_e32 v6, v6, v14
	;; [unrolled: 1-line block ×4, first 2 shown]
	v_cvt_f32_ubyte0_e32 v12, v4
	v_mad_u32_u24 v19, v4, s18, v0
	v_cvt_f32_ubyte0_e32 v4, v6
	v_mad_u32_u24 v22, v6, s18, v0
	;; [unrolled: 2-line block ×4, first 2 shown]
	v_cvt_f16_f32_e32 v5, v12
	v_cvt_f16_f32_e32 v4, v4
	;; [unrolled: 1-line block ×4, first 2 shown]
	v_sub_f16_e32 v5, 0xd400, v5
	v_sub_f16_e32 v4, 0xd400, v4
	v_sub_f16_e32 v6, 0xd400, v6
	v_sub_f16_e32 v7, 0xd400, v7
	v_mul_u32_u24_e32 v23, 0x10001, v5
	v_mul_u32_u24_e32 v24, 0x10001, v4
	;; [unrolled: 1-line block ×4, first 2 shown]
	v_mov_b32_e32 v12, 0
	s_branch .LBB17_8
.LBB17_7:                               ;   in Loop: Header=BB17_8 Depth=1
	global_load_dwordx4 v[33:36], v[2:3], off
	s_add_i32 s22, s22, 32
	s_waitcnt vmcnt(0)
	v_lshrrev_b32_e32 v6, 8, v33
	v_and_b32_e32 v5, 0xf000f0, v33
	v_and_b32_e32 v7, 0xf000f, v6
	;; [unrolled: 1-line block ×4, first 2 shown]
	v_or_b32_e32 v5, 0x64006400, v5
	v_or_b32_e32 v28, 0x64006400, v6
	;; [unrolled: 1-line block ×4, first 2 shown]
	v_pk_fma_f16 v7, v5, s19, v23 op_sel_hi:[1,0,1]
	v_pk_fma_f16 v5, v28, s19, v23 op_sel_hi:[1,0,1]
	v_and_b32_e32 v28, 0xf000f0, v34
	v_pk_add_f16 v6, v19, v4
	v_pk_add_f16 v4, v19, v27
	v_and_b32_e32 v27, 0xf000f, v34
	v_or_b32_e32 v29, 0x64006400, v28
	v_lshrrev_b32_e32 v28, 8, v34
	v_or_b32_e32 v27, 0x64006400, v27
	v_and_b32_e32 v30, 0xf000f, v28
	v_and_b32_e32 v28, 0xf000f0, v28
	;; [unrolled: 1-line block ×3, first 2 shown]
	v_or_b32_e32 v31, 0x64006400, v28
	v_pk_add_f16 v28, v21, v27
	v_and_b32_e32 v27, 0xf000f, v35
	v_or_b32_e32 v33, 0x64006400, v32
	v_lshrrev_b32_e32 v32, 8, v35
	v_or_b32_e32 v27, 0x64006400, v27
	v_and_b32_e32 v34, 0xf000f, v32
	v_and_b32_e32 v32, 0xf000f0, v32
	v_or_b32_e32 v35, 0x64006400, v32
	v_pk_add_f16 v32, v20, v27
	v_and_b32_e32 v27, 0xf000f, v36
	v_and_b32_e32 v37, 0xf000f0, v36
	v_lshrrev_b32_e32 v36, 8, v36
	v_or_b32_e32 v27, 0x64006400, v27
	v_and_b32_e32 v38, 0xf000f, v36
	v_and_b32_e32 v36, 0xf000f0, v36
	v_or_b32_e32 v37, 0x64006400, v37
	v_or_b32_e32 v36, 0x64006400, v36
	v_pk_add_f16 v39, v22, v27
	v_mov_b32_e32 v27, s17
	v_pk_fma_f16 v40, v37, s19, v24 op_sel_hi:[1,0,1]
	v_pk_fma_f16 v41, v36, s19, v24 op_sel_hi:[1,0,1]
	ds_read2_b32 v[36:37], v27 offset1:1
	v_or_b32_e32 v30, 0x64006400, v30
	v_pk_fma_f16 v29, v29, s19, v26 op_sel_hi:[1,0,1]
	v_pk_add_f16 v30, v21, v30
	v_pk_fma_f16 v31, v31, s19, v26 op_sel_hi:[1,0,1]
	s_waitcnt lgkmcnt(0)
	v_pk_fma_f16 v6, v6, v36, 0
	v_pk_fma_f16 v42, v7, v37, v6
	ds_read2_b32 v[6:7], v27 offset0:2 offset1:3
	v_or_b32_e32 v34, 0x64006400, v34
	v_pk_fma_f16 v33, v33, s19, v25 op_sel_hi:[1,0,1]
	v_pk_add_f16 v34, v20, v34
	v_pk_fma_f16 v35, v35, s19, v25 op_sel_hi:[1,0,1]
	s_waitcnt lgkmcnt(0)
	v_pk_fma_f16 v4, v4, v6, v42
	v_pk_fma_f16 v4, v5, v7, v4
	v_cvt_f32_f16_e32 v5, v4
	v_cvt_f32_f16_sdwa v4, v4 dst_sel:DWORD dst_unused:UNUSED_PAD src0_sel:WORD_1
	v_or_b32_e32 v38, 0x64006400, v38
	v_pk_add_f16 v38, v22, v38
	s_add_i32 s17, s17, 64
	v_add_f32_e32 v4, v5, v4
	v_pk_fma_f16 v5, v28, v36, 0
	v_pk_fma_f16 v5, v29, v37, v5
	;; [unrolled: 1-line block ×4, first 2 shown]
	v_cvt_f32_f16_e32 v28, v5
	v_cvt_f32_f16_sdwa v5, v5 dst_sel:DWORD dst_unused:UNUSED_PAD src0_sel:WORD_1
	v_fmac_f32_e32 v10, v4, v15
	v_add_co_u32_e32 v4, vcc, s4, v2
	v_add_f32_e32 v5, v28, v5
	v_pk_fma_f16 v28, v32, v36, 0
	v_pk_fma_f16 v28, v33, v37, v28
	;; [unrolled: 1-line block ×4, first 2 shown]
	v_cvt_f32_f16_e32 v29, v28
	v_cvt_f32_f16_sdwa v28, v28 dst_sel:DWORD dst_unused:UNUSED_PAD src0_sel:WORD_1
	v_fmac_f32_e32 v11, v5, v16
	s_cmp_ge_i32 s22, s23
	v_add_f32_e32 v28, v29, v28
	v_pk_fma_f16 v29, v39, v36, 0
	v_pk_fma_f16 v29, v40, v37, v29
	v_pk_fma_f16 v6, v38, v6, v29
	v_pk_fma_f16 v6, v41, v7, v6
	v_cvt_f32_f16_e32 v7, v6
	v_cvt_f32_f16_sdwa v6, v6 dst_sel:DWORD dst_unused:UNUSED_PAD src0_sel:WORD_1
	v_fmac_f32_e32 v9, v28, v17
	v_add_f32_e32 v6, v7, v6
	v_fmac_f32_e32 v12, v6, v18
	v_mov_b32_e32 v6, s5
	v_addc_co_u32_e32 v5, vcc, v3, v6, vcc
	global_load_dwordx4 v[28:31], v[4:5], off
	v_add_co_u32_e32 v4, vcc, s4, v4
	v_addc_co_u32_e32 v5, vcc, v5, v6, vcc
	s_waitcnt vmcnt(0)
	v_and_b32_e32 v7, 0xf000f, v28
	v_and_b32_e32 v32, 0xf000f0, v28
	v_lshrrev_b32_e32 v28, 8, v28
	v_and_b32_e32 v33, 0xf000f, v28
	v_and_b32_e32 v28, 0xf000f0, v28
	v_or_b32_e32 v28, 0x64006400, v28
	v_pk_fma_f16 v34, v28, s19, v23 op_sel_hi:[1,0,1]
	v_and_b32_e32 v28, 0xf000f, v29
	v_and_b32_e32 v35, 0xf000f0, v29
	v_lshrrev_b32_e32 v29, 8, v29
	v_and_b32_e32 v36, 0xf000f, v29
	v_and_b32_e32 v29, 0xf000f0, v29
	v_or_b32_e32 v28, 0x64006400, v28
	v_or_b32_e32 v29, 0x64006400, v29
	v_pk_add_f16 v37, v21, v28
	v_pk_fma_f16 v38, v29, s19, v26 op_sel_hi:[1,0,1]
	v_and_b32_e32 v28, 0xf000f, v30
	v_and_b32_e32 v29, 0xf000f0, v30
	v_lshrrev_b32_e32 v30, 8, v30
	v_or_b32_e32 v28, 0x64006400, v28
	v_or_b32_e32 v29, 0x64006400, v29
	v_and_b32_e32 v39, 0xf000f, v30
	v_and_b32_e32 v30, 0xf000f0, v30
	v_or_b32_e32 v30, 0x64006400, v30
	v_pk_add_f16 v40, v20, v28
	v_pk_fma_f16 v41, v29, s19, v25 op_sel_hi:[1,0,1]
	v_and_b32_e32 v28, 0xf000f, v31
	v_and_b32_e32 v29, 0xf000f0, v31
	v_pk_fma_f16 v42, v30, s19, v25 op_sel_hi:[1,0,1]
	v_or_b32_e32 v28, 0x64006400, v28
	v_or_b32_e32 v29, 0x64006400, v29
	v_lshrrev_b32_e32 v30, 8, v31
	v_and_b32_e32 v31, 0xf000f, v30
	v_and_b32_e32 v30, 0xf000f0, v30
	v_pk_add_f16 v43, v22, v28
	v_pk_fma_f16 v44, v29, s19, v24 op_sel_hi:[1,0,1]
	ds_read2_b32 v[28:29], v27 offset0:4 offset1:5
	v_or_b32_e32 v31, 0x64006400, v31
	v_or_b32_e32 v30, 0x64006400, v30
	v_pk_add_f16 v45, v22, v31
	v_pk_fma_f16 v46, v30, s19, v24 op_sel_hi:[1,0,1]
	ds_read2_b32 v[30:31], v27 offset0:6 offset1:7
	v_or_b32_e32 v7, 0x64006400, v7
	v_or_b32_e32 v32, 0x64006400, v32
	v_pk_add_f16 v7, v19, v7
	v_or_b32_e32 v33, 0x64006400, v33
	v_pk_fma_f16 v32, v32, s19, v23 op_sel_hi:[1,0,1]
	s_waitcnt lgkmcnt(1)
	v_pk_fma_f16 v7, v7, v28, 0
	v_pk_add_f16 v33, v19, v33
	v_pk_fma_f16 v7, v32, v29, v7
	s_waitcnt lgkmcnt(0)
	v_pk_fma_f16 v7, v33, v30, v7
	v_pk_fma_f16 v7, v34, v31, v7
	v_cvt_f32_f16_e32 v32, v7
	v_cvt_f32_f16_sdwa v7, v7 dst_sel:DWORD dst_unused:UNUSED_PAD src0_sel:WORD_1
	v_or_b32_e32 v35, 0x64006400, v35
	v_or_b32_e32 v36, 0x64006400, v36
	v_pk_fma_f16 v35, v35, s19, v26 op_sel_hi:[1,0,1]
	v_add_f32_e32 v7, v32, v7
	v_pk_fma_f16 v32, v37, v28, 0
	v_pk_add_f16 v36, v21, v36
	v_pk_fma_f16 v32, v35, v29, v32
	v_pk_fma_f16 v32, v36, v30, v32
	;; [unrolled: 1-line block ×3, first 2 shown]
	v_cvt_f32_f16_e32 v33, v32
	v_cvt_f32_f16_sdwa v32, v32 dst_sel:DWORD dst_unused:UNUSED_PAD src0_sel:WORD_1
	v_or_b32_e32 v39, 0x64006400, v39
	v_pk_add_f16 v39, v20, v39
	v_fmac_f32_e32 v10, v7, v15
	v_add_f32_e32 v32, v33, v32
	v_pk_fma_f16 v33, v40, v28, 0
	v_pk_fma_f16 v28, v43, v28, 0
	;; [unrolled: 1-line block ×6, first 2 shown]
	v_cvt_f32_f16_e32 v29, v28
	v_cvt_f32_f16_sdwa v28, v28 dst_sel:DWORD dst_unused:UNUSED_PAD src0_sel:WORD_1
	v_pk_fma_f16 v33, v39, v30, v33
	v_pk_fma_f16 v33, v42, v31, v33
	v_cvt_f32_f16_e32 v34, v33
	v_add_f32_e32 v28, v29, v28
	v_fmac_f32_e32 v12, v28, v18
	global_load_dwordx4 v[28:31], v[4:5], off
	v_cvt_f32_f16_sdwa v33, v33 dst_sel:DWORD dst_unused:UNUSED_PAD src0_sel:WORD_1
	v_fmac_f32_e32 v11, v32, v16
	v_add_co_u32_e32 v4, vcc, s4, v4
	v_add_f32_e32 v33, v34, v33
	v_fmac_f32_e32 v9, v33, v17
	v_addc_co_u32_e32 v5, vcc, v5, v6, vcc
	v_add_co_u32_e32 v2, vcc, s2, v2
	s_waitcnt vmcnt(0)
	v_and_b32_e32 v7, 0xf000f, v28
	v_and_b32_e32 v32, 0xf000f0, v28
	v_lshrrev_b32_e32 v28, 8, v28
	v_and_b32_e32 v33, 0xf000f, v28
	v_and_b32_e32 v28, 0xf000f0, v28
	v_or_b32_e32 v28, 0x64006400, v28
	v_pk_fma_f16 v34, v28, s19, v23 op_sel_hi:[1,0,1]
	v_and_b32_e32 v28, 0xf000f, v29
	v_and_b32_e32 v35, 0xf000f0, v29
	v_lshrrev_b32_e32 v29, 8, v29
	v_and_b32_e32 v36, 0xf000f, v29
	v_and_b32_e32 v29, 0xf000f0, v29
	v_or_b32_e32 v28, 0x64006400, v28
	v_or_b32_e32 v29, 0x64006400, v29
	v_pk_add_f16 v37, v21, v28
	v_pk_fma_f16 v38, v29, s19, v26 op_sel_hi:[1,0,1]
	v_and_b32_e32 v28, 0xf000f, v30
	v_and_b32_e32 v29, 0xf000f0, v30
	v_lshrrev_b32_e32 v30, 8, v30
	v_or_b32_e32 v28, 0x64006400, v28
	v_or_b32_e32 v29, 0x64006400, v29
	v_and_b32_e32 v39, 0xf000f, v30
	v_and_b32_e32 v30, 0xf000f0, v30
	v_or_b32_e32 v30, 0x64006400, v30
	v_pk_add_f16 v40, v20, v28
	v_pk_fma_f16 v41, v29, s19, v25 op_sel_hi:[1,0,1]
	v_and_b32_e32 v28, 0xf000f, v31
	v_and_b32_e32 v29, 0xf000f0, v31
	v_pk_fma_f16 v42, v30, s19, v25 op_sel_hi:[1,0,1]
	v_or_b32_e32 v28, 0x64006400, v28
	v_or_b32_e32 v29, 0x64006400, v29
	v_lshrrev_b32_e32 v30, 8, v31
	v_and_b32_e32 v31, 0xf000f, v30
	v_and_b32_e32 v30, 0xf000f0, v30
	v_pk_add_f16 v43, v22, v28
	v_pk_fma_f16 v44, v29, s19, v24 op_sel_hi:[1,0,1]
	ds_read2_b32 v[28:29], v27 offset0:8 offset1:9
	v_or_b32_e32 v31, 0x64006400, v31
	v_or_b32_e32 v30, 0x64006400, v30
	v_pk_add_f16 v45, v22, v31
	v_pk_fma_f16 v46, v30, s19, v24 op_sel_hi:[1,0,1]
	ds_read2_b32 v[30:31], v27 offset0:10 offset1:11
	v_or_b32_e32 v7, 0x64006400, v7
	v_or_b32_e32 v32, 0x64006400, v32
	v_pk_add_f16 v7, v19, v7
	v_or_b32_e32 v33, 0x64006400, v33
	v_pk_fma_f16 v32, v32, s19, v23 op_sel_hi:[1,0,1]
	s_waitcnt lgkmcnt(1)
	v_pk_fma_f16 v7, v7, v28, 0
	v_pk_add_f16 v33, v19, v33
	v_pk_fma_f16 v7, v32, v29, v7
	s_waitcnt lgkmcnt(0)
	v_pk_fma_f16 v7, v33, v30, v7
	v_pk_fma_f16 v7, v34, v31, v7
	v_cvt_f32_f16_e32 v32, v7
	v_cvt_f32_f16_sdwa v7, v7 dst_sel:DWORD dst_unused:UNUSED_PAD src0_sel:WORD_1
	v_or_b32_e32 v35, 0x64006400, v35
	v_or_b32_e32 v36, 0x64006400, v36
	v_pk_fma_f16 v35, v35, s19, v26 op_sel_hi:[1,0,1]
	v_add_f32_e32 v7, v32, v7
	v_pk_fma_f16 v32, v37, v28, 0
	v_pk_add_f16 v36, v21, v36
	v_pk_fma_f16 v32, v35, v29, v32
	v_pk_fma_f16 v32, v36, v30, v32
	;; [unrolled: 1-line block ×3, first 2 shown]
	v_cvt_f32_f16_e32 v33, v32
	v_cvt_f32_f16_sdwa v32, v32 dst_sel:DWORD dst_unused:UNUSED_PAD src0_sel:WORD_1
	v_or_b32_e32 v39, 0x64006400, v39
	v_pk_add_f16 v39, v20, v39
	v_fmac_f32_e32 v10, v7, v15
	v_add_f32_e32 v32, v33, v32
	v_pk_fma_f16 v33, v40, v28, 0
	v_pk_fma_f16 v28, v43, v28, 0
	;; [unrolled: 1-line block ×6, first 2 shown]
	v_cvt_f32_f16_e32 v29, v28
	v_cvt_f32_f16_sdwa v28, v28 dst_sel:DWORD dst_unused:UNUSED_PAD src0_sel:WORD_1
	v_pk_fma_f16 v33, v39, v30, v33
	v_pk_fma_f16 v33, v42, v31, v33
	v_cvt_f32_f16_e32 v34, v33
	v_add_f32_e32 v28, v29, v28
	v_fmac_f32_e32 v12, v28, v18
	global_load_dwordx4 v[28:31], v[4:5], off
	v_cvt_f32_f16_sdwa v33, v33 dst_sel:DWORD dst_unused:UNUSED_PAD src0_sel:WORD_1
	v_fmac_f32_e32 v11, v32, v16
	v_add_f32_e32 v33, v34, v33
	v_fmac_f32_e32 v9, v33, v17
	s_waitcnt vmcnt(0)
	v_lshrrev_b32_e32 v6, 8, v28
	v_and_b32_e32 v7, 0xf000f, v6
	v_and_b32_e32 v6, 0xf000f0, v6
	v_or_b32_e32 v7, 0x64006400, v7
	v_or_b32_e32 v6, 0x64006400, v6
	v_and_b32_e32 v4, 0xf000f, v28
	v_and_b32_e32 v5, 0xf000f0, v28
	v_pk_add_f16 v40, v19, v7
	v_pk_fma_f16 v41, v6, s19, v23 op_sel_hi:[1,0,1]
	v_and_b32_e32 v6, 0xf000f, v29
	v_and_b32_e32 v7, 0xf000f0, v29
	v_lshrrev_b32_e32 v28, 8, v29
	v_or_b32_e32 v6, 0x64006400, v6
	v_or_b32_e32 v7, 0x64006400, v7
	v_and_b32_e32 v29, 0xf000f, v28
	v_and_b32_e32 v28, 0xf000f0, v28
	v_or_b32_e32 v28, 0x64006400, v28
	v_pk_add_f16 v36, v21, v6
	v_pk_fma_f16 v37, v7, s19, v26 op_sel_hi:[1,0,1]
	v_and_b32_e32 v6, 0xf000f, v30
	v_and_b32_e32 v7, 0xf000f0, v30
	v_or_b32_e32 v29, 0x64006400, v29
	v_pk_fma_f16 v39, v28, s19, v26 op_sel_hi:[1,0,1]
	v_or_b32_e32 v6, 0x64006400, v6
	v_or_b32_e32 v7, 0x64006400, v7
	v_lshrrev_b32_e32 v28, 8, v30
	v_pk_add_f16 v38, v21, v29
	v_and_b32_e32 v29, 0xf000f, v28
	v_and_b32_e32 v28, 0xf000f0, v28
	v_pk_add_f16 v32, v20, v6
	v_pk_fma_f16 v33, v7, s19, v25 op_sel_hi:[1,0,1]
	v_and_b32_e32 v6, 0xf000f, v31
	v_and_b32_e32 v7, 0xf000f0, v31
	v_or_b32_e32 v28, 0x64006400, v28
	v_or_b32_e32 v6, 0x64006400, v6
	;; [unrolled: 1-line block ×3, first 2 shown]
	v_pk_fma_f16 v35, v28, s19, v25 op_sel_hi:[1,0,1]
	v_lshrrev_b32_e32 v28, 8, v31
	v_pk_add_f16 v30, v22, v6
	v_pk_fma_f16 v31, v7, s19, v24 op_sel_hi:[1,0,1]
	ds_read2_b32 v[6:7], v27 offset0:12 offset1:13
	v_or_b32_e32 v4, 0x64006400, v4
	v_or_b32_e32 v5, 0x64006400, v5
	v_pk_add_f16 v4, v19, v4
	v_pk_fma_f16 v5, v5, s19, v23 op_sel_hi:[1,0,1]
	s_waitcnt lgkmcnt(0)
	v_pk_fma_f16 v4, v4, v6, 0
	v_pk_fma_f16 v42, v5, v7, v4
	ds_read2_b32 v[4:5], v27 offset0:14 offset1:15
	v_or_b32_e32 v29, 0x64006400, v29
	v_pk_add_f16 v34, v20, v29
	v_and_b32_e32 v29, 0xf000f, v28
	v_or_b32_e32 v29, 0x64006400, v29
	v_and_b32_e32 v28, 0xf000f0, v28
	v_pk_fma_f16 v36, v36, v6, 0
	v_pk_fma_f16 v32, v32, v6, 0
	;; [unrolled: 1-line block ×3, first 2 shown]
	v_or_b32_e32 v28, 0x64006400, v28
	v_pk_add_f16 v29, v22, v29
	v_pk_fma_f16 v36, v37, v7, v36
	v_pk_fma_f16 v32, v33, v7, v32
	;; [unrolled: 1-line block ×3, first 2 shown]
	v_pk_fma_f16 v28, v28, s19, v24 op_sel_hi:[1,0,1]
	s_waitcnt lgkmcnt(0)
	v_pk_fma_f16 v27, v40, v4, v42
	v_pk_fma_f16 v36, v38, v4, v36
	;; [unrolled: 1-line block ×8, first 2 shown]
	v_cvt_f32_f16_e32 v5, v4
	v_cvt_f32_f16_sdwa v4, v4 dst_sel:DWORD dst_unused:UNUSED_PAD src0_sel:WORD_1
	v_cvt_f32_f16_e32 v40, v27
	v_cvt_f32_f16_sdwa v27, v27 dst_sel:DWORD dst_unused:UNUSED_PAD src0_sel:WORD_1
	;; [unrolled: 2-line block ×4, first 2 shown]
	v_add_f32_e32 v4, v5, v4
	v_add_f32_e32 v27, v40, v27
	;; [unrolled: 1-line block ×4, first 2 shown]
	v_fmac_f32_e32 v12, v4, v18
	v_mov_b32_e32 v4, s3
	v_fmac_f32_e32 v10, v27, v15
	v_fmac_f32_e32 v11, v36, v16
	;; [unrolled: 1-line block ×3, first 2 shown]
	v_addc_co_u32_e32 v3, vcc, v3, v4, vcc
	s_cbranch_scc1 .LBB17_10
.LBB17_8:                               ; =>This Inner Loop Header: Depth=1
	s_cmp_lg_u32 s22, s8
	s_cbranch_scc1 .LBB17_7
; %bb.9:                                ;   in Loop: Header=BB17_8 Depth=1
	s_add_i32 s16, s16, 1
	s_mul_i32 s1, s16, s0
	s_ashr_i32 s9, s1, 31
	s_lshr_b32 s9, s9, 29
	s_add_i32 s9, s1, s9
	v_add_u32_e32 v6, s1, v1
	s_ashr_i32 s9, s9, 3
	v_ashrrev_i32_e32 v7, 31, v6
	v_add_u32_e32 v4, s9, v8
	v_lshlrev_b64 v[6:7], 1, v[6:7]
	v_ashrrev_i32_e32 v5, 31, v4
	v_lshlrev_b64 v[4:5], 2, v[4:5]
	v_mov_b32_e32 v16, s13
	v_add_co_u32_e32 v6, vcc, s12, v6
	v_addc_co_u32_e32 v7, vcc, v16, v7, vcc
	v_mov_b32_e32 v15, s11
	v_add_co_u32_e32 v4, vcc, s10, v4
	v_addc_co_u32_e32 v5, vcc, v15, v5, vcc
	global_load_dword v4, v[4:5], off
	s_add_i32 s8, s8, s6
	global_load_dwordx2 v[6:7], v[6:7], off
	s_waitcnt vmcnt(1)
	v_lshrrev_b32_e32 v5, v13, v4
	v_bfe_u32 v4, v4, v13, 4
	s_waitcnt vmcnt(0)
	v_cvt_f32_f16_e32 v15, v6
	v_cvt_f32_f16_sdwa v16, v6 dst_sel:DWORD dst_unused:UNUSED_PAD src0_sel:WORD_1
	v_cvt_f32_f16_e32 v17, v7
	v_cvt_f32_f16_sdwa v18, v7 dst_sel:DWORD dst_unused:UNUSED_PAD src0_sel:WORD_1
	v_bfe_u32 v6, v5, 4, 4
	v_bfe_u32 v7, v5, 8, 4
	;; [unrolled: 1-line block ×3, first 2 shown]
	v_add_u32_e32 v4, v4, v14
	v_cvt_f32_ubyte0_e32 v20, v4
	v_mad_u32_u24 v19, v4, s18, v0
	v_add_u32_e32 v4, v6, v14
	v_add_u32_e32 v6, v7, v14
	;; [unrolled: 1-line block ×3, first 2 shown]
	v_cvt_f16_f32_e32 v7, v20
	v_cvt_f32_ubyte0_e32 v23, v4
	v_mad_u32_u24 v21, v4, s18, v0
	v_cvt_f32_ubyte0_e32 v4, v6
	v_mad_u32_u24 v20, v6, s18, v0
	;; [unrolled: 2-line block ×3, first 2 shown]
	v_cvt_f16_f32_e32 v5, v23
	v_cvt_f16_f32_e32 v4, v4
	;; [unrolled: 1-line block ×3, first 2 shown]
	v_sub_f16_e32 v7, 0xd400, v7
	v_sub_f16_e32 v5, 0xd400, v5
	v_sub_f16_e32 v4, 0xd400, v4
	v_sub_f16_e32 v6, 0xd400, v6
	v_mul_u32_u24_e32 v23, 0x10001, v7
	v_mul_u32_u24_e32 v26, 0x10001, v5
	;; [unrolled: 1-line block ×4, first 2 shown]
	s_branch .LBB17_7
.LBB17_10:
	s_mul_i32 s0, s0, s7
	v_add_u32_e32 v0, s0, v1
	v_ashrrev_i32_e32 v1, 31, v0
	v_lshlrev_b64 v[0:1], 1, v[0:1]
	v_mov_b32_e32 v2, s15
	v_add_co_u32_e32 v0, vcc, s14, v0
	v_addc_co_u32_e32 v1, vcc, v2, v1, vcc
	global_load_dword v3, v[0:1], off
	v_cvt_f16_f32_e32 v2, v10
	v_cvt_f16_f32_e32 v4, v11
	s_mov_b64 s[0:1], 0
	v_pack_b32_f16 v4, v2, v4
.LBB17_11:                              ; =>This Inner Loop Header: Depth=1
	s_waitcnt vmcnt(0)
	v_pk_add_f16 v2, v4, v3
	global_atomic_cmpswap v2, v[0:1], v[2:3], off glc
	s_waitcnt vmcnt(0)
	v_cmp_eq_u32_e32 vcc, v3, v2
	s_or_b64 s[0:1], vcc, s[0:1]
	v_mov_b32_e32 v3, v2
	s_andn2_b64 exec, exec, s[0:1]
	s_cbranch_execnz .LBB17_11
; %bb.12:
	s_or_b64 exec, exec, s[0:1]
	global_load_dword v3, v[0:1], off offset:4
	v_cvt_f16_f32_e32 v2, v9
	v_cvt_f16_f32_e32 v4, v12
	s_mov_b64 s[0:1], 0
	v_pack_b32_f16 v4, v2, v4
.LBB17_13:                              ; =>This Inner Loop Header: Depth=1
	s_waitcnt vmcnt(0)
	v_pk_add_f16 v2, v4, v3
	global_atomic_cmpswap v2, v[0:1], v[2:3], off offset:4 glc
	s_waitcnt vmcnt(0)
	v_cmp_eq_u32_e32 vcc, v3, v2
	s_or_b64 s[0:1], vcc, s[0:1]
	v_mov_b32_e32 v3, v2
	s_andn2_b64 exec, exec, s[0:1]
	s_cbranch_execnz .LBB17_13
.LBB17_14:
	s_endpgm
	.section	.rodata,"a",@progbits
	.p2align	6, 0x0
	.amdhsa_kernel _ZN4vllm4gptq33gemm_half_q_half_gptq_4bit_kernelILb1ELi1EEEvPK6__halfPKjS6_S4_PS2_iiiibPKi
		.amdhsa_group_segment_fixed_size 256
		.amdhsa_private_segment_fixed_size 0
		.amdhsa_kernarg_size 72
		.amdhsa_user_sgpr_count 6
		.amdhsa_user_sgpr_private_segment_buffer 1
		.amdhsa_user_sgpr_dispatch_ptr 0
		.amdhsa_user_sgpr_queue_ptr 0
		.amdhsa_user_sgpr_kernarg_segment_ptr 1
		.amdhsa_user_sgpr_dispatch_id 0
		.amdhsa_user_sgpr_flat_scratch_init 0
		.amdhsa_user_sgpr_private_segment_size 0
		.amdhsa_uses_dynamic_stack 0
		.amdhsa_system_sgpr_private_segment_wavefront_offset 0
		.amdhsa_system_sgpr_workgroup_id_x 1
		.amdhsa_system_sgpr_workgroup_id_y 1
		.amdhsa_system_sgpr_workgroup_id_z 1
		.amdhsa_system_sgpr_workgroup_info 0
		.amdhsa_system_vgpr_workitem_id 0
		.amdhsa_next_free_vgpr 47
		.amdhsa_next_free_sgpr 24
		.amdhsa_reserve_vcc 1
		.amdhsa_reserve_flat_scratch 0
		.amdhsa_float_round_mode_32 0
		.amdhsa_float_round_mode_16_64 0
		.amdhsa_float_denorm_mode_32 3
		.amdhsa_float_denorm_mode_16_64 3
		.amdhsa_dx10_clamp 1
		.amdhsa_ieee_mode 1
		.amdhsa_fp16_overflow 0
		.amdhsa_exception_fp_ieee_invalid_op 0
		.amdhsa_exception_fp_denorm_src 0
		.amdhsa_exception_fp_ieee_div_zero 0
		.amdhsa_exception_fp_ieee_overflow 0
		.amdhsa_exception_fp_ieee_underflow 0
		.amdhsa_exception_fp_ieee_inexact 0
		.amdhsa_exception_int_div_zero 0
	.end_amdhsa_kernel
	.section	.text._ZN4vllm4gptq33gemm_half_q_half_gptq_4bit_kernelILb1ELi1EEEvPK6__halfPKjS6_S4_PS2_iiiibPKi,"axG",@progbits,_ZN4vllm4gptq33gemm_half_q_half_gptq_4bit_kernelILb1ELi1EEEvPK6__halfPKjS6_S4_PS2_iiiibPKi,comdat
.Lfunc_end17:
	.size	_ZN4vllm4gptq33gemm_half_q_half_gptq_4bit_kernelILb1ELi1EEEvPK6__halfPKjS6_S4_PS2_iiiibPKi, .Lfunc_end17-_ZN4vllm4gptq33gemm_half_q_half_gptq_4bit_kernelILb1ELi1EEEvPK6__halfPKjS6_S4_PS2_iiiibPKi
                                        ; -- End function
	.set _ZN4vllm4gptq33gemm_half_q_half_gptq_4bit_kernelILb1ELi1EEEvPK6__halfPKjS6_S4_PS2_iiiibPKi.num_vgpr, 47
	.set _ZN4vllm4gptq33gemm_half_q_half_gptq_4bit_kernelILb1ELi1EEEvPK6__halfPKjS6_S4_PS2_iiiibPKi.num_agpr, 0
	.set _ZN4vllm4gptq33gemm_half_q_half_gptq_4bit_kernelILb1ELi1EEEvPK6__halfPKjS6_S4_PS2_iiiibPKi.numbered_sgpr, 24
	.set _ZN4vllm4gptq33gemm_half_q_half_gptq_4bit_kernelILb1ELi1EEEvPK6__halfPKjS6_S4_PS2_iiiibPKi.num_named_barrier, 0
	.set _ZN4vllm4gptq33gemm_half_q_half_gptq_4bit_kernelILb1ELi1EEEvPK6__halfPKjS6_S4_PS2_iiiibPKi.private_seg_size, 0
	.set _ZN4vllm4gptq33gemm_half_q_half_gptq_4bit_kernelILb1ELi1EEEvPK6__halfPKjS6_S4_PS2_iiiibPKi.uses_vcc, 1
	.set _ZN4vllm4gptq33gemm_half_q_half_gptq_4bit_kernelILb1ELi1EEEvPK6__halfPKjS6_S4_PS2_iiiibPKi.uses_flat_scratch, 0
	.set _ZN4vllm4gptq33gemm_half_q_half_gptq_4bit_kernelILb1ELi1EEEvPK6__halfPKjS6_S4_PS2_iiiibPKi.has_dyn_sized_stack, 0
	.set _ZN4vllm4gptq33gemm_half_q_half_gptq_4bit_kernelILb1ELi1EEEvPK6__halfPKjS6_S4_PS2_iiiibPKi.has_recursion, 0
	.set _ZN4vllm4gptq33gemm_half_q_half_gptq_4bit_kernelILb1ELi1EEEvPK6__halfPKjS6_S4_PS2_iiiibPKi.has_indirect_call, 0
	.section	.AMDGPU.csdata,"",@progbits
; Kernel info:
; codeLenInByte = 4056
; TotalNumSgprs: 28
; NumVgprs: 47
; ScratchSize: 0
; MemoryBound: 0
; FloatMode: 240
; IeeeMode: 1
; LDSByteSize: 256 bytes/workgroup (compile time only)
; SGPRBlocks: 3
; VGPRBlocks: 11
; NumSGPRsForWavesPerEU: 28
; NumVGPRsForWavesPerEU: 47
; Occupancy: 5
; WaveLimiterHint : 0
; COMPUTE_PGM_RSRC2:SCRATCH_EN: 0
; COMPUTE_PGM_RSRC2:USER_SGPR: 6
; COMPUTE_PGM_RSRC2:TRAP_HANDLER: 0
; COMPUTE_PGM_RSRC2:TGID_X_EN: 1
; COMPUTE_PGM_RSRC2:TGID_Y_EN: 1
; COMPUTE_PGM_RSRC2:TGID_Z_EN: 1
; COMPUTE_PGM_RSRC2:TIDIG_COMP_CNT: 0
	.section	.text._ZN4vllm4gptq33gemm_half_q_half_gptq_8bit_kernelILb1ELi1EEEvPK6__halfPKjS6_S4_PS2_iiiibPKi,"axG",@progbits,_ZN4vllm4gptq33gemm_half_q_half_gptq_8bit_kernelILb1ELi1EEEvPK6__halfPKjS6_S4_PS2_iiiibPKi,comdat
	.protected	_ZN4vllm4gptq33gemm_half_q_half_gptq_8bit_kernelILb1ELi1EEEvPK6__halfPKjS6_S4_PS2_iiiibPKi ; -- Begin function _ZN4vllm4gptq33gemm_half_q_half_gptq_8bit_kernelILb1ELi1EEEvPK6__halfPKjS6_S4_PS2_iiiibPKi
	.globl	_ZN4vllm4gptq33gemm_half_q_half_gptq_8bit_kernelILb1ELi1EEEvPK6__halfPKjS6_S4_PS2_iiiibPKi
	.p2align	8
	.type	_ZN4vllm4gptq33gemm_half_q_half_gptq_8bit_kernelILb1ELi1EEEvPK6__halfPKjS6_S4_PS2_iiiibPKi,@function
_ZN4vllm4gptq33gemm_half_q_half_gptq_8bit_kernelILb1ELi1EEEvPK6__halfPKjS6_S4_PS2_iiiibPKi: ; @_ZN4vllm4gptq33gemm_half_q_half_gptq_8bit_kernelILb1ELi1EEEvPK6__halfPKjS6_S4_PS2_iiiibPKi
; %bb.0:
	s_mov_b64 s[26:27], s[2:3]
	s_mov_b64 s[24:25], s[0:1]
	s_load_dwordx4 s[0:3], s[4:5], 0x2c
	s_add_u32 s24, s24, s9
	s_addc_u32 s25, s25, 0
	s_lshl_b32 s22, s8, 7
	s_add_i32 s8, s22, 0x80
	v_cvt_f64_u32_e32 v[1:2], s8
	s_waitcnt lgkmcnt(0)
	v_cvt_f64_i32_e32 v[3:4], s1
	s_load_dwordx8 s[8:15], s[4:5], 0x8
	v_min_f64 v[1:2], v[1:2], v[3:4]
	v_cvt_i32_f64_e32 v2, v[1:2]
	v_add_u32_e32 v1, s22, v0
	v_readfirstlane_b32 s23, v2
	v_cmp_lt_u32_e32 vcc, v1, v2
	s_and_saveexec_b64 s[16:17], vcc
	s_cbranch_execz .LBB18_4
; %bb.1:
	s_load_dwordx2 s[20:21], s[4:5], 0x40
	s_load_dwordx2 s[18:19], s[4:5], 0x0
	v_mov_b32_e32 v2, 0
	s_waitcnt lgkmcnt(0)
	s_cmp_eq_u64 s[20:21], 0
	s_cbranch_scc1 .LBB18_3
; %bb.2:
	v_lshlrev_b64 v[1:2], 2, v[1:2]
	v_mov_b32_e32 v3, s21
	v_add_co_u32_e32 v1, vcc, s20, v1
	v_addc_co_u32_e32 v2, vcc, v3, v2, vcc
	global_load_dword v1, v[1:2], off
	s_waitcnt vmcnt(0)
	v_ashrrev_i32_e32 v2, 31, v1
.LBB18_3:
	s_mul_i32 s4, s1, s7
	s_ashr_i32 s5, s4, 31
	s_lshl_b64 s[4:5], s[4:5], 1
	s_add_u32 s4, s18, s4
	v_lshlrev_b64 v[1:2], 1, v[1:2]
	s_addc_u32 s5, s19, s5
	v_mov_b32_e32 v3, s5
	v_add_co_u32_e32 v1, vcc, s4, v1
	v_addc_co_u32_e32 v2, vcc, v3, v2, vcc
	global_load_ushort v1, v[1:2], off
	v_lshlrev_b32_e32 v2, 1, v0
	s_waitcnt vmcnt(0)
	ds_write_b16 v2, v1
.LBB18_4:
	s_or_b64 exec, exec, s[16:17]
	v_lshlrev_b32_e32 v0, 2, v0
	v_lshl_add_u32 v1, s6, 9, v0
	v_mov_b32_e32 v0, v1
	buffer_store_dword v0, off, s[24:27], 0 offset:24 ; 4-byte Folded Spill
	s_nop 0
	buffer_store_dword v1, off, s[24:27], 0 offset:28 ; 4-byte Folded Spill
	v_cmp_gt_i32_e32 vcc, s0, v1
	s_and_saveexec_b64 s[4:5], vcc
	s_cbranch_execz .LBB18_17
; %bb.5:
	s_abs_i32 s4, s2
	v_cvt_f32_u32_e32 v0, s4
	s_cmp_ge_i32 s22, s23
	s_mov_b32 s6, 0
	s_waitcnt lgkmcnt(0)
	v_rcp_iflag_f32_e32 v0, v0
	s_waitcnt vmcnt(0)
	s_barrier
	v_mul_f32_e32 v0, 0x4f7ffffe, v0
	v_cvt_u32_f32_e32 v0, v0
	v_readfirstlane_b32 s5, v0
	s_cbranch_scc1 .LBB18_11
; %bb.6:
	buffer_load_dword v1, off, s[24:27], 0 offset:24 ; 4-byte Folded Reload
	buffer_load_dword v2, off, s[24:27], 0 offset:28 ; 4-byte Folded Reload
	s_sub_i32 s17, 0, s4
	s_mul_i32 s17, s17, s5
	s_mul_hi_u32 s17, s5, s17
	s_ashr_i32 s16, s1, 31
	s_abs_i32 s1, s1
	s_add_i32 s5, s5, s17
	s_ashr_i32 s2, s2, 31
	s_mul_hi_u32 s5, s1, s5
	s_xor_b32 s2, s16, s2
	s_mul_i32 s16, s5, s4
	s_sub_i32 s1, s1, s16
	s_add_i32 s16, s5, 1
	s_sub_i32 s17, s1, s4
	s_cmp_ge_u32 s1, s4
	s_cselect_b32 s5, s16, s5
	s_cselect_b32 s1, s17, s1
	s_add_i32 s16, s5, 1
	s_cmp_ge_u32 s1, s4
	s_cselect_b32 s1, s16, s5
	s_xor_b32 s1, s1, s2
	s_sub_i32 s16, s1, s2
	v_cvt_f32_u32_e32 v0, s16
	s_bitcmp1_b32 s3, 0
	s_cselect_b64 s[2:3], -1, 0
	s_sub_i32 s1, 0, s16
	v_rcp_iflag_f32_e32 v0, v0
	s_xor_b64 s[2:3], s[2:3], -1
	v_mov_b32_e32 v5, s11
	v_mov_b32_e32 v4, s13
	v_mul_f32_e32 v0, 0x4f7ffffe, v0
	v_cvt_u32_f32_e32 v0, v0
	v_mov_b32_e32 v8, 0
	v_mov_b32_e32 v9, 0
	v_readfirstlane_b32 s4, v0
	s_mul_i32 s1, s1, s4
	s_mul_hi_u32 s1, s4, s1
	s_add_i32 s4, s4, s1
	s_mul_hi_u32 s1, s22, s4
	s_mul_i32 s4, s1, s16
	s_sub_i32 s4, s22, s4
	s_add_i32 s5, s1, 1
	s_sub_i32 s17, s4, s16
	s_cmp_ge_u32 s4, s16
	s_cselect_b32 s1, s5, s1
	s_cselect_b32 s4, s17, s4
	s_add_i32 s5, s1, 1
	s_cmp_ge_u32 s4, s16
	s_cselect_b32 s17, s5, s1
	s_mul_i32 s1, s17, s0
	s_ashr_i32 s4, s1, 31
	s_lshr_b32 s4, s4, 30
	s_waitcnt vmcnt(1)
	v_mov_b32_e32 v6, v1
	v_add_u32_e32 v0, s1, v6
	s_add_i32 s1, s1, s4
	s_waitcnt vmcnt(0)
	v_ashrrev_i32_e32 v2, 2, v6
	s_ashr_i32 s1, s1, 2
	buffer_store_dword v2, off, s[24:27], 0 offset:32 ; 4-byte Folded Spill
	v_add_u32_e32 v2, s1, v2
	v_ashrrev_i32_e32 v3, 31, v2
	v_lshlrev_b64 v[2:3], 2, v[2:3]
	v_ashrrev_i32_e32 v1, 31, v0
	v_lshlrev_b64 v[0:1], 1, v[0:1]
	v_add_co_u32_e32 v2, vcc, s10, v2
	v_addc_co_u32_e32 v3, vcc, v5, v3, vcc
	v_add_co_u32_e32 v0, vcc, s12, v0
	global_load_dword v2, v[2:3], off
	v_addc_co_u32_e32 v1, vcc, v4, v1, vcc
	global_load_dwordx2 v[14:15], v[0:1], off
	s_lshr_b32 s1, s22, 2
	v_mov_b32_e32 v0, 0
	v_cndmask_b32_e64 v3, 0, 1, s[2:3]
	s_mul_i32 s2, s0, s1
	buffer_store_dword v0, off, s[24:27], 0 offset:8 ; 4-byte Folded Spill
	v_mov_b32_e32 v0, v6
	s_ashr_i32 s3, s2, 31
	v_ashrrev_i32_e32 v7, 31, v6
	buffer_store_dword v0, off, s[24:27], 0 offset:24 ; 4-byte Folded Spill
	s_nop 0
	buffer_store_dword v1, off, s[24:27], 0 offset:28 ; 4-byte Folded Spill
	s_lshl_b64 s[2:3], s[2:3], 2
	v_lshlrev_b64 v[0:1], 2, v[6:7]
	s_add_u32 s18, s8, s2
	s_addc_u32 s2, s9, s3
	buffer_store_dword v3, off, s[24:27], 0 offset:20 ; 4-byte Folded Spill
	s_ashr_i32 s1, s0, 31
	v_mov_b32_e32 v3, s2
	v_add_co_u32_e32 v16, vcc, s18, v0
	v_mov_b32_e32 v5, 0
	s_add_i32 s8, s16, s22
	s_lshl_b64 s[2:3], s[0:1], 5
	s_lshl_b64 s[4:5], s[0:1], 2
	v_addc_co_u32_e32 v17, vcc, v3, v1, vcc
	s_waitcnt vmcnt(5)
	v_and_b32_e32 v3, 0xff, v2
	v_bfe_u32 v18, v2, 8, 8
	v_bfe_u32 v19, v2, 16, 8
	v_lshrrev_b32_e32 v20, 24, v2
.LBB18_7:                               ; =>This Inner Loop Header: Depth=1
	s_cmp_lg_u32 s22, s8
	buffer_store_dword v5, off, s[24:27], 0 ; 4-byte Folded Spill
	buffer_store_dword v8, off, s[24:27], 0 offset:4 ; 4-byte Folded Spill
	buffer_store_dword v9, off, s[24:27], 0 offset:12 ; 4-byte Folded Spill
	s_cbranch_scc1 .LBB18_9
; %bb.8:                                ;   in Loop: Header=BB18_7 Depth=1
	buffer_load_dword v0, off, s[24:27], 0 offset:32 ; 4-byte Folded Reload
	s_add_i32 s17, s17, 1
	s_mul_i32 s1, s17, s0
	s_ashr_i32 s9, s1, 31
	s_lshr_b32 s9, s9, 30
	s_add_i32 s9, s1, s9
	s_ashr_i32 s9, s9, 2
	v_mov_b32_e32 v2, s11
	s_waitcnt vmcnt(5)
	v_mov_b32_e32 v3, s13
	s_add_i32 s8, s8, s16
	s_waitcnt vmcnt(0)
	v_add_u32_e32 v0, s9, v0
	v_ashrrev_i32_e32 v1, 31, v0
	v_lshlrev_b64 v[0:1], 2, v[0:1]
	v_add_co_u32_e32 v0, vcc, s10, v0
	v_addc_co_u32_e32 v1, vcc, v2, v1, vcc
	global_load_dword v2, v[0:1], off
	s_nop 0
	buffer_load_dword v0, off, s[24:27], 0 offset:24 ; 4-byte Folded Reload
	buffer_load_dword v1, off, s[24:27], 0 offset:28 ; 4-byte Folded Reload
	s_waitcnt vmcnt(1)
	v_add_u32_e32 v0, s1, v0
	s_waitcnt vmcnt(0)
	v_ashrrev_i32_e32 v1, 31, v0
	v_lshlrev_b64 v[0:1], 1, v[0:1]
	v_bfe_u32 v18, v2, 8, 8
	v_add_co_u32_e32 v0, vcc, s12, v0
	v_addc_co_u32_e32 v1, vcc, v3, v1, vcc
	global_load_dwordx2 v[14:15], v[0:1], off
	v_and_b32_e32 v3, 0xff, v2
	v_bfe_u32 v19, v2, 16, 8
	v_lshrrev_b32_e32 v20, 24, v2
.LBB18_9:                               ;   in Loop: Header=BB18_7 Depth=1
	buffer_load_dword v2, off, s[24:27], 0 offset:20 ; 4-byte Folded Reload
	global_load_dwordx4 v[4:7], v[16:17], off
	v_mov_b32_e32 v38, s5
	v_add_co_u32_e32 v0, vcc, s4, v16
	v_addc_co_u32_e32 v1, vcc, v17, v38, vcc
	global_load_dwordx4 v[8:11], v[0:1], off
	v_mov_b32_e32 v12, v20
	v_mov_b32_e32 v33, s6
	v_add_co_u32_e32 v0, vcc, s4, v0
	v_addc_co_u32_e32 v1, vcc, v1, v38, vcc
	v_mov_b32_e32 v13, v18
	v_mov_b32_e32 v24, v19
	s_waitcnt vmcnt(7)
	buffer_store_dword v3, off, s[24:27], 0 offset:16 ; 4-byte Folded Spill
	s_add_i32 s22, s22, 32
	s_add_i32 s6, s6, 64
	s_cmp_ge_i32 s22, s23
	s_waitcnt vmcnt(3)
	v_add_u32_e32 v37, v3, v2
	v_add_u32_e32 v34, v20, v2
	s_waitcnt vmcnt(2)
	v_sub_u32_sdwa v20, v4, v37 dst_sel:DWORD dst_unused:UNUSED_PAD src0_sel:BYTE_0 src1_sel:DWORD
	v_sub_u32_sdwa v21, v4, v37 dst_sel:DWORD dst_unused:UNUSED_PAD src0_sel:BYTE_1 src1_sel:DWORD
	v_cvt_f32_i32_e32 v53, v20
	v_cvt_f32_i32_e32 v54, v21
	v_add_u32_e32 v36, v18, v2
	v_sub_u32_sdwa v51, v5, v36 dst_sel:DWORD dst_unused:UNUSED_PAD src0_sel:BYTE_0 src1_sel:DWORD
	v_cvt_f16_f32_e32 v20, v53
	v_cvt_f16_f32_e32 v21, v54
	ds_read_b128 v[53:56], v33
	v_sub_u32_sdwa v52, v5, v36 dst_sel:DWORD dst_unused:UNUSED_PAD src0_sel:BYTE_1 src1_sel:DWORD
	v_cvt_f32_i32_e32 v22, v52
	v_sub_u32_sdwa v47, v4, v37 dst_sel:DWORD dst_unused:UNUSED_PAD src0_sel:BYTE_2 src1_sel:DWORD
	v_sub_u32_sdwa v48, v5, v36 dst_sel:DWORD dst_unused:UNUSED_PAD src0_sel:BYTE_2 src1_sel:DWORD
	s_waitcnt lgkmcnt(0)
	v_fma_mix_f32 v20, v20, v53, 0 op_sel_hi:[1,1,0]
	v_fma_mix_f32 v20, v21, v53, v20 op_sel:[0,1,0] op_sel_hi:[1,1,0]
	v_cvt_f32_i32_e32 v21, v51
	v_cvt_f16_f32_e32 v22, v22
	s_waitcnt vmcnt(1)
	v_sub_u32_sdwa v49, v8, v37 dst_sel:DWORD dst_unused:UNUSED_PAD src0_sel:BYTE_0 src1_sel:DWORD
	v_sub_u32_sdwa v50, v9, v36 dst_sel:DWORD dst_unused:UNUSED_PAD src0_sel:BYTE_0 src1_sel:DWORD
	v_cvt_f16_f32_e32 v21, v21
	v_cvt_f32_i32_e32 v23, v50
	v_sub_u32_sdwa v4, v4, v37 dst_sel:DWORD dst_unused:UNUSED_PAD src0_sel:BYTE_3 src1_sel:DWORD
	v_sub_u32_sdwa v5, v5, v36 dst_sel:DWORD dst_unused:UNUSED_PAD src0_sel:BYTE_3 src1_sel:DWORD
	v_fma_mix_f32 v21, v21, v53, 0 op_sel_hi:[1,1,0]
	v_fma_mix_f32 v21, v22, v53, v21 op_sel:[0,1,0] op_sel_hi:[1,1,0]
	v_cvt_f32_i32_e32 v22, v47
	v_cvt_f32_i32_e32 v4, v4
	v_cvt_f32_i32_e32 v5, v5
	v_sub_u32_sdwa v44, v8, v37 dst_sel:DWORD dst_unused:UNUSED_PAD src0_sel:BYTE_1 src1_sel:DWORD
	v_cvt_f16_f32_e32 v22, v22
	v_cvt_f16_f32_e32 v4, v4
	v_cvt_f16_f32_e32 v5, v5
	v_sub_u32_sdwa v46, v9, v36 dst_sel:DWORD dst_unused:UNUSED_PAD src0_sel:BYTE_1 src1_sel:DWORD
	v_fma_mix_f32 v20, v22, v54, v20 op_sel_hi:[1,1,0]
	v_cvt_f32_i32_e32 v22, v48
	v_fma_mix_f32 v20, v4, v54, v20 op_sel:[0,1,0] op_sel_hi:[1,1,0]
	v_add_co_u32_e32 v4, vcc, s4, v0
	v_cvt_f16_f32_e32 v22, v22
	v_cvt_f16_f32_e32 v23, v23
	v_sub_u32_sdwa v43, v8, v37 dst_sel:DWORD dst_unused:UNUSED_PAD src0_sel:BYTE_2 src1_sel:DWORD
	v_sub_u32_sdwa v29, v8, v37 dst_sel:DWORD dst_unused:UNUSED_PAD src0_sel:BYTE_3 src1_sel:DWORD
	v_fma_mix_f32 v21, v22, v54, v21 op_sel_hi:[1,1,0]
	v_cvt_f32_i32_e32 v22, v49
	global_load_dwordx4 v[47:50], v[0:1], off
	v_fma_mix_f32 v21, v5, v54, v21 op_sel:[0,1,0] op_sel_hi:[1,1,0]
	v_addc_co_u32_e32 v5, vcc, v1, v38, vcc
	global_load_dwordx4 v[25:28], v[4:5], off
	v_cvt_f32_i32_e32 v0, v44
	v_cvt_f32_i32_e32 v1, v46
	v_cvt_f16_f32_e32 v22, v22
	v_sub_u32_sdwa v45, v9, v36 dst_sel:DWORD dst_unused:UNUSED_PAD src0_sel:BYTE_2 src1_sel:DWORD
	v_cvt_f16_f32_e32 v0, v0
	v_cvt_f16_f32_e32 v1, v1
	v_fma_mix_f32 v20, v22, v55, v20 op_sel_hi:[1,1,0]
	v_cvt_f32_i32_e32 v22, v43
	v_sub_u32_sdwa v30, v9, v36 dst_sel:DWORD dst_unused:UNUSED_PAD src0_sel:BYTE_3 src1_sel:DWORD
	v_fma_mix_f32 v21, v23, v55, v21 op_sel_hi:[1,1,0]
	v_cvt_f32_i32_e32 v23, v45
	v_fma_mix_f32 v0, v0, v55, v20 op_sel:[0,1,0] op_sel_hi:[1,1,0]
	v_cvt_f32_i32_e32 v20, v29
	v_fma_mix_f32 v1, v1, v55, v21 op_sel:[0,1,0] op_sel_hi:[1,1,0]
	v_cvt_f32_i32_e32 v21, v30
	v_cvt_f16_f32_e32 v22, v22
	v_cvt_f16_f32_e32 v23, v23
	v_cvt_f16_f32_e32 v20, v20
	v_cvt_f16_f32_e32 v21, v21
	v_add_u32_e32 v35, v19, v2
	v_sub_u32_sdwa v18, v6, v35 dst_sel:DWORD dst_unused:UNUSED_PAD src0_sel:BYTE_0 src1_sel:DWORD
	v_fma_mix_f32 v0, v22, v56, v0 op_sel_hi:[1,1,0]
	v_sub_u32_sdwa v19, v6, v35 dst_sel:DWORD dst_unused:UNUSED_PAD src0_sel:BYTE_1 src1_sel:DWORD
	v_fma_mix_f32 v1, v23, v56, v1 op_sel_hi:[1,1,0]
	v_fma_mix_f32 v30, v20, v56, v0 op_sel:[0,1,0] op_sel_hi:[1,1,0]
	v_cvt_f32_i32_e32 v0, v18
	v_sub_u32_sdwa v31, v6, v35 dst_sel:DWORD dst_unused:UNUSED_PAD src0_sel:BYTE_2 src1_sel:DWORD
	v_fma_mix_f32 v29, v21, v56, v1 op_sel:[0,1,0] op_sel_hi:[1,1,0]
	v_cvt_f32_i32_e32 v1, v19
	v_sub_u32_sdwa v32, v6, v35 dst_sel:DWORD dst_unused:UNUSED_PAD src0_sel:BYTE_3 src1_sel:DWORD
	v_cvt_f32_i32_e32 v18, v31
	v_cvt_f32_i32_e32 v19, v32
	v_cvt_f16_f32_e32 v0, v0
	v_cvt_f16_f32_e32 v1, v1
	;; [unrolled: 1-line block ×4, first 2 shown]
	v_sub_u32_sdwa v39, v10, v35 dst_sel:DWORD dst_unused:UNUSED_PAD src0_sel:BYTE_0 src1_sel:DWORD
	v_fma_mix_f32 v0, v0, v53, 0 op_sel_hi:[1,1,0]
	v_sub_u32_sdwa v40, v10, v35 dst_sel:DWORD dst_unused:UNUSED_PAD src0_sel:BYTE_1 src1_sel:DWORD
	v_fma_mix_f32 v0, v1, v53, v0 op_sel:[0,1,0] op_sel_hi:[1,1,0]
	v_cvt_f32_i32_e32 v1, v39
	v_sub_u32_sdwa v41, v10, v35 dst_sel:DWORD dst_unused:UNUSED_PAD src0_sel:BYTE_2 src1_sel:DWORD
	v_fma_mix_f32 v0, v18, v54, v0 op_sel_hi:[1,1,0]
	v_cvt_f32_i32_e32 v18, v40
	v_sub_u32_sdwa v42, v10, v35 dst_sel:DWORD dst_unused:UNUSED_PAD src0_sel:BYTE_3 src1_sel:DWORD
	v_fma_mix_f32 v0, v19, v54, v0 op_sel:[0,1,0] op_sel_hi:[1,1,0]
	v_cvt_f32_i32_e32 v19, v41
	v_cvt_f32_i32_e32 v20, v42
	v_cvt_f16_f32_e32 v1, v1
	v_cvt_f16_f32_e32 v18, v18
	;; [unrolled: 1-line block ×4, first 2 shown]
	v_fma_mix_f32 v0, v1, v55, v0 op_sel_hi:[1,1,0]
	v_fma_mix_f32 v0, v18, v55, v0 op_sel:[0,1,0] op_sel_hi:[1,1,0]
	v_sub_u32_sdwa v2, v7, v34 dst_sel:DWORD dst_unused:UNUSED_PAD src0_sel:BYTE_0 src1_sel:DWORD
	v_fma_mix_f32 v0, v19, v56, v0 op_sel_hi:[1,1,0]
	v_sub_u32_sdwa v3, v7, v34 dst_sel:DWORD dst_unused:UNUSED_PAD src0_sel:BYTE_1 src1_sel:DWORD
	v_fma_mix_f32 v31, v20, v56, v0 op_sel:[0,1,0] op_sel_hi:[1,1,0]
	v_cvt_f32_i32_e32 v0, v2
	v_sub_u32_sdwa v6, v7, v34 dst_sel:DWORD dst_unused:UNUSED_PAD src0_sel:BYTE_2 src1_sel:DWORD
	v_cvt_f32_i32_e32 v1, v3
	v_sub_u32_sdwa v7, v7, v34 dst_sel:DWORD dst_unused:UNUSED_PAD src0_sel:BYTE_3 src1_sel:DWORD
	v_cvt_f32_i32_e32 v2, v6
	v_cvt_f32_i32_e32 v3, v7
	v_cvt_f16_f32_e32 v0, v0
	v_cvt_f16_f32_e32 v1, v1
	;; [unrolled: 1-line block ×4, first 2 shown]
	v_sub_u32_sdwa v8, v11, v34 dst_sel:DWORD dst_unused:UNUSED_PAD src0_sel:BYTE_0 src1_sel:DWORD
	v_fma_mix_f32 v0, v0, v53, 0 op_sel_hi:[1,1,0]
	v_sub_u32_sdwa v9, v11, v34 dst_sel:DWORD dst_unused:UNUSED_PAD src0_sel:BYTE_1 src1_sel:DWORD
	v_fma_mix_f32 v0, v1, v53, v0 op_sel:[0,1,0] op_sel_hi:[1,1,0]
	v_cvt_f32_i32_e32 v1, v8
	v_sub_u32_sdwa v10, v11, v34 dst_sel:DWORD dst_unused:UNUSED_PAD src0_sel:BYTE_2 src1_sel:DWORD
	v_fma_mix_f32 v0, v2, v54, v0 op_sel_hi:[1,1,0]
	v_cvt_f32_i32_e32 v2, v9
	v_sub_u32_sdwa v11, v11, v34 dst_sel:DWORD dst_unused:UNUSED_PAD src0_sel:BYTE_3 src1_sel:DWORD
	v_fma_mix_f32 v0, v3, v54, v0 op_sel:[0,1,0] op_sel_hi:[1,1,0]
	v_cvt_f32_i32_e32 v3, v10
	v_cvt_f32_i32_e32 v6, v11
	v_cvt_f16_f32_e32 v1, v1
	v_cvt_f16_f32_e32 v2, v2
	;; [unrolled: 1-line block ×4, first 2 shown]
	v_fma_mix_f32 v0, v1, v55, v0 op_sel_hi:[1,1,0]
	v_fma_mix_f32 v0, v2, v55, v0 op_sel:[0,1,0] op_sel_hi:[1,1,0]
	v_fma_mix_f32 v0, v3, v56, v0 op_sel_hi:[1,1,0]
	v_fma_mix_f32 v32, v6, v56, v0 op_sel:[0,1,0] op_sel_hi:[1,1,0]
	s_waitcnt vmcnt(1)
	v_sub_u32_sdwa v0, v47, v37 dst_sel:DWORD dst_unused:UNUSED_PAD src0_sel:BYTE_0 src1_sel:DWORD
	v_sub_u32_sdwa v1, v47, v37 dst_sel:DWORD dst_unused:UNUSED_PAD src0_sel:BYTE_1 src1_sel:DWORD
	v_cvt_f32_i32_e32 v0, v0
	v_cvt_f32_i32_e32 v1, v1
	v_sub_u32_sdwa v58, v47, v37 dst_sel:DWORD dst_unused:UNUSED_PAD src0_sel:BYTE_2 src1_sel:DWORD
	v_cvt_f32_i32_e32 v21, v58
	v_cvt_f16_f32_e32 v61, v0
	v_cvt_f16_f32_e32 v62, v1
	ds_read_b128 v[0:3], v33 offset:16
	v_cvt_f16_f32_e32 v21, v21
	v_sub_u32_sdwa v56, v47, v37 dst_sel:DWORD dst_unused:UNUSED_PAD src0_sel:BYTE_3 src1_sel:DWORD
	s_waitcnt vmcnt(0)
	v_sub_u32_sdwa v60, v25, v37 dst_sel:DWORD dst_unused:UNUSED_PAD src0_sel:BYTE_0 src1_sel:DWORD
	v_sub_u32_sdwa v59, v25, v37 dst_sel:DWORD dst_unused:UNUSED_PAD src0_sel:BYTE_1 src1_sel:DWORD
	s_waitcnt lgkmcnt(0)
	v_fma_mix_f32 v20, v61, v0, 0 op_sel_hi:[1,1,0]
	v_fma_mix_f32 v20, v62, v0, v20 op_sel:[0,1,0] op_sel_hi:[1,1,0]
	v_fma_mix_f32 v20, v21, v1, v20 op_sel_hi:[1,1,0]
	v_cvt_f32_i32_e32 v21, v56
	v_sub_u32_sdwa v57, v25, v37 dst_sel:DWORD dst_unused:UNUSED_PAD src0_sel:BYTE_2 src1_sel:DWORD
	v_sub_u32_sdwa v18, v48, v36 dst_sel:DWORD dst_unused:UNUSED_PAD src0_sel:BYTE_0 src1_sel:DWORD
	v_sub_u32_sdwa v19, v48, v36 dst_sel:DWORD dst_unused:UNUSED_PAD src0_sel:BYTE_1 src1_sel:DWORD
	v_cvt_f16_f32_e32 v21, v21
	v_cvt_f32_i32_e32 v18, v18
	v_sub_u32_sdwa v7, v48, v36 dst_sel:DWORD dst_unused:UNUSED_PAD src0_sel:BYTE_2 src1_sel:DWORD
	v_cvt_f32_i32_e32 v19, v19
	v_fma_mix_f32 v20, v21, v1, v20 op_sel:[0,1,0] op_sel_hi:[1,1,0]
	v_cvt_f32_i32_e32 v21, v60
	v_cvt_f32_i32_e32 v7, v7
	v_sub_u32_sdwa v39, v25, v37 dst_sel:DWORD dst_unused:UNUSED_PAD src0_sel:BYTE_3 src1_sel:DWORD
	v_cvt_f16_f32_e32 v18, v18
	v_cvt_f16_f32_e32 v21, v21
	;; [unrolled: 1-line block ×4, first 2 shown]
	v_sub_u32_sdwa v6, v48, v36 dst_sel:DWORD dst_unused:UNUSED_PAD src0_sel:BYTE_3 src1_sel:DWORD
	v_fma_mix_f32 v20, v21, v2, v20 op_sel_hi:[1,1,0]
	v_cvt_f32_i32_e32 v21, v59
	v_fma_mix_f32 v18, v18, v0, 0 op_sel_hi:[1,1,0]
	v_sub_u32_sdwa v40, v26, v36 dst_sel:DWORD dst_unused:UNUSED_PAD src0_sel:BYTE_0 src1_sel:DWORD
	v_fma_mix_f32 v18, v19, v0, v18 op_sel:[0,1,0] op_sel_hi:[1,1,0]
	v_cvt_f16_f32_e32 v21, v21
	v_cvt_f32_i32_e32 v6, v6
	v_sub_u32_sdwa v54, v26, v36 dst_sel:DWORD dst_unused:UNUSED_PAD src0_sel:BYTE_1 src1_sel:DWORD
	v_fma_mix_f32 v7, v7, v1, v18 op_sel_hi:[1,1,0]
	v_fma_mix_f32 v20, v21, v2, v20 op_sel:[0,1,0] op_sel_hi:[1,1,0]
	v_cvt_f32_i32_e32 v21, v57
	v_cvt_f32_i32_e32 v18, v40
	v_sub_u32_sdwa v55, v26, v36 dst_sel:DWORD dst_unused:UNUSED_PAD src0_sel:BYTE_2 src1_sel:DWORD
	v_cvt_f32_i32_e32 v19, v54
	v_cvt_f16_f32_e32 v21, v21
	v_cvt_f16_f32_e32 v6, v6
	v_sub_u32_sdwa v8, v49, v35 dst_sel:DWORD dst_unused:UNUSED_PAD src0_sel:BYTE_0 src1_sel:DWORD
	v_cvt_f16_f32_e32 v18, v18
	v_fma_mix_f32 v20, v21, v3, v20 op_sel_hi:[1,1,0]
	v_cvt_f32_i32_e32 v21, v39
	v_sub_u32_sdwa v9, v49, v35 dst_sel:DWORD dst_unused:UNUSED_PAD src0_sel:BYTE_1 src1_sel:DWORD
	v_cvt_f16_f32_e32 v19, v19
	v_cvt_f32_i32_e32 v8, v8
	v_cvt_f16_f32_e32 v21, v21
	v_sub_u32_sdwa v10, v49, v35 dst_sel:DWORD dst_unused:UNUSED_PAD src0_sel:BYTE_2 src1_sel:DWORD
	v_sub_u32_sdwa v11, v26, v36 dst_sel:DWORD dst_unused:UNUSED_PAD src0_sel:BYTE_3 src1_sel:DWORD
	v_cvt_f32_i32_e32 v9, v9
	v_fma_mix_f32 v39, v21, v3, v20 op_sel:[0,1,0] op_sel_hi:[1,1,0]
	v_cvt_f32_i32_e32 v20, v55
	v_fma_mix_f32 v6, v6, v1, v7 op_sel:[0,1,0] op_sel_hi:[1,1,0]
	v_cvt_f32_i32_e32 v11, v11
	v_cvt_f32_i32_e32 v10, v10
	v_cvt_f16_f32_e32 v20, v20
	v_fma_mix_f32 v6, v18, v2, v6 op_sel_hi:[1,1,0]
	v_add_co_u32_e32 v18, vcc, s4, v4
	v_fma_mix_f32 v6, v19, v2, v6 op_sel:[0,1,0] op_sel_hi:[1,1,0]
	v_addc_co_u32_e32 v19, vcc, v5, v38, vcc
	v_cvt_f16_f32_e32 v8, v8
	v_fma_mix_f32 v20, v20, v3, v6 op_sel_hi:[1,1,0]
	global_load_dwordx4 v[4:7], v[18:19], off
	v_cvt_f16_f32_e32 v9, v9
	v_cvt_f16_f32_e32 v11, v11
	;; [unrolled: 1-line block ×3, first 2 shown]
	v_fma_mix_f32 v8, v8, v0, 0 op_sel_hi:[1,1,0]
	v_add_co_u32_e32 v18, vcc, s4, v18
	v_fma_mix_f32 v8, v9, v0, v8 op_sel:[0,1,0] op_sel_hi:[1,1,0]
	v_addc_co_u32_e32 v19, vcc, v19, v38, vcc
	v_fma_mix_f32 v40, v11, v3, v20 op_sel:[0,1,0] op_sel_hi:[1,1,0]
	v_fma_mix_f32 v20, v10, v1, v8 op_sel_hi:[1,1,0]
	global_load_dwordx4 v[8:11], v[18:19], off
	v_sub_u32_sdwa v41, v49, v35 dst_sel:DWORD dst_unused:UNUSED_PAD src0_sel:BYTE_3 src1_sel:DWORD
	v_cvt_f32_i32_e32 v21, v41
	v_sub_u32_sdwa v42, v50, v34 dst_sel:DWORD dst_unused:UNUSED_PAD src0_sel:BYTE_0 src1_sel:DWORD
	v_sub_u32_sdwa v43, v50, v34 dst_sel:DWORD dst_unused:UNUSED_PAD src0_sel:BYTE_1 src1_sel:DWORD
	v_sub_u32_sdwa v44, v50, v34 dst_sel:DWORD dst_unused:UNUSED_PAD src0_sel:BYTE_2 src1_sel:DWORD
	v_cvt_f16_f32_e32 v21, v21
	v_sub_u32_sdwa v45, v50, v34 dst_sel:DWORD dst_unused:UNUSED_PAD src0_sel:BYTE_3 src1_sel:DWORD
	v_sub_u32_sdwa v50, v27, v35 dst_sel:DWORD dst_unused:UNUSED_PAD src0_sel:BYTE_0 src1_sel:DWORD
	v_sub_u32_sdwa v51, v27, v35 dst_sel:DWORD dst_unused:UNUSED_PAD src0_sel:BYTE_1 src1_sel:DWORD
	v_fma_mix_f32 v20, v21, v1, v20 op_sel:[0,1,0] op_sel_hi:[1,1,0]
	v_cvt_f32_i32_e32 v21, v50
	v_sub_u32_sdwa v52, v27, v35 dst_sel:DWORD dst_unused:UNUSED_PAD src0_sel:BYTE_2 src1_sel:DWORD
	v_cvt_f32_i32_e32 v22, v51
	v_sub_u32_sdwa v53, v27, v35 dst_sel:DWORD dst_unused:UNUSED_PAD src0_sel:BYTE_3 src1_sel:DWORD
	v_cvt_f32_i32_e32 v23, v52
	v_cvt_f32_i32_e32 v25, v53
	v_cvt_f16_f32_e32 v21, v21
	v_cvt_f16_f32_e32 v22, v22
	;; [unrolled: 1-line block ×4, first 2 shown]
	v_fma_mix_f32 v20, v21, v2, v20 op_sel_hi:[1,1,0]
	v_fma_mix_f32 v20, v22, v2, v20 op_sel:[0,1,0] op_sel_hi:[1,1,0]
	v_fma_mix_f32 v20, v23, v3, v20 op_sel_hi:[1,1,0]
	v_fma_mix_f32 v41, v25, v3, v20 op_sel:[0,1,0] op_sel_hi:[1,1,0]
	v_cvt_f32_i32_e32 v20, v42
	v_cvt_f32_i32_e32 v21, v43
	;; [unrolled: 1-line block ×4, first 2 shown]
	v_cvt_f16_f32_e32 v20, v20
	v_cvt_f16_f32_e32 v21, v21
	;; [unrolled: 1-line block ×4, first 2 shown]
	v_fma_mix_f32 v20, v20, v0, 0 op_sel_hi:[1,1,0]
	v_fma_mix_f32 v0, v21, v0, v20 op_sel:[0,1,0] op_sel_hi:[1,1,0]
	v_sub_u32_sdwa v46, v28, v34 dst_sel:DWORD dst_unused:UNUSED_PAD src0_sel:BYTE_0 src1_sel:DWORD
	v_fma_mix_f32 v0, v22, v1, v0 op_sel_hi:[1,1,0]
	v_sub_u32_sdwa v47, v28, v34 dst_sel:DWORD dst_unused:UNUSED_PAD src0_sel:BYTE_1 src1_sel:DWORD
	v_fma_mix_f32 v0, v23, v1, v0 op_sel:[0,1,0] op_sel_hi:[1,1,0]
	v_cvt_f32_i32_e32 v1, v46
	v_sub_u32_sdwa v48, v28, v34 dst_sel:DWORD dst_unused:UNUSED_PAD src0_sel:BYTE_2 src1_sel:DWORD
	v_cvt_f32_i32_e32 v20, v47
	v_sub_u32_sdwa v49, v28, v34 dst_sel:DWORD dst_unused:UNUSED_PAD src0_sel:BYTE_3 src1_sel:DWORD
	v_cvt_f32_i32_e32 v21, v48
	v_cvt_f32_i32_e32 v22, v49
	v_cvt_f16_f32_e32 v1, v1
	v_cvt_f16_f32_e32 v20, v20
	;; [unrolled: 1-line block ×4, first 2 shown]
	v_fma_mix_f32 v0, v1, v2, v0 op_sel_hi:[1,1,0]
	v_fma_mix_f32 v0, v20, v2, v0 op_sel:[0,1,0] op_sel_hi:[1,1,0]
	v_fma_mix_f32 v0, v21, v3, v0 op_sel_hi:[1,1,0]
	v_fma_mix_f32 v42, v22, v3, v0 op_sel:[0,1,0] op_sel_hi:[1,1,0]
	s_waitcnt vmcnt(1)
	v_sub_u32_sdwa v0, v4, v37 dst_sel:DWORD dst_unused:UNUSED_PAD src0_sel:BYTE_0 src1_sel:DWORD
	v_sub_u32_sdwa v1, v4, v37 dst_sel:DWORD dst_unused:UNUSED_PAD src0_sel:BYTE_1 src1_sel:DWORD
	v_cvt_f32_i32_e32 v0, v0
	v_cvt_f32_i32_e32 v1, v1
	v_sub_u32_sdwa v20, v4, v37 dst_sel:DWORD dst_unused:UNUSED_PAD src0_sel:BYTE_2 src1_sel:DWORD
	v_sub_u32_sdwa v4, v4, v37 dst_sel:DWORD dst_unused:UNUSED_PAD src0_sel:BYTE_3 src1_sel:DWORD
	v_cvt_f32_i32_e32 v20, v20
	v_sub_u32_sdwa v25, v6, v35 dst_sel:DWORD dst_unused:UNUSED_PAD src0_sel:BYTE_0 src1_sel:DWORD
	v_sub_u32_sdwa v26, v6, v35 dst_sel:DWORD dst_unused:UNUSED_PAD src0_sel:BYTE_1 src1_sel:DWORD
	v_sub_u32_sdwa v43, v6, v35 dst_sel:DWORD dst_unused:UNUSED_PAD src0_sel:BYTE_2 src1_sel:DWORD
	v_sub_u32_sdwa v44, v6, v35 dst_sel:DWORD dst_unused:UNUSED_PAD src0_sel:BYTE_3 src1_sel:DWORD
	v_cvt_f16_f32_e32 v57, v0
	s_waitcnt vmcnt(0)
	v_sub_u32_sdwa v6, v8, v37 dst_sel:DWORD dst_unused:UNUSED_PAD src0_sel:BYTE_0 src1_sel:DWORD
	v_cvt_f16_f32_e32 v58, v1
	ds_read_b128 v[0:3], v33 offset:32
	v_cvt_f32_i32_e32 v4, v4
	v_cvt_f32_i32_e32 v6, v6
	v_cvt_f16_f32_e32 v20, v20
	v_sub_u32_sdwa v45, v7, v34 dst_sel:DWORD dst_unused:UNUSED_PAD src0_sel:BYTE_0 src1_sel:DWORD
	v_cvt_f16_f32_e32 v4, v4
	s_waitcnt lgkmcnt(0)
	v_fma_mix_f32 v57, v57, v0, 0 op_sel_hi:[1,1,0]
	v_cvt_f16_f32_e32 v6, v6
	v_fma_mix_f32 v57, v58, v0, v57 op_sel:[0,1,0] op_sel_hi:[1,1,0]
	v_fma_mix_f32 v20, v20, v1, v57 op_sel_hi:[1,1,0]
	v_sub_u32_sdwa v46, v7, v34 dst_sel:DWORD dst_unused:UNUSED_PAD src0_sel:BYTE_1 src1_sel:DWORD
	v_sub_u32_sdwa v47, v7, v34 dst_sel:DWORD dst_unused:UNUSED_PAD src0_sel:BYTE_2 src1_sel:DWORD
	v_sub_u32_sdwa v48, v7, v34 dst_sel:DWORD dst_unused:UNUSED_PAD src0_sel:BYTE_3 src1_sel:DWORD
	v_sub_u32_sdwa v7, v8, v37 dst_sel:DWORD dst_unused:UNUSED_PAD src0_sel:BYTE_1 src1_sel:DWORD
	v_fma_mix_f32 v4, v4, v1, v20 op_sel:[0,1,0] op_sel_hi:[1,1,0]
	v_fma_mix_f32 v4, v6, v2, v4 op_sel_hi:[1,1,0]
	v_cvt_f32_i32_e32 v6, v7
	v_sub_u32_sdwa v27, v8, v37 dst_sel:DWORD dst_unused:UNUSED_PAD src0_sel:BYTE_2 src1_sel:DWORD
	v_sub_u32_sdwa v8, v8, v37 dst_sel:DWORD dst_unused:UNUSED_PAD src0_sel:BYTE_3 src1_sel:DWORD
	v_sub_u32_sdwa v21, v5, v36 dst_sel:DWORD dst_unused:UNUSED_PAD src0_sel:BYTE_0 src1_sel:DWORD
	v_cvt_f16_f32_e32 v6, v6
	v_sub_u32_sdwa v22, v5, v36 dst_sel:DWORD dst_unused:UNUSED_PAD src0_sel:BYTE_1 src1_sel:DWORD
	v_cvt_f32_i32_e32 v7, v22
	v_sub_u32_sdwa v23, v5, v36 dst_sel:DWORD dst_unused:UNUSED_PAD src0_sel:BYTE_2 src1_sel:DWORD
	v_fma_mix_f32 v4, v6, v2, v4 op_sel:[0,1,0] op_sel_hi:[1,1,0]
	v_cvt_f32_i32_e32 v6, v27
	v_cvt_f16_f32_e32 v7, v7
	v_sub_u32_sdwa v5, v5, v36 dst_sel:DWORD dst_unused:UNUSED_PAD src0_sel:BYTE_3 src1_sel:DWORD
	v_cvt_f32_i32_e32 v5, v5
	v_cvt_f16_f32_e32 v6, v6
	v_sub_u32_sdwa v28, v9, v36 dst_sel:DWORD dst_unused:UNUSED_PAD src0_sel:BYTE_0 src1_sel:DWORD
	v_sub_u32_sdwa v49, v9, v36 dst_sel:DWORD dst_unused:UNUSED_PAD src0_sel:BYTE_1 src1_sel:DWORD
	v_cvt_f16_f32_e32 v5, v5
	v_fma_mix_f32 v4, v6, v3, v4 op_sel_hi:[1,1,0]
	v_cvt_f32_i32_e32 v6, v8
	v_sub_u32_sdwa v50, v9, v36 dst_sel:DWORD dst_unused:UNUSED_PAD src0_sel:BYTE_2 src1_sel:DWORD
	v_sub_u32_sdwa v9, v9, v36 dst_sel:DWORD dst_unused:UNUSED_PAD src0_sel:BYTE_3 src1_sel:DWORD
	v_cvt_f32_i32_e32 v8, v25
	v_cvt_f16_f32_e32 v6, v6
	v_sub_u32_sdwa v51, v10, v35 dst_sel:DWORD dst_unused:UNUSED_PAD src0_sel:BYTE_0 src1_sel:DWORD
	v_sub_u32_sdwa v52, v10, v35 dst_sel:DWORD dst_unused:UNUSED_PAD src0_sel:BYTE_1 src1_sel:DWORD
	v_cvt_f16_f32_e32 v8, v8
	v_fma_mix_f32 v4, v6, v3, v4 op_sel:[0,1,0] op_sel_hi:[1,1,0]
	v_cvt_f32_i32_e32 v6, v21
	v_sub_u32_sdwa v53, v10, v35 dst_sel:DWORD dst_unused:UNUSED_PAD src0_sel:BYTE_2 src1_sel:DWORD
	v_sub_u32_sdwa v10, v10, v35 dst_sel:DWORD dst_unused:UNUSED_PAD src0_sel:BYTE_3 src1_sel:DWORD
	v_cvt_f32_i32_e32 v10, v10
	v_cvt_f16_f32_e32 v6, v6
	v_sub_u32_sdwa v54, v11, v34 dst_sel:DWORD dst_unused:UNUSED_PAD src0_sel:BYTE_0 src1_sel:DWORD
	v_sub_u32_sdwa v55, v11, v34 dst_sel:DWORD dst_unused:UNUSED_PAD src0_sel:BYTE_1 src1_sel:DWORD
	v_cvt_f16_f32_e32 v10, v10
	v_fma_mix_f32 v6, v6, v0, 0 op_sel_hi:[1,1,0]
	v_fma_mix_f32 v6, v7, v0, v6 op_sel:[0,1,0] op_sel_hi:[1,1,0]
	v_cvt_f32_i32_e32 v7, v23
	v_sub_u32_sdwa v56, v11, v34 dst_sel:DWORD dst_unused:UNUSED_PAD src0_sel:BYTE_2 src1_sel:DWORD
	v_sub_u32_sdwa v11, v11, v34 dst_sel:DWORD dst_unused:UNUSED_PAD src0_sel:BYTE_3 src1_sel:DWORD
	v_fma_mixlo_f16 v4, v4, v14, 0 op_sel_hi:[0,1,0]
	v_cvt_f16_f32_e32 v7, v7
	v_fma_mix_f32 v6, v7, v1, v6 op_sel_hi:[1,1,0]
	v_fma_mix_f32 v5, v5, v1, v6 op_sel:[0,1,0] op_sel_hi:[1,1,0]
	v_cvt_f32_i32_e32 v6, v28
	v_cvt_f32_i32_e32 v7, v9
	;; [unrolled: 1-line block ×3, first 2 shown]
	v_cvt_f16_f32_e32 v6, v6
	v_cvt_f16_f32_e32 v7, v7
	;; [unrolled: 1-line block ×3, first 2 shown]
	v_fma_mix_f32 v5, v6, v2, v5 op_sel_hi:[1,1,0]
	v_cvt_f32_i32_e32 v6, v49
	v_cvt_f16_f32_e32 v6, v6
	v_fma_mix_f32 v5, v6, v2, v5 op_sel:[0,1,0] op_sel_hi:[1,1,0]
	v_cvt_f32_i32_e32 v6, v50
	v_cvt_f16_f32_e32 v6, v6
	v_fma_mix_f32 v5, v6, v3, v5 op_sel_hi:[1,1,0]
	v_fma_mix_f32 v6, v8, v0, 0 op_sel_hi:[1,1,0]
	v_fma_mix_f32 v20, v9, v0, v6 op_sel:[0,1,0] op_sel_hi:[1,1,0]
	v_add_co_u32_e32 v6, vcc, s4, v18
	v_fma_mix_f32 v5, v7, v3, v5 op_sel:[0,1,0] op_sel_hi:[1,1,0]
	v_addc_co_u32_e32 v7, vcc, v19, v38, vcc
	v_add_co_u32_e32 v8, vcc, s4, v6
	global_load_dwordx4 v[25:28], v[6:7], off
	v_cvt_f32_i32_e32 v6, v43
	v_addc_co_u32_e32 v9, vcc, v7, v38, vcc
	v_cvt_f32_i32_e32 v7, v44
	v_cvt_f16_f32_e32 v6, v6
	v_add_co_u32_e32 v16, vcc, s2, v16
	v_cvt_f16_f32_e32 v7, v7
	v_fma_mix_f32 v6, v6, v1, v20 op_sel_hi:[1,1,0]
	global_load_dwordx4 v[20:23], v[8:9], off
	v_cvt_f32_i32_e32 v8, v52
	v_fma_mix_f32 v6, v7, v1, v6 op_sel:[0,1,0] op_sel_hi:[1,1,0]
	v_cvt_f32_i32_e32 v7, v51
	v_cvt_f32_i32_e32 v9, v53
	v_cvt_f16_f32_e32 v8, v8
	v_cvt_f16_f32_e32 v7, v7
	;; [unrolled: 1-line block ×3, first 2 shown]
	v_fma_mix_f32 v6, v7, v2, v6 op_sel_hi:[1,1,0]
	v_cvt_f32_i32_e32 v7, v45
	v_fma_mix_f32 v6, v8, v2, v6 op_sel:[0,1,0] op_sel_hi:[1,1,0]
	v_cvt_f32_i32_e32 v8, v46
	v_fma_mix_f32 v6, v9, v3, v6 op_sel_hi:[1,1,0]
	v_cvt_f32_i32_e32 v9, v47
	v_fma_mix_f32 v6, v10, v3, v6 op_sel:[0,1,0] op_sel_hi:[1,1,0]
	v_cvt_f32_i32_e32 v10, v48
	v_cvt_f16_f32_e32 v7, v7
	v_cvt_f16_f32_e32 v8, v8
	;; [unrolled: 1-line block ×4, first 2 shown]
	v_fma_mix_f32 v7, v7, v0, 0 op_sel_hi:[1,1,0]
	v_fma_mix_f32 v0, v8, v0, v7 op_sel:[0,1,0] op_sel_hi:[1,1,0]
	v_fma_mix_f32 v0, v9, v1, v0 op_sel_hi:[1,1,0]
	v_fma_mix_f32 v0, v10, v1, v0 op_sel:[0,1,0] op_sel_hi:[1,1,0]
	v_cvt_f32_i32_e32 v1, v54
	v_cvt_f32_i32_e32 v7, v55
	;; [unrolled: 1-line block ×4, first 2 shown]
	v_cvt_f16_f32_e32 v1, v1
	v_cvt_f16_f32_e32 v7, v7
	;; [unrolled: 1-line block ×4, first 2 shown]
	v_fma_mix_f32 v0, v1, v2, v0 op_sel_hi:[1,1,0]
	v_fma_mix_f32 v0, v7, v2, v0 op_sel:[0,1,0] op_sel_hi:[1,1,0]
	v_fma_mix_f32 v0, v8, v3, v0 op_sel_hi:[1,1,0]
	v_fma_mix_f32 v7, v9, v3, v0 op_sel:[0,1,0] op_sel_hi:[1,1,0]
	s_waitcnt vmcnt(1)
	v_sub_u32_sdwa v0, v25, v37 dst_sel:DWORD dst_unused:UNUSED_PAD src0_sel:BYTE_0 src1_sel:DWORD
	v_sub_u32_sdwa v1, v25, v37 dst_sel:DWORD dst_unused:UNUSED_PAD src0_sel:BYTE_1 src1_sel:DWORD
	v_cvt_f32_i32_e32 v0, v0
	v_cvt_f32_i32_e32 v1, v1
	v_sub_u32_sdwa v60, v25, v37 dst_sel:DWORD dst_unused:UNUSED_PAD src0_sel:BYTE_2 src1_sel:DWORD
	v_sub_u32_sdwa v38, v28, v34 dst_sel:DWORD dst_unused:UNUSED_PAD src0_sel:BYTE_0 src1_sel:DWORD
	v_sub_u32_sdwa v43, v28, v34 dst_sel:DWORD dst_unused:UNUSED_PAD src0_sel:BYTE_1 src1_sel:DWORD
	v_sub_u32_sdwa v11, v28, v34 dst_sel:DWORD dst_unused:UNUSED_PAD src0_sel:BYTE_2 src1_sel:DWORD
	v_sub_u32_sdwa v9, v28, v34 dst_sel:DWORD dst_unused:UNUSED_PAD src0_sel:BYTE_3 src1_sel:DWORD
	v_cvt_f16_f32_e32 v63, v1
	s_waitcnt vmcnt(0)
	v_sub_u32_sdwa v54, v21, v36 dst_sel:DWORD dst_unused:UNUSED_PAD src0_sel:BYTE_0 src1_sel:DWORD
	v_sub_u32_sdwa v53, v21, v36 dst_sel:DWORD dst_unused:UNUSED_PAD src0_sel:BYTE_1 src1_sel:DWORD
	v_sub_u32_sdwa v51, v21, v36 dst_sel:DWORD dst_unused:UNUSED_PAD src0_sel:BYTE_2 src1_sel:DWORD
	v_sub_u32_sdwa v49, v21, v36 dst_sel:DWORD dst_unused:UNUSED_PAD src0_sel:BYTE_3 src1_sel:DWORD
	v_cvt_f32_i32_e32 v21, v60
	v_sub_u32_sdwa v19, v23, v34 dst_sel:DWORD dst_unused:UNUSED_PAD src0_sel:BYTE_0 src1_sel:DWORD
	v_sub_u32_sdwa v18, v23, v34 dst_sel:DWORD dst_unused:UNUSED_PAD src0_sel:BYTE_1 src1_sel:DWORD
	v_sub_u32_sdwa v10, v23, v34 dst_sel:DWORD dst_unused:UNUSED_PAD src0_sel:BYTE_2 src1_sel:DWORD
	v_sub_u32_sdwa v8, v23, v34 dst_sel:DWORD dst_unused:UNUSED_PAD src0_sel:BYTE_3 src1_sel:DWORD
	v_cvt_f16_f32_e32 v34, v0
	ds_read_b128 v[0:3], v33 offset:48
	v_cvt_f16_f32_e32 v21, v21
	v_sub_u32_sdwa v62, v20, v37 dst_sel:DWORD dst_unused:UNUSED_PAD src0_sel:BYTE_0 src1_sel:DWORD
	v_sub_u32_sdwa v61, v20, v37 dst_sel:DWORD dst_unused:UNUSED_PAD src0_sel:BYTE_1 src1_sel:DWORD
	v_sub_u32_sdwa v59, v20, v37 dst_sel:DWORD dst_unused:UNUSED_PAD src0_sel:BYTE_2 src1_sel:DWORD
	v_sub_u32_sdwa v57, v20, v37 dst_sel:DWORD dst_unused:UNUSED_PAD src0_sel:BYTE_3 src1_sel:DWORD
	s_waitcnt lgkmcnt(0)
	v_fma_mix_f32 v20, v34, v0, 0 op_sel_hi:[1,1,0]
	v_sub_u32_sdwa v58, v25, v37 dst_sel:DWORD dst_unused:UNUSED_PAD src0_sel:BYTE_3 src1_sel:DWORD
	v_fma_mix_f32 v20, v63, v0, v20 op_sel:[0,1,0] op_sel_hi:[1,1,0]
	v_fma_mix_f32 v20, v21, v1, v20 op_sel_hi:[1,1,0]
	v_cvt_f32_i32_e32 v21, v58
	v_sub_u32_sdwa v55, v26, v36 dst_sel:DWORD dst_unused:UNUSED_PAD src0_sel:BYTE_0 src1_sel:DWORD
	v_sub_u32_sdwa v56, v26, v36 dst_sel:DWORD dst_unused:UNUSED_PAD src0_sel:BYTE_1 src1_sel:DWORD
	v_sub_u32_sdwa v52, v26, v36 dst_sel:DWORD dst_unused:UNUSED_PAD src0_sel:BYTE_2 src1_sel:DWORD
	v_cvt_f16_f32_e32 v21, v21
	v_sub_u32_sdwa v50, v26, v36 dst_sel:DWORD dst_unused:UNUSED_PAD src0_sel:BYTE_3 src1_sel:DWORD
	v_sub_u32_sdwa v47, v27, v35 dst_sel:DWORD dst_unused:UNUSED_PAD src0_sel:BYTE_0 src1_sel:DWORD
	v_sub_u32_sdwa v48, v27, v35 dst_sel:DWORD dst_unused:UNUSED_PAD src0_sel:BYTE_1 src1_sel:DWORD
	v_fma_mix_f32 v20, v21, v1, v20 op_sel:[0,1,0] op_sel_hi:[1,1,0]
	v_cvt_f32_i32_e32 v21, v62
	v_sub_u32_sdwa v45, v27, v35 dst_sel:DWORD dst_unused:UNUSED_PAD src0_sel:BYTE_2 src1_sel:DWORD
	v_sub_u32_sdwa v44, v27, v35 dst_sel:DWORD dst_unused:UNUSED_PAD src0_sel:BYTE_3 src1_sel:DWORD
	v_sub_u32_sdwa v46, v22, v35 dst_sel:DWORD dst_unused:UNUSED_PAD src0_sel:BYTE_0 src1_sel:DWORD
	v_cvt_f16_f32_e32 v21, v21
	v_sub_u32_sdwa v37, v22, v35 dst_sel:DWORD dst_unused:UNUSED_PAD src0_sel:BYTE_1 src1_sel:DWORD
	v_sub_u32_sdwa v36, v22, v35 dst_sel:DWORD dst_unused:UNUSED_PAD src0_sel:BYTE_2 src1_sel:DWORD
	v_sub_u32_sdwa v35, v22, v35 dst_sel:DWORD dst_unused:UNUSED_PAD src0_sel:BYTE_3 src1_sel:DWORD
	v_fma_mix_f32 v20, v21, v2, v20 op_sel_hi:[1,1,0]
	v_cvt_f32_i32_e32 v21, v61
	v_cvt_f32_i32_e32 v22, v50
	;; [unrolled: 1-line block ×4, first 2 shown]
	v_cvt_f16_f32_e32 v21, v21
	v_cvt_f16_f32_e32 v22, v22
	;; [unrolled: 1-line block ×4, first 2 shown]
	v_fma_mix_f32 v20, v21, v2, v20 op_sel:[0,1,0] op_sel_hi:[1,1,0]
	v_cvt_f32_i32_e32 v21, v59
	v_cvt_f32_i32_e32 v11, v11
	;; [unrolled: 1-line block ×4, first 2 shown]
	v_cvt_f16_f32_e32 v21, v21
	v_cvt_f16_f32_e32 v11, v11
	v_cvt_f16_f32_e32 v9, v9
	v_cvt_f32_i32_e32 v26, v35
	v_fma_mix_f32 v20, v21, v3, v20 op_sel_hi:[1,1,0]
	v_cvt_f32_i32_e32 v21, v57
	v_cvt_f32_i32_e32 v8, v8
	v_cvt_f16_f32_e32 v10, v10
	v_cvt_f16_f32_e32 v26, v26
	;; [unrolled: 1-line block ×4, first 2 shown]
	v_fma_mix_f32 v33, v21, v3, v20 op_sel:[0,1,0] op_sel_hi:[1,1,0]
	v_cvt_f32_i32_e32 v20, v55
	v_cvt_f32_i32_e32 v21, v56
	v_cvt_f16_f32_e32 v20, v20
	v_cvt_f16_f32_e32 v21, v21
	v_fma_mix_f32 v20, v20, v0, 0 op_sel_hi:[1,1,0]
	v_fma_mix_f32 v20, v21, v0, v20 op_sel:[0,1,0] op_sel_hi:[1,1,0]
	v_cvt_f32_i32_e32 v21, v52
	v_cvt_f16_f32_e32 v21, v21
	v_fma_mix_f32 v20, v21, v1, v20 op_sel_hi:[1,1,0]
	v_cvt_f32_i32_e32 v21, v54
	v_fma_mix_f32 v20, v22, v1, v20 op_sel:[0,1,0] op_sel_hi:[1,1,0]
	v_cvt_f32_i32_e32 v22, v53
	v_cvt_f16_f32_e32 v21, v21
	v_cvt_f16_f32_e32 v22, v22
	v_fma_mix_f32 v20, v21, v2, v20 op_sel_hi:[1,1,0]
	v_cvt_f32_i32_e32 v21, v47
	v_fma_mix_f32 v20, v22, v2, v20 op_sel:[0,1,0] op_sel_hi:[1,1,0]
	v_cvt_f32_i32_e32 v22, v48
	v_fma_mix_f32 v20, v23, v3, v20 op_sel_hi:[1,1,0]
	v_cvt_f32_i32_e32 v23, v45
	v_cvt_f16_f32_e32 v21, v21
	v_cvt_f16_f32_e32 v22, v22
	v_fma_mix_f32 v20, v25, v3, v20 op_sel:[0,1,0] op_sel_hi:[1,1,0]
	v_cvt_f16_f32_e32 v23, v23
	v_cvt_f32_i32_e32 v25, v44
	v_fma_mix_f32 v21, v21, v0, 0 op_sel_hi:[1,1,0]
	v_fma_mix_f32 v21, v22, v0, v21 op_sel:[0,1,0] op_sel_hi:[1,1,0]
	v_cvt_f32_i32_e32 v22, v46
	v_fma_mix_f32 v21, v23, v1, v21 op_sel_hi:[1,1,0]
	v_cvt_f32_i32_e32 v23, v37
	v_cvt_f16_f32_e32 v25, v25
	v_cvt_f16_f32_e32 v22, v22
	;; [unrolled: 1-line block ×3, first 2 shown]
	v_fma_mix_f32 v21, v25, v1, v21 op_sel:[0,1,0] op_sel_hi:[1,1,0]
	v_fma_mix_f32 v21, v22, v2, v21 op_sel_hi:[1,1,0]
	v_cvt_f32_i32_e32 v22, v38
	v_fma_mix_f32 v21, v23, v2, v21 op_sel:[0,1,0] op_sel_hi:[1,1,0]
	v_cvt_f32_i32_e32 v23, v43
	v_cvt_f32_i32_e32 v25, v36
	v_cvt_f16_f32_e32 v22, v22
	v_cvt_f16_f32_e32 v23, v23
	;; [unrolled: 1-line block ×3, first 2 shown]
	v_fma_mix_f32 v22, v22, v0, 0 op_sel_hi:[1,1,0]
	v_fma_mix_f32 v0, v23, v0, v22 op_sel:[0,1,0] op_sel_hi:[1,1,0]
	v_fma_mix_f32 v0, v11, v1, v0 op_sel_hi:[1,1,0]
	v_fma_mix_f32 v0, v9, v1, v0 op_sel:[0,1,0] op_sel_hi:[1,1,0]
	v_cvt_f32_i32_e32 v1, v19
	v_cvt_f32_i32_e32 v9, v18
	v_fma_mix_f32 v21, v25, v3, v21 op_sel_hi:[1,1,0]
	v_fma_mix_f32 v21, v26, v3, v21 op_sel:[0,1,0] op_sel_hi:[1,1,0]
	v_cvt_f16_f32_e32 v1, v1
	v_cvt_f16_f32_e32 v9, v9
	v_fma_mix_f32 v0, v1, v2, v0 op_sel_hi:[1,1,0]
	v_fma_mix_f32 v0, v9, v2, v0 op_sel:[0,1,0] op_sel_hi:[1,1,0]
	v_fma_mix_f32 v0, v10, v3, v0 op_sel_hi:[1,1,0]
	buffer_load_dword v2, off, s[24:27], 0 offset:12 ; 4-byte Folded Reload
	buffer_load_dword v9, off, s[24:27], 0 offset:8 ; 4-byte Folded Reload
	v_fma_mix_f32 v0, v8, v3, v0 op_sel:[0,1,0] op_sel_hi:[1,1,0]
	buffer_load_dword v3, off, s[24:27], 0  ; 4-byte Folded Reload
	buffer_load_dword v8, off, s[24:27], 0 offset:4 ; 4-byte Folded Reload
	v_fma_mixlo_f16 v1, v30, v14, 0 op_sel_hi:[0,1,0]
	v_fma_mixlo_f16 v0, v0, v15, 0 op_sel:[0,1,0] op_sel_hi:[0,1,0]
	s_waitcnt vmcnt(3)
	v_add_f16_e32 v1, v2, v1
	v_fma_mixlo_f16 v2, v29, v14, 0 op_sel:[0,1,0] op_sel_hi:[0,1,0]
	s_waitcnt vmcnt(1)
	v_add_f16_e32 v2, v3, v2
	v_fma_mixlo_f16 v3, v31, v15, 0 op_sel_hi:[0,1,0]
	s_waitcnt vmcnt(0)
	v_add_f16_e32 v3, v8, v3
	v_fma_mixlo_f16 v8, v32, v15, 0 op_sel:[0,1,0] op_sel_hi:[0,1,0]
	v_add_f16_e32 v8, v9, v8
	v_fma_mixlo_f16 v9, v39, v14, 0 op_sel_hi:[0,1,0]
	v_add_f16_e32 v1, v1, v9
	v_fma_mixlo_f16 v9, v40, v14, 0 op_sel:[0,1,0] op_sel_hi:[0,1,0]
	v_add_f16_e32 v2, v2, v9
	v_fma_mixlo_f16 v9, v41, v15, 0 op_sel_hi:[0,1,0]
	v_add_f16_e32 v3, v3, v9
	v_fma_mixlo_f16 v9, v42, v15, 0 op_sel:[0,1,0] op_sel_hi:[0,1,0]
	v_add_f16_e32 v8, v8, v9
	v_add_f16_e32 v1, v1, v4
	v_fma_mixlo_f16 v4, v5, v14, 0 op_sel:[0,1,0] op_sel_hi:[0,1,0]
	v_fma_mixlo_f16 v5, v6, v15, 0 op_sel_hi:[0,1,0]
	v_fma_mixlo_f16 v6, v7, v15, 0 op_sel:[0,1,0] op_sel_hi:[0,1,0]
	v_add_f16_e32 v2, v2, v4
	v_add_f16_e32 v3, v3, v5
	;; [unrolled: 1-line block ×3, first 2 shown]
	v_fma_mixlo_f16 v5, v33, v14, 0 op_sel_hi:[0,1,0]
	v_fma_mixlo_f16 v6, v20, v14, 0 op_sel:[0,1,0] op_sel_hi:[0,1,0]
	v_fma_mixlo_f16 v7, v21, v15, 0 op_sel_hi:[0,1,0]
	v_add_f16_e32 v9, v1, v5
	v_add_f16_e32 v1, v4, v0
	v_mov_b32_e32 v0, s3
	v_add_f16_e32 v5, v2, v6
	v_add_f16_e32 v8, v3, v7
	v_addc_co_u32_e32 v17, vcc, v17, v0, vcc
	s_cbranch_scc1 .LBB18_12
; %bb.10:                               ;   in Loop: Header=BB18_7 Depth=1
	buffer_load_dword v3, off, s[24:27], 0 offset:16 ; 4-byte Folded Reload
	v_mov_b32_e32 v18, v13
	buffer_store_dword v1, off, s[24:27], 0 offset:8 ; 4-byte Folded Spill
	v_mov_b32_e32 v19, v24
	v_mov_b32_e32 v20, v12
	s_branch .LBB18_7
.LBB18_11:
	v_mov_b32_e32 v4, 0
	v_mov_b32_e32 v5, 0
	;; [unrolled: 1-line block ×3, first 2 shown]
	s_branch .LBB18_13
.LBB18_12:
	s_mov_b32 s1, 0x5040100
	v_perm_b32 v5, v5, v9, s1
	v_lshlrev_b32_e32 v4, 16, v1
.LBB18_13:
	buffer_load_dword v0, off, s[24:27], 0 offset:24 ; 4-byte Folded Reload
	buffer_load_dword v1, off, s[24:27], 0 offset:28 ; 4-byte Folded Reload
	s_mul_i32 s0, s0, s7
	v_mov_b32_e32 v2, s15
	s_waitcnt vmcnt(1)
	v_add_u32_e32 v0, s0, v0
	s_waitcnt vmcnt(0)
	v_ashrrev_i32_e32 v1, 31, v0
	v_lshlrev_b64 v[0:1], 1, v[0:1]
	s_mov_b64 s[0:1], 0
	v_add_co_u32_e32 v0, vcc, s14, v0
	v_addc_co_u32_e32 v1, vcc, v2, v1, vcc
	global_load_dword v3, v[0:1], off
.LBB18_14:                              ; =>This Inner Loop Header: Depth=1
	s_waitcnt vmcnt(0)
	v_pk_add_f16 v2, v5, v3
	global_atomic_cmpswap v2, v[0:1], v[2:3], off glc
	s_waitcnt vmcnt(0)
	v_cmp_eq_u32_e32 vcc, v3, v2
	s_or_b64 s[0:1], vcc, s[0:1]
	v_mov_b32_e32 v3, v2
	s_andn2_b64 exec, exec, s[0:1]
	s_cbranch_execnz .LBB18_14
; %bb.15:
	s_or_b64 exec, exec, s[0:1]
	global_load_dword v3, v[0:1], off offset:4
	v_or_b32_e32 v4, v4, v8
	s_mov_b64 s[0:1], 0
.LBB18_16:                              ; =>This Inner Loop Header: Depth=1
	s_waitcnt vmcnt(0)
	v_pk_add_f16 v2, v4, v3
	global_atomic_cmpswap v2, v[0:1], v[2:3], off offset:4 glc
	s_waitcnt vmcnt(0)
	v_cmp_eq_u32_e32 vcc, v3, v2
	s_or_b64 s[0:1], vcc, s[0:1]
	v_mov_b32_e32 v3, v2
	s_andn2_b64 exec, exec, s[0:1]
	s_cbranch_execnz .LBB18_16
.LBB18_17:
	s_endpgm
	.section	.rodata,"a",@progbits
	.p2align	6, 0x0
	.amdhsa_kernel _ZN4vllm4gptq33gemm_half_q_half_gptq_8bit_kernelILb1ELi1EEEvPK6__halfPKjS6_S4_PS2_iiiibPKi
		.amdhsa_group_segment_fixed_size 256
		.amdhsa_private_segment_fixed_size 40
		.amdhsa_kernarg_size 72
		.amdhsa_user_sgpr_count 6
		.amdhsa_user_sgpr_private_segment_buffer 1
		.amdhsa_user_sgpr_dispatch_ptr 0
		.amdhsa_user_sgpr_queue_ptr 0
		.amdhsa_user_sgpr_kernarg_segment_ptr 1
		.amdhsa_user_sgpr_dispatch_id 0
		.amdhsa_user_sgpr_flat_scratch_init 0
		.amdhsa_user_sgpr_private_segment_size 0
		.amdhsa_uses_dynamic_stack 0
		.amdhsa_system_sgpr_private_segment_wavefront_offset 1
		.amdhsa_system_sgpr_workgroup_id_x 1
		.amdhsa_system_sgpr_workgroup_id_y 1
		.amdhsa_system_sgpr_workgroup_id_z 1
		.amdhsa_system_sgpr_workgroup_info 0
		.amdhsa_system_vgpr_workitem_id 0
		.amdhsa_next_free_vgpr 64
		.amdhsa_next_free_sgpr 28
		.amdhsa_reserve_vcc 1
		.amdhsa_reserve_flat_scratch 0
		.amdhsa_float_round_mode_32 0
		.amdhsa_float_round_mode_16_64 0
		.amdhsa_float_denorm_mode_32 3
		.amdhsa_float_denorm_mode_16_64 3
		.amdhsa_dx10_clamp 1
		.amdhsa_ieee_mode 1
		.amdhsa_fp16_overflow 0
		.amdhsa_exception_fp_ieee_invalid_op 0
		.amdhsa_exception_fp_denorm_src 0
		.amdhsa_exception_fp_ieee_div_zero 0
		.amdhsa_exception_fp_ieee_overflow 0
		.amdhsa_exception_fp_ieee_underflow 0
		.amdhsa_exception_fp_ieee_inexact 0
		.amdhsa_exception_int_div_zero 0
	.end_amdhsa_kernel
	.section	.text._ZN4vllm4gptq33gemm_half_q_half_gptq_8bit_kernelILb1ELi1EEEvPK6__halfPKjS6_S4_PS2_iiiibPKi,"axG",@progbits,_ZN4vllm4gptq33gemm_half_q_half_gptq_8bit_kernelILb1ELi1EEEvPK6__halfPKjS6_S4_PS2_iiiibPKi,comdat
.Lfunc_end18:
	.size	_ZN4vllm4gptq33gemm_half_q_half_gptq_8bit_kernelILb1ELi1EEEvPK6__halfPKjS6_S4_PS2_iiiibPKi, .Lfunc_end18-_ZN4vllm4gptq33gemm_half_q_half_gptq_8bit_kernelILb1ELi1EEEvPK6__halfPKjS6_S4_PS2_iiiibPKi
                                        ; -- End function
	.set _ZN4vllm4gptq33gemm_half_q_half_gptq_8bit_kernelILb1ELi1EEEvPK6__halfPKjS6_S4_PS2_iiiibPKi.num_vgpr, 64
	.set _ZN4vllm4gptq33gemm_half_q_half_gptq_8bit_kernelILb1ELi1EEEvPK6__halfPKjS6_S4_PS2_iiiibPKi.num_agpr, 0
	.set _ZN4vllm4gptq33gemm_half_q_half_gptq_8bit_kernelILb1ELi1EEEvPK6__halfPKjS6_S4_PS2_iiiibPKi.numbered_sgpr, 28
	.set _ZN4vllm4gptq33gemm_half_q_half_gptq_8bit_kernelILb1ELi1EEEvPK6__halfPKjS6_S4_PS2_iiiibPKi.num_named_barrier, 0
	.set _ZN4vllm4gptq33gemm_half_q_half_gptq_8bit_kernelILb1ELi1EEEvPK6__halfPKjS6_S4_PS2_iiiibPKi.private_seg_size, 40
	.set _ZN4vllm4gptq33gemm_half_q_half_gptq_8bit_kernelILb1ELi1EEEvPK6__halfPKjS6_S4_PS2_iiiibPKi.uses_vcc, 1
	.set _ZN4vllm4gptq33gemm_half_q_half_gptq_8bit_kernelILb1ELi1EEEvPK6__halfPKjS6_S4_PS2_iiiibPKi.uses_flat_scratch, 0
	.set _ZN4vllm4gptq33gemm_half_q_half_gptq_8bit_kernelILb1ELi1EEEvPK6__halfPKjS6_S4_PS2_iiiibPKi.has_dyn_sized_stack, 0
	.set _ZN4vllm4gptq33gemm_half_q_half_gptq_8bit_kernelILb1ELi1EEEvPK6__halfPKjS6_S4_PS2_iiiibPKi.has_recursion, 0
	.set _ZN4vllm4gptq33gemm_half_q_half_gptq_8bit_kernelILb1ELi1EEEvPK6__halfPKjS6_S4_PS2_iiiibPKi.has_indirect_call, 0
	.section	.AMDGPU.csdata,"",@progbits
; Kernel info:
; codeLenInByte = 4844
; TotalNumSgprs: 32
; NumVgprs: 64
; ScratchSize: 40
; MemoryBound: 0
; FloatMode: 240
; IeeeMode: 1
; LDSByteSize: 256 bytes/workgroup (compile time only)
; SGPRBlocks: 3
; VGPRBlocks: 15
; NumSGPRsForWavesPerEU: 32
; NumVGPRsForWavesPerEU: 64
; Occupancy: 4
; WaveLimiterHint : 0
; COMPUTE_PGM_RSRC2:SCRATCH_EN: 1
; COMPUTE_PGM_RSRC2:USER_SGPR: 6
; COMPUTE_PGM_RSRC2:TRAP_HANDLER: 0
; COMPUTE_PGM_RSRC2:TGID_X_EN: 1
; COMPUTE_PGM_RSRC2:TGID_Y_EN: 1
; COMPUTE_PGM_RSRC2:TGID_Z_EN: 1
; COMPUTE_PGM_RSRC2:TIDIG_COMP_CNT: 0
	.section	.text._ZN4vllm4gptq33gemm_half_q_half_gptq_2bit_kernelILb1ELi2EEEvPK6__halfPKjS6_S4_PS2_iiiibPKi,"axG",@progbits,_ZN4vllm4gptq33gemm_half_q_half_gptq_2bit_kernelILb1ELi2EEEvPK6__halfPKjS6_S4_PS2_iiiibPKi,comdat
	.protected	_ZN4vllm4gptq33gemm_half_q_half_gptq_2bit_kernelILb1ELi2EEEvPK6__halfPKjS6_S4_PS2_iiiibPKi ; -- Begin function _ZN4vllm4gptq33gemm_half_q_half_gptq_2bit_kernelILb1ELi2EEEvPK6__halfPKjS6_S4_PS2_iiiibPKi
	.globl	_ZN4vllm4gptq33gemm_half_q_half_gptq_2bit_kernelILb1ELi2EEEvPK6__halfPKjS6_S4_PS2_iiiibPKi
	.p2align	8
	.type	_ZN4vllm4gptq33gemm_half_q_half_gptq_2bit_kernelILb1ELi2EEEvPK6__halfPKjS6_S4_PS2_iiiibPKi,@function
_ZN4vllm4gptq33gemm_half_q_half_gptq_2bit_kernelILb1ELi2EEEvPK6__halfPKjS6_S4_PS2_iiiibPKi: ; @_ZN4vllm4gptq33gemm_half_q_half_gptq_2bit_kernelILb1ELi2EEEvPK6__halfPKjS6_S4_PS2_iiiibPKi
; %bb.0:
	s_load_dwordx4 s[0:3], s[4:5], 0x2c
	s_lshl_b32 s22, s8, 7
	s_add_i32 s8, s22, 0x80
	v_cvt_f64_u32_e32 v[1:2], s8
	s_load_dwordx8 s[8:15], s[4:5], 0x8
	s_waitcnt lgkmcnt(0)
	v_cvt_f64_i32_e32 v[3:4], s1
	s_lshl_b32 s7, s7, 1
	v_min_f64 v[1:2], v[1:2], v[3:4]
	v_cvt_i32_f64_e32 v2, v[1:2]
	v_add_u32_e32 v1, s22, v0
	v_readfirstlane_b32 s23, v2
	v_cmp_lt_u32_e32 vcc, v1, v2
	s_and_saveexec_b64 s[16:17], vcc
	s_cbranch_execz .LBB19_6
; %bb.1:
	s_load_dwordx2 s[20:21], s[4:5], 0x40
	s_load_dwordx2 s[18:19], s[4:5], 0x0
	v_mov_b32_e32 v2, 0
	v_lshlrev_b64 v[3:4], 2, v[1:2]
	s_waitcnt lgkmcnt(0)
	v_mov_b32_e32 v5, s21
	v_add_co_u32_e32 v3, vcc, s20, v3
	s_cmp_lg_u64 s[20:21], 0
	v_addc_co_u32_e32 v4, vcc, v5, v4, vcc
	v_mov_b32_e32 v6, v2
	s_cselect_b64 s[4:5], -1, 0
	s_cmp_eq_u64 s[20:21], 0
	v_mov_b32_e32 v5, v1
	s_cbranch_scc1 .LBB19_3
; %bb.2:
	global_load_dword v5, v[3:4], off
	s_waitcnt vmcnt(0)
	v_ashrrev_i32_e32 v6, 31, v5
.LBB19_3:
	s_mul_i32 s20, s7, s1
	s_ashr_i32 s21, s20, 31
	s_lshl_b64 s[24:25], s[20:21], 1
	s_add_u32 s21, s18, s24
	v_lshlrev_b64 v[5:6], 1, v[5:6]
	s_addc_u32 s24, s19, s25
	v_mov_b32_e32 v7, s24
	v_add_co_u32_e32 v5, vcc, s21, v5
	v_addc_co_u32_e32 v6, vcc, v7, v6, vcc
	global_load_ushort v6, v[5:6], off
	v_lshlrev_b32_e32 v5, 1, v0
	s_andn2_b64 vcc, exec, s[4:5]
	s_waitcnt vmcnt(0)
	ds_write_b16 v5, v6
	s_cbranch_vccnz .LBB19_5
; %bb.4:
	global_load_dword v1, v[3:4], off
	s_waitcnt vmcnt(0)
	v_ashrrev_i32_e32 v2, 31, v1
.LBB19_5:
	s_add_i32 s4, s20, s1
	s_ashr_i32 s5, s4, 31
	s_lshl_b64 s[4:5], s[4:5], 1
	s_add_u32 s4, s18, s4
	v_lshlrev_b64 v[1:2], 1, v[1:2]
	s_addc_u32 s5, s19, s5
	v_mov_b32_e32 v3, s5
	v_add_co_u32_e32 v1, vcc, s4, v1
	v_addc_co_u32_e32 v2, vcc, v3, v2, vcc
	global_load_ushort v1, v[1:2], off
	s_waitcnt vmcnt(0)
	ds_write_b16 v5, v1 offset:256
.LBB19_6:
	s_or_b64 exec, exec, s[16:17]
	v_lshlrev_b32_e32 v1, 2, v0
	v_lshl_add_u32 v1, s6, 9, v1
	v_cmp_gt_i32_e32 vcc, s0, v1
	s_and_saveexec_b64 s[4:5], vcc
	s_cbranch_execz .LBB19_20
; %bb.7:
	s_abs_i32 s5, s2
	v_cvt_f32_u32_e32 v2, s5
	s_mov_b32 s4, 0
	v_mov_b32_e32 v15, 0
	v_mov_b32_e32 v14, 0
	v_rcp_iflag_f32_e32 v2, v2
	v_mov_b32_e32 v12, 0
	s_cmp_ge_i32 s22, s23
	v_mov_b32_e32 v11, 0
	v_mul_f32_e32 v2, 0x4f7ffffe, v2
	v_cvt_u32_f32_e32 v2, v2
	s_waitcnt lgkmcnt(0)
	s_barrier
	v_readfirstlane_b32 s6, v2
	s_cbranch_scc1 .LBB19_12
; %bb.8:
	s_sub_i32 s17, 0, s5
	s_mul_i32 s17, s17, s6
	s_mul_hi_u32 s17, s6, s17
	s_ashr_i32 s16, s1, 31
	s_abs_i32 s1, s1
	s_add_i32 s6, s6, s17
	s_ashr_i32 s2, s2, 31
	s_mul_hi_u32 s6, s1, s6
	s_xor_b32 s2, s16, s2
	s_mul_i32 s16, s6, s5
	s_sub_i32 s1, s1, s16
	s_add_i32 s16, s6, 1
	s_sub_i32 s17, s1, s5
	s_cmp_ge_u32 s1, s5
	s_cselect_b32 s6, s16, s6
	s_cselect_b32 s1, s17, s1
	s_add_i32 s16, s6, 1
	s_cmp_ge_u32 s1, s5
	s_cselect_b32 s1, s16, s6
	s_xor_b32 s1, s1, s2
	s_sub_i32 s5, s1, s2
	v_cvt_f32_u32_e32 v3, s5
	s_bitcmp1_b32 s3, 0
	s_cselect_b64 s[2:3], -1, 0
	s_sub_i32 s1, 0, s5
	v_rcp_iflag_f32_e32 v3, v3
	s_xor_b64 s[2:3], s[2:3], -1
	v_ashrrev_i32_e32 v2, 31, v1
	v_lshrrev_b32_e32 v4, 28, v2
	v_mul_f32_e32 v3, 0x4f7ffffe, v3
	v_cvt_u32_f32_e32 v3, v3
	v_add_u32_e32 v4, v1, v4
	v_ashrrev_i32_e32 v13, 4, v4
	v_mov_b32_e32 v7, s11
	v_readfirstlane_b32 s6, v3
	s_mul_i32 s1, s1, s6
	s_mul_hi_u32 s1, s6, s1
	s_add_i32 s6, s6, s1
	s_mul_hi_u32 s1, s22, s6
	s_mul_i32 s6, s1, s5
	s_sub_i32 s6, s22, s6
	s_add_i32 s16, s1, 1
	s_sub_i32 s17, s6, s5
	s_cmp_ge_u32 s6, s5
	s_cselect_b32 s1, s16, s1
	s_cselect_b32 s6, s17, s6
	s_add_i32 s16, s1, 1
	s_cmp_ge_u32 s6, s5
	s_cselect_b32 s6, s16, s1
	s_mul_i32 s1, s6, s0
	s_ashr_i32 s16, s1, 31
	s_lshr_b32 s16, s16, 28
	v_add_u32_e32 v3, s1, v1
	s_add_i32 s1, s1, s16
	s_ashr_i32 s1, s1, 4
	v_add_u32_e32 v5, s1, v13
	v_ashrrev_i32_e32 v6, 31, v5
	v_lshlrev_b64 v[5:6], 2, v[5:6]
	v_ashrrev_i32_e32 v4, 31, v3
	v_lshlrev_b64 v[3:4], 1, v[3:4]
	v_add_co_u32_e32 v5, vcc, s10, v5
	v_addc_co_u32_e32 v6, vcc, v7, v6, vcc
	global_load_dword v7, v[5:6], off
	v_mov_b32_e32 v5, s13
	v_add_co_u32_e32 v3, vcc, s12, v3
	v_addc_co_u32_e32 v4, vcc, v5, v4, vcc
	global_load_dwordx2 v[3:4], v[3:4], off
	v_lshlrev_b64 v[5:6], 2, v[1:2]
	v_cndmask_b32_e64 v2, 0, 1, s[2:3]
	s_lshr_b32 s2, s22, 4
	s_mul_i32 s2, s0, s2
	s_ashr_i32 s3, s2, 31
	s_add_i32 s21, s5, s22
	s_ashr_i32 s1, s0, 31
	s_lshl_b64 s[2:3], s[2:3], 2
	s_add_u32 s8, s8, s2
	s_addc_u32 s9, s9, s3
	v_mov_b32_e32 v9, s9
	v_add_co_u32_e32 v5, vcc, s8, v5
	v_lshlrev_b32_e32 v8, 3, v0
	v_addc_co_u32_e32 v6, vcc, v9, v6, vcc
	v_and_b32_e32 v16, 24, v8
	v_add_co_u32_e32 v5, vcc, 8, v5
	v_mov_b32_e32 v11, 0
	s_mov_b32 s16, 0x10001
	s_movk_i32 s17, 0x3400
	s_movk_i32 s18, 0x2c00
	;; [unrolled: 1-line block ×3, first 2 shown]
	s_mov_b32 s20, 0x7060302
	v_mov_b32_e32 v0, 0xe400e400
	v_mov_b32_e32 v12, 0
	;; [unrolled: 1-line block ×3, first 2 shown]
	s_lshl_b64 s[2:3], s[0:1], 2
	v_addc_co_u32_e32 v6, vcc, 0, v6, vcc
	v_mov_b32_e32 v15, 0
	s_waitcnt vmcnt(1)
	v_lshrrev_b32_e32 v8, v8, v7
	v_bfe_u32 v17, v7, v16, 2
	v_bfe_u32 v18, v8, 6, 2
	;; [unrolled: 1-line block ×4, first 2 shown]
	s_branch .LBB19_10
.LBB19_9:                               ;   in Loop: Header=BB19_10 Depth=1
	global_load_dwordx4 v[34:37], v[5:6], off offset:-8
	v_add_u32_e32 v33, v17, v2
	v_mad_u32_u24 v43, v33, s16, v0
	s_add_i32 s22, s22, 16
	v_add_co_u32_e32 v5, vcc, s2, v5
	s_waitcnt vmcnt(0)
	v_and_b32_e32 v9, 0x30003, v34
	v_and_b32_e32 v10, 0xc000c, v34
	v_and_b32_e32 v29, 0x300030, v34
	v_and_b32_e32 v30, 0xc000c0, v34
	v_lshrrev_b32_e32 v28, 8, v34
	v_and_b32_e32 v21, 0x30003, v35
	v_and_b32_e32 v22, 0xc000c, v35
	v_and_b32_e32 v31, 0x300030, v35
	v_and_b32_e32 v32, 0xc000c0, v35
	v_lshrrev_b32_e32 v27, 8, v35
	;; [unrolled: 5-line block ×4, first 2 shown]
	v_add_u32_e32 v36, v20, v2
	v_cvt_f32_u32_e32 v37, v33
	v_cvt_f32_u32_e32 v33, v36
	v_mad_u32_u24 v42, v36, s16, v0
	v_add_u32_e32 v36, v19, v2
	v_cvt_f32_u32_e32 v44, v36
	v_mad_u32_u24 v47, v36, s16, v0
	v_add_u32_e32 v36, v18, v2
	v_cvt_f32_u32_e32 v45, v36
	v_cvt_f16_f32_e32 v39, v37
	v_cvt_f16_f32_e32 v38, v33
	;; [unrolled: 1-line block ×3, first 2 shown]
	v_mad_u32_u24 v46, v36, s16, v0
	v_cvt_f16_f32_e32 v36, v45
	v_sub_f16_e32 v33, 0xdc00, v39
	v_mul_u32_u24_e32 v45, 0x10001, v33
	v_sub_f16_e32 v33, 0xdc00, v38
	v_mul_u32_u24_e32 v50, 0x10001, v33
	;; [unrolled: 2-line block ×4, first 2 shown]
	v_or_b32_e32 v21, 0x64006400, v21
	v_or_b32_e32 v33, 0x64006400, v25
	v_pk_add_f16 v25, v42, v21
	v_pk_add_f16 v21, v46, v33
	v_mov_b32_e32 v33, s4
	ds_read2_b32 v[51:52], v33 offset1:1
	v_or_b32_e32 v9, 0x64006400, v9
	v_or_b32_e32 v23, 0x64006400, v23
	;; [unrolled: 1-line block ×6, first 2 shown]
	v_pk_add_f16 v9, v43, v9
	v_pk_add_f16 v23, v47, v23
	v_pk_fma_f16 v10, v10, s17, v45 op_sel_hi:[1,0,1]
	v_pk_fma_f16 v26, v22, s17, v50 op_sel_hi:[1,0,1]
	;; [unrolled: 1-line block ×4, first 2 shown]
	s_waitcnt lgkmcnt(0)
	v_pk_fma_f16 v44, v9, v51, 0
	v_pk_fma_f16 v53, v25, v51, 0
	;; [unrolled: 1-line block ×8, first 2 shown]
	v_sub_f16_e32 v51, 0xd400, v39
	v_sub_f16_e32 v39, 0xcc00, v39
	;; [unrolled: 1-line block ×4, first 2 shown]
	v_mul_u32_u24_e32 v62, 0x10001, v51
	v_mul_u32_u24_e32 v51, 0x10001, v39
	v_or_b32_e32 v29, 0x64006400, v29
	v_or_b32_e32 v30, 0x64006400, v30
	v_sub_f16_e32 v56, 0xd400, v37
	v_sub_f16_e32 v37, 0xcc00, v37
	;; [unrolled: 1-line block ×4, first 2 shown]
	v_mul_u32_u24_e32 v61, 0x10001, v55
	v_mul_u32_u24_e32 v60, 0x10001, v38
	v_pk_fma_f16 v38, v29, s18, v62 op_sel_hi:[1,0,1]
	v_pk_fma_f16 v39, v30, s19, v51 op_sel_hi:[1,0,1]
	v_or_b32_e32 v29, 0x64006400, v31
	v_or_b32_e32 v30, 0x64006400, v32
	v_mul_u32_u24_e32 v59, 0x10001, v56
	v_mul_u32_u24_e32 v58, 0x10001, v37
	;; [unrolled: 1-line block ×3, first 2 shown]
	v_pk_fma_f16 v36, v29, s18, v61 op_sel_hi:[1,0,1]
	v_pk_fma_f16 v37, v30, s19, v60 op_sel_hi:[1,0,1]
	v_or_b32_e32 v29, 0x64006400, v34
	v_or_b32_e32 v30, 0x64006400, v35
	ds_read2_b32 v[34:35], v33 offset0:2 offset1:3
	v_mul_u32_u24_e32 v57, 0x10001, v57
	v_pk_fma_f16 v31, v29, s18, v59 op_sel_hi:[1,0,1]
	v_or_b32_e32 v29, 0x64006400, v40
	v_pk_fma_f16 v32, v30, s19, v58 op_sel_hi:[1,0,1]
	s_waitcnt lgkmcnt(0)
	v_pk_fma_f16 v40, v38, v34, v44
	v_or_b32_e32 v30, 0x64006400, v41
	v_pk_fma_f16 v29, v29, s18, v57 op_sel_hi:[1,0,1]
	v_pk_fma_f16 v55, v39, v35, v40
	v_pk_fma_f16 v40, v36, v34, v53
	v_pk_fma_f16 v30, v30, s19, v56 op_sel_hi:[1,0,1]
	v_pk_fma_f16 v53, v37, v35, v40
	v_pk_fma_f16 v40, v31, v34, v54
	;; [unrolled: 1-line block ×4, first 2 shown]
	v_and_b32_e32 v34, 0x30003, v28
	v_or_b32_e32 v34, 0x64006400, v34
	v_pk_add_f16 v44, v43, v34
	v_and_b32_e32 v34, 0xc000c, v28
	v_or_b32_e32 v34, 0x64006400, v34
	v_pk_fma_f16 v45, v34, s17, v45 op_sel_hi:[1,0,1]
	v_and_b32_e32 v34, 0x30003, v27
	v_or_b32_e32 v34, 0x64006400, v34
	v_pk_add_f16 v42, v42, v34
	v_and_b32_e32 v34, 0xc000c, v27
	v_or_b32_e32 v34, 0x64006400, v34
	v_pk_fma_f16 v43, v34, s17, v50 op_sel_hi:[1,0,1]
	v_and_b32_e32 v34, 0x30003, v8
	v_or_b32_e32 v34, 0x64006400, v34
	v_pk_fma_f16 v54, v32, v35, v40
	v_pk_add_f16 v40, v47, v34
	v_and_b32_e32 v34, 0xc000c, v8
	v_or_b32_e32 v34, 0x64006400, v34
	v_pk_fma_f16 v41, v34, s17, v49 op_sel_hi:[1,0,1]
	v_and_b32_e32 v34, 0x30003, v7
	v_or_b32_e32 v34, 0x64006400, v34
	v_pk_add_f16 v34, v46, v34
	ds_read2_b32 v[46:47], v33 offset0:4 offset1:5
	v_and_b32_e32 v35, 0xc000c, v7
	v_or_b32_e32 v35, 0x64006400, v35
	v_pk_fma_f16 v35, v35, s17, v48 op_sel_hi:[1,0,1]
	s_add_i32 s4, s4, 32
	s_waitcnt lgkmcnt(0)
	v_pk_fma_f16 v48, v44, v46, v55
	v_pk_fma_f16 v52, v45, v47, v48
	;; [unrolled: 1-line block ×7, first 2 shown]
	v_and_b32_e32 v46, 0x300030, v28
	v_and_b32_e32 v28, 0xc000c0, v28
	v_or_b32_e32 v28, 0x64006400, v28
	v_pk_fma_f16 v51, v28, s19, v51 op_sel_hi:[1,0,1]
	v_and_b32_e32 v28, 0x300030, v27
	v_and_b32_e32 v27, 0xc000c0, v27
	v_or_b32_e32 v27, 0x64006400, v27
	v_pk_fma_f16 v49, v27, s19, v60 op_sel_hi:[1,0,1]
	v_and_b32_e32 v27, 0x300030, v8
	v_and_b32_e32 v8, 0xc000c0, v8
	v_or_b32_e32 v8, 0x64006400, v8
	v_pk_fma_f16 v54, v41, v47, v48
	v_pk_fma_f16 v47, v8, s19, v58 op_sel_hi:[1,0,1]
	v_and_b32_e32 v8, 0x300030, v7
	v_and_b32_e32 v7, 0xc000c0, v7
	v_or_b32_e32 v46, 0x64006400, v46
	v_or_b32_e32 v28, 0x64006400, v28
	;; [unrolled: 1-line block ×5, first 2 shown]
	v_pk_fma_f16 v50, v46, s18, v62 op_sel_hi:[1,0,1]
	v_pk_fma_f16 v48, v28, s18, v61 op_sel_hi:[1,0,1]
	;; [unrolled: 1-line block ×5, first 2 shown]
	ds_read2_b32 v[7:8], v33 offset0:6 offset1:7
	ds_read2_b32 v[56:57], v33 offset0:66 offset1:67
	s_cmp_ge_i32 s22, s23
	s_waitcnt lgkmcnt(1)
	v_pk_fma_f16 v52, v50, v7, v52
	v_pk_fma_f16 v58, v51, v8, v52
	;; [unrolled: 1-line block ×6, first 2 shown]
	ds_read2_b32 v[54:55], v33 offset0:64 offset1:65
	v_pk_fma_f16 v53, v28, v8, v7
	v_pk_fma_f16 v52, v47, v8, v52
	s_waitcnt lgkmcnt(0)
	v_pk_fma_f16 v7, v9, v54, 0
	v_pk_fma_f16 v7, v10, v55, v7
	ds_read2_b32 v[9:10], v33 offset0:68 offset1:69
	v_pk_fma_f16 v7, v38, v56, v7
	v_pk_fma_f16 v7, v39, v57, v7
	;; [unrolled: 1-line block ×4, first 2 shown]
	s_waitcnt lgkmcnt(0)
	v_pk_fma_f16 v7, v44, v9, v7
	v_pk_fma_f16 v21, v21, v54, 0
	;; [unrolled: 1-line block ×3, first 2 shown]
	ds_read2_b32 v[7:8], v33 offset0:70 offset1:71
	v_pk_fma_f16 v25, v26, v55, v25
	v_pk_fma_f16 v23, v24, v55, v23
	;; [unrolled: 1-line block ×15, first 2 shown]
	s_waitcnt lgkmcnt(0)
	v_pk_fma_f16 v33, v50, v7, v38
	v_pk_fma_f16 v25, v48, v7, v25
	;; [unrolled: 1-line block ×8, first 2 shown]
	v_pack_b32_f16 v8, v52, v53
	v_perm_b32 v9, v53, v52, s20
	v_pack_b32_f16 v26, v58, v59
	v_perm_b32 v36, v59, v58, s20
	v_pk_add_f16 v8, v8, v9
	v_pk_add_f16 v26, v26, v36
	v_pk_fma_f16 v14, v8, v4, v14
	v_pack_b32_f16 v8, v23, v7
	v_perm_b32 v7, v7, v23, s20
	v_pk_fma_f16 v15, v26, v3, v15
	v_pack_b32_f16 v26, v33, v25
	v_perm_b32 v25, v25, v33, s20
	v_pk_add_f16 v7, v8, v7
	v_pk_add_f16 v25, v26, v25
	v_pk_fma_f16 v11, v7, v4, v11
	v_mov_b32_e32 v7, s3
	v_pk_fma_f16 v12, v25, v3, v12
	v_addc_co_u32_e32 v6, vcc, v6, v7, vcc
	s_cbranch_scc1 .LBB19_12
.LBB19_10:                              ; =>This Inner Loop Header: Depth=1
	s_cmp_lg_u32 s22, s21
	s_cbranch_scc1 .LBB19_9
; %bb.11:                               ;   in Loop: Header=BB19_10 Depth=1
	s_add_i32 s6, s6, 1
	s_mul_i32 s1, s6, s0
	s_ashr_i32 s8, s1, 31
	s_lshr_b32 s8, s8, 28
	s_add_i32 s8, s1, s8
	s_ashr_i32 s8, s8, 4
	s_waitcnt vmcnt(0)
	v_add_u32_e32 v3, s8, v13
	v_ashrrev_i32_e32 v4, 31, v3
	v_lshlrev_b64 v[3:4], 2, v[3:4]
	v_mov_b32_e32 v7, s11
	v_add_co_u32_e32 v3, vcc, s10, v3
	v_addc_co_u32_e32 v4, vcc, v7, v4, vcc
	global_load_dword v7, v[3:4], off
	v_add_u32_e32 v3, s1, v1
	v_ashrrev_i32_e32 v4, 31, v3
	v_lshlrev_b64 v[3:4], 1, v[3:4]
	v_mov_b32_e32 v8, s13
	v_add_co_u32_e32 v3, vcc, s12, v3
	v_addc_co_u32_e32 v4, vcc, v8, v4, vcc
	global_load_dwordx2 v[3:4], v[3:4], off
	s_add_i32 s21, s21, s5
	s_waitcnt vmcnt(1)
	v_lshrrev_b32_e32 v8, v16, v7
	v_bfe_u32 v17, v7, v16, 2
	v_bfe_u32 v20, v8, 2, 2
	;; [unrolled: 1-line block ×4, first 2 shown]
	s_branch .LBB19_9
.LBB19_12:
	s_mul_i32 s7, s7, s0
	v_add_u32_e32 v0, s7, v1
	v_ashrrev_i32_e32 v1, 31, v0
	v_lshlrev_b64 v[1:2], 1, v[0:1]
	v_mov_b32_e32 v3, s15
	v_add_co_u32_e32 v1, vcc, s14, v1
	v_addc_co_u32_e32 v2, vcc, v3, v2, vcc
	global_load_dword v4, v[1:2], off
	s_mov_b64 s[2:3], 0
.LBB19_13:                              ; =>This Inner Loop Header: Depth=1
	s_waitcnt vmcnt(0)
	v_pk_add_f16 v3, v15, v4
	global_atomic_cmpswap v3, v[1:2], v[3:4], off glc
	s_waitcnt vmcnt(0)
	v_cmp_eq_u32_e32 vcc, v4, v3
	s_or_b64 s[2:3], vcc, s[2:3]
	v_mov_b32_e32 v4, v3
	s_andn2_b64 exec, exec, s[2:3]
	s_cbranch_execnz .LBB19_13
; %bb.14:
	s_or_b64 exec, exec, s[2:3]
	global_load_dword v4, v[1:2], off offset:4
	s_mov_b64 s[2:3], 0
.LBB19_15:                              ; =>This Inner Loop Header: Depth=1
	s_waitcnt vmcnt(0)
	v_pk_add_f16 v3, v14, v4
	global_atomic_cmpswap v3, v[1:2], v[3:4], off offset:4 glc
	s_waitcnt vmcnt(0)
	v_cmp_eq_u32_e32 vcc, v4, v3
	s_or_b64 s[2:3], vcc, s[2:3]
	v_mov_b32_e32 v4, v3
	s_andn2_b64 exec, exec, s[2:3]
	s_cbranch_execnz .LBB19_15
; %bb.16:
	s_or_b64 exec, exec, s[2:3]
	v_add_u32_e32 v0, s0, v0
	v_ashrrev_i32_e32 v1, 31, v0
	v_lshlrev_b64 v[0:1], 1, v[0:1]
	v_mov_b32_e32 v2, s15
	v_add_co_u32_e32 v0, vcc, s14, v0
	v_addc_co_u32_e32 v1, vcc, v2, v1, vcc
	global_load_dword v3, v[0:1], off
	s_mov_b64 s[0:1], 0
.LBB19_17:                              ; =>This Inner Loop Header: Depth=1
	s_waitcnt vmcnt(0)
	v_pk_add_f16 v2, v12, v3
	global_atomic_cmpswap v2, v[0:1], v[2:3], off glc
	s_waitcnt vmcnt(0)
	v_cmp_eq_u32_e32 vcc, v3, v2
	s_or_b64 s[0:1], vcc, s[0:1]
	v_mov_b32_e32 v3, v2
	s_andn2_b64 exec, exec, s[0:1]
	s_cbranch_execnz .LBB19_17
; %bb.18:
	s_or_b64 exec, exec, s[0:1]
	global_load_dword v3, v[0:1], off offset:4
	s_mov_b64 s[0:1], 0
.LBB19_19:                              ; =>This Inner Loop Header: Depth=1
	s_waitcnt vmcnt(0)
	v_pk_add_f16 v2, v11, v3
	global_atomic_cmpswap v2, v[0:1], v[2:3], off offset:4 glc
	s_waitcnt vmcnt(0)
	v_cmp_eq_u32_e32 vcc, v3, v2
	s_or_b64 s[0:1], vcc, s[0:1]
	v_mov_b32_e32 v3, v2
	s_andn2_b64 exec, exec, s[0:1]
	s_cbranch_execnz .LBB19_19
.LBB19_20:
	s_endpgm
	.section	.rodata,"a",@progbits
	.p2align	6, 0x0
	.amdhsa_kernel _ZN4vllm4gptq33gemm_half_q_half_gptq_2bit_kernelILb1ELi2EEEvPK6__halfPKjS6_S4_PS2_iiiibPKi
		.amdhsa_group_segment_fixed_size 512
		.amdhsa_private_segment_fixed_size 0
		.amdhsa_kernarg_size 72
		.amdhsa_user_sgpr_count 6
		.amdhsa_user_sgpr_private_segment_buffer 1
		.amdhsa_user_sgpr_dispatch_ptr 0
		.amdhsa_user_sgpr_queue_ptr 0
		.amdhsa_user_sgpr_kernarg_segment_ptr 1
		.amdhsa_user_sgpr_dispatch_id 0
		.amdhsa_user_sgpr_flat_scratch_init 0
		.amdhsa_user_sgpr_private_segment_size 0
		.amdhsa_uses_dynamic_stack 0
		.amdhsa_system_sgpr_private_segment_wavefront_offset 0
		.amdhsa_system_sgpr_workgroup_id_x 1
		.amdhsa_system_sgpr_workgroup_id_y 1
		.amdhsa_system_sgpr_workgroup_id_z 1
		.amdhsa_system_sgpr_workgroup_info 0
		.amdhsa_system_vgpr_workitem_id 0
		.amdhsa_next_free_vgpr 64
		.amdhsa_next_free_sgpr 26
		.amdhsa_reserve_vcc 1
		.amdhsa_reserve_flat_scratch 0
		.amdhsa_float_round_mode_32 0
		.amdhsa_float_round_mode_16_64 0
		.amdhsa_float_denorm_mode_32 3
		.amdhsa_float_denorm_mode_16_64 3
		.amdhsa_dx10_clamp 1
		.amdhsa_ieee_mode 1
		.amdhsa_fp16_overflow 0
		.amdhsa_exception_fp_ieee_invalid_op 0
		.amdhsa_exception_fp_denorm_src 0
		.amdhsa_exception_fp_ieee_div_zero 0
		.amdhsa_exception_fp_ieee_overflow 0
		.amdhsa_exception_fp_ieee_underflow 0
		.amdhsa_exception_fp_ieee_inexact 0
		.amdhsa_exception_int_div_zero 0
	.end_amdhsa_kernel
	.section	.text._ZN4vllm4gptq33gemm_half_q_half_gptq_2bit_kernelILb1ELi2EEEvPK6__halfPKjS6_S4_PS2_iiiibPKi,"axG",@progbits,_ZN4vllm4gptq33gemm_half_q_half_gptq_2bit_kernelILb1ELi2EEEvPK6__halfPKjS6_S4_PS2_iiiibPKi,comdat
.Lfunc_end19:
	.size	_ZN4vllm4gptq33gemm_half_q_half_gptq_2bit_kernelILb1ELi2EEEvPK6__halfPKjS6_S4_PS2_iiiibPKi, .Lfunc_end19-_ZN4vllm4gptq33gemm_half_q_half_gptq_2bit_kernelILb1ELi2EEEvPK6__halfPKjS6_S4_PS2_iiiibPKi
                                        ; -- End function
	.set _ZN4vllm4gptq33gemm_half_q_half_gptq_2bit_kernelILb1ELi2EEEvPK6__halfPKjS6_S4_PS2_iiiibPKi.num_vgpr, 64
	.set _ZN4vllm4gptq33gemm_half_q_half_gptq_2bit_kernelILb1ELi2EEEvPK6__halfPKjS6_S4_PS2_iiiibPKi.num_agpr, 0
	.set _ZN4vllm4gptq33gemm_half_q_half_gptq_2bit_kernelILb1ELi2EEEvPK6__halfPKjS6_S4_PS2_iiiibPKi.numbered_sgpr, 26
	.set _ZN4vllm4gptq33gemm_half_q_half_gptq_2bit_kernelILb1ELi2EEEvPK6__halfPKjS6_S4_PS2_iiiibPKi.num_named_barrier, 0
	.set _ZN4vllm4gptq33gemm_half_q_half_gptq_2bit_kernelILb1ELi2EEEvPK6__halfPKjS6_S4_PS2_iiiibPKi.private_seg_size, 0
	.set _ZN4vllm4gptq33gemm_half_q_half_gptq_2bit_kernelILb1ELi2EEEvPK6__halfPKjS6_S4_PS2_iiiibPKi.uses_vcc, 1
	.set _ZN4vllm4gptq33gemm_half_q_half_gptq_2bit_kernelILb1ELi2EEEvPK6__halfPKjS6_S4_PS2_iiiibPKi.uses_flat_scratch, 0
	.set _ZN4vllm4gptq33gemm_half_q_half_gptq_2bit_kernelILb1ELi2EEEvPK6__halfPKjS6_S4_PS2_iiiibPKi.has_dyn_sized_stack, 0
	.set _ZN4vllm4gptq33gemm_half_q_half_gptq_2bit_kernelILb1ELi2EEEvPK6__halfPKjS6_S4_PS2_iiiibPKi.has_recursion, 0
	.set _ZN4vllm4gptq33gemm_half_q_half_gptq_2bit_kernelILb1ELi2EEEvPK6__halfPKjS6_S4_PS2_iiiibPKi.has_indirect_call, 0
	.section	.AMDGPU.csdata,"",@progbits
; Kernel info:
; codeLenInByte = 3152
; TotalNumSgprs: 30
; NumVgprs: 64
; ScratchSize: 0
; MemoryBound: 0
; FloatMode: 240
; IeeeMode: 1
; LDSByteSize: 512 bytes/workgroup (compile time only)
; SGPRBlocks: 3
; VGPRBlocks: 15
; NumSGPRsForWavesPerEU: 30
; NumVGPRsForWavesPerEU: 64
; Occupancy: 4
; WaveLimiterHint : 0
; COMPUTE_PGM_RSRC2:SCRATCH_EN: 0
; COMPUTE_PGM_RSRC2:USER_SGPR: 6
; COMPUTE_PGM_RSRC2:TRAP_HANDLER: 0
; COMPUTE_PGM_RSRC2:TGID_X_EN: 1
; COMPUTE_PGM_RSRC2:TGID_Y_EN: 1
; COMPUTE_PGM_RSRC2:TGID_Z_EN: 1
; COMPUTE_PGM_RSRC2:TIDIG_COMP_CNT: 0
	.section	.text._ZN4vllm4gptq33gemm_half_q_half_gptq_3bit_kernelILb1ELi2EEEvPK6__halfPKjS6_S4_PS2_iiiibPKi,"axG",@progbits,_ZN4vllm4gptq33gemm_half_q_half_gptq_3bit_kernelILb1ELi2EEEvPK6__halfPKjS6_S4_PS2_iiiibPKi,comdat
	.protected	_ZN4vllm4gptq33gemm_half_q_half_gptq_3bit_kernelILb1ELi2EEEvPK6__halfPKjS6_S4_PS2_iiiibPKi ; -- Begin function _ZN4vllm4gptq33gemm_half_q_half_gptq_3bit_kernelILb1ELi2EEEvPK6__halfPKjS6_S4_PS2_iiiibPKi
	.globl	_ZN4vllm4gptq33gemm_half_q_half_gptq_3bit_kernelILb1ELi2EEEvPK6__halfPKjS6_S4_PS2_iiiibPKi
	.p2align	8
	.type	_ZN4vllm4gptq33gemm_half_q_half_gptq_3bit_kernelILb1ELi2EEEvPK6__halfPKjS6_S4_PS2_iiiibPKi,@function
_ZN4vllm4gptq33gemm_half_q_half_gptq_3bit_kernelILb1ELi2EEEvPK6__halfPKjS6_S4_PS2_iiiibPKi: ; @_ZN4vllm4gptq33gemm_half_q_half_gptq_3bit_kernelILb1ELi2EEEvPK6__halfPKjS6_S4_PS2_iiiibPKi
; %bb.0:
	s_mov_b64 s[42:43], s[2:3]
	s_load_dwordx4 s[16:19], s[4:5], 0x2c
	s_mov_b64 s[40:41], s[0:1]
	s_add_u32 s40, s40, s9
	s_addc_u32 s41, s41, 0
	s_lshl_b32 s25, s8, 7
	s_add_i32 s0, s25, 0x80
	v_cvt_f64_u32_e32 v[1:2], s0
	s_waitcnt lgkmcnt(0)
	v_cvt_f64_i32_e32 v[3:4], s17
	s_load_dwordx8 s[8:15], s[4:5], 0x8
	s_lshl_b32 s24, s7, 1
	v_min_f64 v[1:2], v[1:2], v[3:4]
	v_cvt_i32_f64_e32 v2, v[1:2]
	v_add_u32_e32 v1, s25, v0
	v_readfirstlane_b32 s26, v2
	v_cmp_lt_u32_e32 vcc, v1, v2
	s_and_saveexec_b64 s[0:1], vcc
	s_cbranch_execz .LBB20_6
; %bb.1:
	s_load_dwordx2 s[20:21], s[4:5], 0x40
	s_load_dwordx2 s[2:3], s[4:5], 0x0
	v_mov_b32_e32 v2, 0
	v_lshlrev_b64 v[3:4], 2, v[1:2]
	s_waitcnt lgkmcnt(0)
	v_mov_b32_e32 v5, s21
	v_add_co_u32_e32 v3, vcc, s20, v3
	s_cmp_lg_u64 s[20:21], 0
	v_addc_co_u32_e32 v4, vcc, v5, v4, vcc
	v_mov_b32_e32 v6, v2
	s_cselect_b64 s[4:5], -1, 0
	s_cmp_eq_u64 s[20:21], 0
	v_mov_b32_e32 v5, v1
	s_cbranch_scc1 .LBB20_3
; %bb.2:
	global_load_dword v5, v[3:4], off
	s_waitcnt vmcnt(0)
	v_ashrrev_i32_e32 v6, 31, v5
.LBB20_3:
	s_mul_i32 s20, s24, s17
	s_ashr_i32 s21, s20, 31
	s_lshl_b64 s[22:23], s[20:21], 1
	s_add_u32 s7, s2, s22
	v_lshlrev_b64 v[5:6], 1, v[5:6]
	s_addc_u32 s21, s3, s23
	v_mov_b32_e32 v7, s21
	v_add_co_u32_e32 v5, vcc, s7, v5
	v_addc_co_u32_e32 v6, vcc, v7, v6, vcc
	global_load_ushort v6, v[5:6], off
	v_lshlrev_b32_e32 v5, 1, v0
	s_andn2_b64 vcc, exec, s[4:5]
	s_waitcnt vmcnt(0)
	ds_write_b16 v5, v6
	s_cbranch_vccnz .LBB20_5
; %bb.4:
	global_load_dword v1, v[3:4], off
	s_waitcnt vmcnt(0)
	v_ashrrev_i32_e32 v2, 31, v1
.LBB20_5:
	s_add_i32 s4, s20, s17
	s_ashr_i32 s5, s4, 31
	s_lshl_b64 s[4:5], s[4:5], 1
	s_add_u32 s2, s2, s4
	v_lshlrev_b64 v[1:2], 1, v[1:2]
	s_addc_u32 s3, s3, s5
	v_mov_b32_e32 v3, s3
	v_add_co_u32_e32 v1, vcc, s2, v1
	v_addc_co_u32_e32 v2, vcc, v3, v2, vcc
	global_load_ushort v1, v[1:2], off
	s_waitcnt vmcnt(0)
	ds_write_b16 v5, v1 offset:256
.LBB20_6:
	s_or_b64 exec, exec, s[0:1]
	v_lshlrev_b32_e32 v0, 2, v0
	v_lshl_add_u32 v2, s6, 9, v0
	v_mov_b32_e32 v1, v2
	buffer_store_dword v1, off, s[40:43], 0 offset:88 ; 4-byte Folded Spill
	s_nop 0
	buffer_store_dword v2, off, s[40:43], 0 offset:92 ; 4-byte Folded Spill
	v_cmp_gt_i32_e32 vcc, s16, v2
	s_and_saveexec_b64 s[0:1], vcc
	s_cbranch_execz .LBB20_52
; %bb.7:
	s_abs_i32 s0, s18
	v_cvt_f32_u32_e32 v1, s0
	s_sub_i32 s3, 0, s0
	s_abs_i32 s2, s17
	s_xor_b32 s1, s17, s18
	v_rcp_iflag_f32_e32 v1, v1
	s_ashr_i32 s1, s1, 31
	v_and_b32_e32 v2, 28, v0
	v_cmp_lt_u32_e32 vcc, 4, v2
	v_mul_f32_e32 v1, 0x4f7ffffe, v1
	v_cvt_u32_f32_e32 v1, v1
	s_waitcnt vmcnt(0) lgkmcnt(0)
	s_barrier
	v_readfirstlane_b32 s4, v1
	s_mul_i32 s3, s3, s4
	s_mul_hi_u32 s3, s4, s3
	s_add_i32 s4, s4, s3
	s_mul_hi_u32 s3, s2, s4
	s_mul_i32 s4, s3, s0
	s_sub_i32 s2, s2, s4
	s_add_i32 s5, s3, 1
	s_sub_i32 s4, s2, s0
	s_cmp_ge_u32 s2, s0
	s_cselect_b32 s3, s5, s3
	s_cselect_b32 s2, s4, s2
	s_add_i32 s4, s3, 1
	s_cmp_ge_u32 s2, s0
	s_cselect_b32 s0, s4, s3
	s_xor_b32 s0, s0, s1
	s_sub_i32 s27, s0, s1
	v_cvt_f32_u32_e32 v1, s27
	s_sub_i32 s0, 0, s27
                                        ; implicit-def: $vgpr3
                                        ; implicit-def: $vgpr0
	v_rcp_iflag_f32_e32 v1, v1
	v_mul_f32_e32 v1, 0x4f7ffffe, v1
	v_cvt_u32_f32_e32 v1, v1
	v_readfirstlane_b32 s1, v1
	s_mul_i32 s0, s0, s1
	s_mul_hi_u32 s0, s1, s0
	s_add_i32 s1, s1, s0
	s_mul_hi_u32 s0, s25, s1
	s_mul_i32 s1, s0, s27
	s_sub_i32 s1, s25, s1
	s_add_i32 s2, s0, 1
	s_sub_i32 s3, s1, s27
	s_cmp_ge_u32 s1, s27
	s_cselect_b32 s0, s2, s0
	s_cselect_b32 s1, s3, s1
	s_add_i32 s2, s0, 1
	s_cmp_ge_u32 s1, s27
	s_cselect_b32 s28, s2, s0
	s_and_saveexec_b64 s[0:1], vcc
	s_xor_b64 s[2:3], exec, s[0:1]
	s_cbranch_execz .LBB20_21
; %bb.8:
	v_cmp_ne_u32_e64 s[0:1], 8, v2
                                        ; implicit-def: $vgpr3
                                        ; implicit-def: $vgpr0
	s_and_saveexec_b64 s[4:5], s[0:1]
	s_xor_b64 s[4:5], exec, s[4:5]
	s_cbranch_execz .LBB20_18
; %bb.9:
	v_cmp_lt_u32_e64 s[0:1], 16, v2
                                        ; implicit-def: $vgpr3
                                        ; implicit-def: $vgpr0
	s_and_saveexec_b64 s[6:7], s[0:1]
	s_xor_b64 s[6:7], exec, s[6:7]
	s_cbranch_execz .LBB20_15
; %bb.10:
	buffer_load_dword v0, off, s[40:43], 0 offset:88 ; 4-byte Folded Reload
	buffer_load_dword v1, off, s[40:43], 0 offset:92 ; 4-byte Folded Reload
	s_mul_i32 s17, s28, s16
	s_ashr_i32 s0, s17, 31
	s_lshr_b32 s0, s0, 27
	s_add_i32 s0, s17, s0
	s_ashr_i32 s0, s0, 5
	v_mov_b32_e32 v3, s11
	s_waitcnt vmcnt(1)
	v_lshl_add_u32 v0, v0, 1, v0
	s_waitcnt vmcnt(0)
	v_ashrrev_i32_e32 v1, 31, v0
	v_lshrrev_b32_e32 v1, 27, v1
	v_add_u32_e32 v0, v0, v1
	v_ashrrev_i32_e32 v0, 5, v0
	v_mad_u64_u32 v[0:1], s[0:1], s0, 3, v[0:1]
	v_ashrrev_i32_e32 v1, 31, v0
	v_lshlrev_b64 v[0:1], 2, v[0:1]
	v_add_co_u32_e64 v0, s[0:1], s10, v0
	v_addc_co_u32_e64 v1, s[0:1], v3, v1, s[0:1]
	global_load_dword v4, v[0:1], off
	v_cmp_ne_u32_e64 s[0:1], 20, v2
                                        ; implicit-def: $vgpr3
	s_and_saveexec_b64 s[20:21], s[0:1]
	s_xor_b64 s[0:1], exec, s[20:21]
	s_cbranch_execz .LBB20_12
; %bb.11:
	v_not_b32_e32 v0, 63
	v_mad_u32_u24 v0, v2, 3, v0
	s_waitcnt vmcnt(0)
	v_lshrrev_b32_e32 v3, v0, v4
                                        ; implicit-def: $vgpr0_vgpr1
                                        ; implicit-def: $vgpr4
.LBB20_12:
	s_andn2_saveexec_b64 s[0:1], s[0:1]
	s_cbranch_execz .LBB20_14
; %bb.13:
	global_load_dword v0, v[0:1], off offset:4
	s_waitcnt vmcnt(0)
	v_alignbit_b32 v0, v0, v4, 28
	v_and_b32_e32 v3, 0xfff, v0
.LBB20_14:
	s_or_b64 exec, exec, s[0:1]
	v_mov_b32_e32 v0, s17
.LBB20_15:
	s_andn2_saveexec_b64 s[6:7], s[6:7]
	s_cbranch_execz .LBB20_17
; %bb.16:
	buffer_load_dword v0, off, s[40:43], 0 offset:88 ; 4-byte Folded Reload
	buffer_load_dword v1, off, s[40:43], 0 offset:92 ; 4-byte Folded Reload
	s_mul_i32 s17, s28, s16
	s_ashr_i32 s0, s17, 31
	s_lshr_b32 s0, s0, 27
	s_add_i32 s0, s17, s0
	s_ashr_i32 s0, s0, 5
	v_mov_b32_e32 v3, s11
	s_waitcnt vmcnt(1)
	v_lshl_add_u32 v0, v0, 1, v0
	s_waitcnt vmcnt(0)
	v_ashrrev_i32_e32 v1, 31, v0
	v_lshrrev_b32_e32 v1, 27, v1
	v_add_u32_e32 v0, v0, v1
	v_ashrrev_i32_e32 v0, 5, v0
	v_mad_u64_u32 v[0:1], s[0:1], s0, 3, v[0:1]
	v_ashrrev_i32_e32 v1, 31, v0
	v_lshlrev_b64 v[0:1], 2, v[0:1]
	v_add_co_u32_e64 v0, s[0:1], s10, v0
	v_addc_co_u32_e64 v1, s[0:1], v3, v1, s[0:1]
	global_load_dword v0, v[0:1], off
	v_not_b32_e32 v1, 31
	v_mad_u32_u24 v1, v2, 3, v1
	s_waitcnt vmcnt(0)
	v_lshrrev_b32_e32 v3, v1, v0
	v_mov_b32_e32 v0, s17
.LBB20_17:
	s_or_b64 exec, exec, s[6:7]
.LBB20_18:
	s_andn2_saveexec_b64 s[4:5], s[4:5]
	s_cbranch_execz .LBB20_20
; %bb.19:
	buffer_load_dword v0, off, s[40:43], 0 offset:88 ; 4-byte Folded Reload
	buffer_load_dword v1, off, s[40:43], 0 offset:92 ; 4-byte Folded Reload
	s_mul_i32 s6, s28, s16
	s_ashr_i32 s0, s6, 31
	s_lshr_b32 s0, s0, 27
	s_add_i32 s0, s6, s0
	s_ashr_i32 s0, s0, 5
	v_mov_b32_e32 v3, s11
	s_waitcnt vmcnt(1)
	v_lshl_add_u32 v0, v0, 1, v0
	s_waitcnt vmcnt(0)
	v_ashrrev_i32_e32 v1, 31, v0
	v_lshrrev_b32_e32 v1, 27, v1
	v_add_u32_e32 v0, v0, v1
	v_ashrrev_i32_e32 v0, 5, v0
	v_mad_u64_u32 v[0:1], s[0:1], s0, 3, v[0:1]
	v_ashrrev_i32_e32 v1, 31, v0
	v_lshlrev_b64 v[0:1], 2, v[0:1]
	v_add_co_u32_e64 v0, s[0:1], s10, v0
	v_addc_co_u32_e64 v1, s[0:1], v3, v1, s[0:1]
	global_load_dwordx2 v[0:1], v[0:1], off
	s_mov_b32 s0, 0x2010007
	s_waitcnt vmcnt(0)
	v_perm_b32 v0, v0, v1, s0
	v_and_b32_e32 v3, 0xfff, v0
	v_mov_b32_e32 v0, s6
.LBB20_20:
	s_or_b64 exec, exec, s[4:5]
.LBB20_21:
	s_or_saveexec_b64 s[2:3], s[2:3]
	buffer_load_dword v4, off, s[40:43], 0 offset:88 ; 4-byte Folded Reload
	buffer_load_dword v5, off, s[40:43], 0 offset:92 ; 4-byte Folded Reload
	s_waitcnt vmcnt(0)
	v_mul_u32_u24_e32 v5, 3, v2
	buffer_store_dword v5, off, s[40:43], 0 offset:104 ; 4-byte Folded Spill
	v_lshl_add_u32 v1, v4, 1, v4
	v_ashrrev_i32_e32 v4, 31, v1
	s_xor_b64 exec, exec, s[2:3]
	s_cbranch_execz .LBB20_23
; %bb.22:
	s_mul_i32 s4, s28, s16
	s_ashr_i32 s0, s4, 31
	s_lshr_b32 s0, s0, 27
	v_lshrrev_b32_e32 v0, 27, v4
	s_add_i32 s0, s4, s0
	v_add_u32_e32 v0, v1, v0
	s_ashr_i32 s0, s0, 5
	v_ashrrev_i32_e32 v0, 5, v0
	v_mad_u64_u32 v[5:6], s[0:1], s0, 3, v[0:1]
	v_mov_b32_e32 v0, s11
	v_mul_u32_u24_e32 v3, 3, v2
	v_ashrrev_i32_e32 v6, 31, v5
	v_lshlrev_b64 v[5:6], 2, v[5:6]
	v_add_co_u32_e64 v5, s[0:1], s10, v5
	v_addc_co_u32_e64 v6, s[0:1], v0, v6, s[0:1]
	global_load_dword v0, v[5:6], off
	s_waitcnt vmcnt(0)
	v_lshrrev_b32_e32 v3, v3, v0
	v_mov_b32_e32 v0, s4
.LBB20_23:
	s_or_b64 exec, exec, s[2:3]
	s_mov_b32 s29, 0
	v_mov_b32_e32 v14, 0
	s_cmp_ge_i32 s25, s26
	v_mov_b32_e32 v13, 0
	v_mov_b32_e32 v12, 0
	;; [unrolled: 1-line block ×3, first 2 shown]
	s_cbranch_scc1 .LBB20_44
; %bb.24:
	buffer_load_dword v5, off, s[40:43], 0 offset:88 ; 4-byte Folded Reload
	buffer_load_dword v6, off, s[40:43], 0 offset:92 ; 4-byte Folded Reload
	s_add_i32 s30, s27, s25
	v_cmp_lt_u32_e64 s[2:3], 16, v2
	v_cmp_ne_u32_e64 s[4:5], 20, v2
	s_mul_hi_i32 s31, s16, 12
	s_mul_i32 s33, s16, 12
	s_mov_b32 s34, 0x10001
	s_mov_b32 s35, 0x64006400
	s_movk_i32 s36, 0x3000
	s_movk_i32 s37, 0x2400
	s_mov_b32 s38, 0x7060302
	v_mov_b32_e32 v12, 0
	v_mov_b32_e32 v13, 0
	;; [unrolled: 1-line block ×3, first 2 shown]
	s_waitcnt vmcnt(1)
	v_mov_b32_e32 v7, v5
	v_add_u32_e32 v5, v0, v7
	s_waitcnt vmcnt(0)
	v_ashrrev_i32_e32 v6, 31, v5
	v_lshlrev_b64 v[5:6], 1, v[5:6]
	v_mov_b32_e32 v0, s13
	v_add_co_u32_e64 v5, s[0:1], s12, v5
	v_addc_co_u32_e64 v6, s[0:1], v0, v6, s[0:1]
	s_lshr_b32 s0, s25, 5
	s_mul_i32 s0, s0, s16
	s_mul_i32 s6, s0, 3
	s_ashr_i32 s7, s6, 31
	s_bitcmp1_b32 s19, 0
	s_cselect_b64 s[0:1], -1, 0
	s_xor_b64 s[0:1], s[0:1], -1
	v_cndmask_b32_e64 v0, 0, 1, s[0:1]
	buffer_store_dword v0, off, s[40:43], 0 offset:84 ; 4-byte Folded Spill
	v_bfe_u32 v0, v3, 9, 3
	buffer_store_dword v0, off, s[40:43], 0 offset:68 ; 4-byte Folded Spill
	v_bfe_u32 v0, v3, 6, 3
	;; [unrolled: 2-line block ×3, first 2 shown]
	buffer_store_dword v0, off, s[40:43], 0 offset:76 ; 4-byte Folded Spill
	v_and_b32_e32 v0, 7, v3
	buffer_store_dword v0, off, s[40:43], 0 offset:80 ; 4-byte Folded Spill
	v_lshrrev_b32_e32 v0, 27, v4
	v_add_u32_e32 v0, v1, v0
	v_ashrrev_i32_e32 v0, 5, v0
	global_load_dwordx2 v[50:51], v[5:6], off
	s_nop 0
	buffer_store_dword v0, off, s[40:43], 0 offset:96 ; 4-byte Folded Spill
	s_nop 0
	buffer_store_dword v1, off, s[40:43], 0 offset:100 ; 4-byte Folded Spill
	v_not_b32_e32 v0, 63
	v_mad_u32_u24 v0, v2, 3, v0
	buffer_store_dword v0, off, s[40:43], 0 offset:112 ; 4-byte Folded Spill
	v_not_b32_e32 v0, 31
	v_mad_u32_u24 v0, v2, 3, v0
	buffer_store_dword v0, off, s[40:43], 0 offset:108 ; 4-byte Folded Spill
	v_mov_b32_e32 v0, v7
	v_ashrrev_i32_e32 v8, 31, v7
	s_ashr_i32 s17, s16, 31
	s_lshl_b64 s[6:7], s[6:7], 2
	s_add_u32 s6, s8, s6
	s_addc_u32 s7, s9, s7
	v_cmp_ne_u32_e64 s[0:1], 8, v2
	v_mov_b32_e32 v2, s7
	s_lshl_b64 s[8:9], s[16:17], 2
	v_mov_b32_e32 v5, 0
	s_mov_b32 s17, 0x2010007
	buffer_store_dword v0, off, s[40:43], 0 offset:88 ; 4-byte Folded Spill
	s_nop 0
	buffer_store_dword v1, off, s[40:43], 0 offset:92 ; 4-byte Folded Spill
	v_lshlrev_b64 v[0:1], 2, v[7:8]
	v_add_co_u32_e64 v7, s[6:7], s6, v0
	v_addc_co_u32_e64 v8, s[6:7], v2, v1, s[6:7]
	s_branch .LBB20_27
.LBB20_25:                              ;   in Loop: Header=BB20_27 Depth=1
	s_or_b64 exec, exec, s[6:7]
	buffer_load_dword v0, off, s[40:43], 0 offset:88 ; 4-byte Folded Reload
	buffer_load_dword v1, off, s[40:43], 0 offset:92 ; 4-byte Folded Reload
	s_waitcnt vmcnt(2)
	v_mov_b32_e32 v3, s13
	s_add_i32 s30, s30, s27
	s_waitcnt vmcnt(1)
	v_add_u32_e32 v0, s39, v0
	s_waitcnt vmcnt(0)
	v_ashrrev_i32_e32 v1, 31, v0
	v_lshlrev_b64 v[0:1], 1, v[0:1]
	v_add_co_u32_e64 v0, s[6:7], s12, v0
	v_addc_co_u32_e64 v1, s[6:7], v3, v1, s[6:7]
	global_load_dwordx2 v[50:51], v[0:1], off
	v_and_b32_e32 v0, 7, v2
	buffer_store_dword v0, off, s[40:43], 0 offset:80 ; 4-byte Folded Spill
	v_bfe_u32 v0, v2, 3, 3
	buffer_store_dword v0, off, s[40:43], 0 offset:76 ; 4-byte Folded Spill
	v_bfe_u32 v0, v2, 6, 3
	;; [unrolled: 2-line block ×3, first 2 shown]
	buffer_store_dword v0, off, s[40:43], 0 offset:68 ; 4-byte Folded Spill
.LBB20_26:                              ;   in Loop: Header=BB20_27 Depth=1
	global_load_dwordx4 v[0:3], v[7:8], off
	v_mov_b32_e32 v4, s9
	v_add_co_u32_e64 v9, s[6:7], s8, v7
	v_addc_co_u32_e64 v10, s[6:7], v8, v4, s[6:7]
	global_load_dwordx4 v[22:25], v[9:10], off
	v_add_co_u32_e64 v9, s[6:7], s8, v9
	v_addc_co_u32_e64 v10, s[6:7], v10, v4, s[6:7]
	global_load_dwordx4 v[26:29], v[9:10], off
	s_add_i32 s25, s25, 32
	v_add_co_u32_e64 v7, s[6:7], s33, v7
	s_waitcnt vmcnt(2)
	v_and_b32_e32 v9, 0x70007, v0
	v_and_b32_e32 v15, 0x380038, v0
	v_lshrrev_b32_e32 v6, 6, v0
	v_lshrrev_b32_e32 v0, 15, v0
	buffer_store_dword v0, off, s[40:43], 0 offset:12 ; 4-byte Folded Spill
	v_lshrrev_b32_e32 v0, 15, v1
	buffer_store_dword v0, off, s[40:43], 0 offset:8 ; 4-byte Folded Spill
	v_lshrrev_b32_e32 v0, 15, v2
	v_and_b32_e32 v33, 0x70007, v2
	v_and_b32_e32 v35, 0x380038, v2
	v_lshrrev_b32_e32 v17, 6, v2
	buffer_store_dword v0, off, s[40:43], 0 offset:4 ; 4-byte Folded Spill
	v_and_b32_e32 v2, 0x70007, v3
	v_and_b32_e32 v37, 0x380038, v3
	v_lshrrev_b32_e32 v16, 6, v3
	v_lshrrev_b32_e32 v0, 15, v3
	s_waitcnt vmcnt(4)
	v_lshrrev_b32_e32 v3, 14, v25
	buffer_store_dword v3, off, s[40:43], 0 offset:24 ; 4-byte Folded Spill
	s_waitcnt vmcnt(4)
	v_and_b32_e32 v3, 0x380038, v26
	buffer_store_dword v3, off, s[40:43], 0 offset:48 ; 4-byte Folded Spill
	v_lshrrev_b32_e32 v3, 13, v26
	buffer_store_dword v3, off, s[40:43], 0 offset:44 ; 4-byte Folded Spill
	v_and_b32_e32 v3, 0x70007, v27
	buffer_store_dword v3, off, s[40:43], 0 offset:52 ; 4-byte Folded Spill
	v_and_b32_e32 v3, 0x380038, v27
	buffer_store_dword v3, off, s[40:43], 0 offset:56 ; 4-byte Folded Spill
	v_lshrrev_b32_e32 v3, 13, v27
	buffer_store_dword v3, off, s[40:43], 0 offset:36 ; 4-byte Folded Spill
	v_and_b32_e32 v3, 0x70007, v28
	buffer_store_dword v3, off, s[40:43], 0 offset:60 ; 4-byte Folded Spill
	v_and_b32_e32 v3, 0x380038, v28
	buffer_store_dword v0, off, s[40:43], 0 ; 4-byte Folded Spill
	v_lshrrev_b32_e32 v0, 14, v22
	buffer_store_dword v3, off, s[40:43], 0 offset:64 ; 4-byte Folded Spill
	v_lshrrev_b32_e32 v3, 13, v28
	v_and_b32_e32 v18, 0x70007, v1
	v_and_b32_e32 v30, 0x380038, v1
	v_lshrrev_b32_e32 v11, 6, v1
	buffer_store_dword v0, off, s[40:43], 0 offset:28 ; 4-byte Folded Spill
	v_lshrrev_b32_e32 v0, 14, v23
	v_lshrrev_b32_e32 v1, 14, v24
	buffer_store_dword v3, off, s[40:43], 0 offset:32 ; 4-byte Folded Spill
	v_lshrrev_b32_e32 v3, 13, v29
	buffer_store_dword v0, off, s[40:43], 0 offset:20 ; 4-byte Folded Spill
	buffer_store_dword v1, off, s[40:43], 0 offset:16 ; 4-byte Folded Spill
	;; [unrolled: 1-line block ×3, first 2 shown]
	v_and_b32_e32 v4, 0x70007, v25
	v_and_b32_e32 v1, 0x380038, v25
	v_lshrrev_b32_e32 v55, 6, v25
	buffer_load_dword v25, off, s[40:43], 0 offset:84 ; 4-byte Folded Reload
	buffer_load_dword v3, off, s[40:43], 0 offset:80 ; 4-byte Folded Reload
	v_and_b32_e32 v10, 0x70007, v26
	v_lshrrev_b32_e32 v36, 6, v26
	v_mov_b32_e32 v26, 0xe400e400
	v_and_b32_e32 v21, 0x70007, v22
	v_and_b32_e32 v63, 0x380038, v22
	v_lshrrev_b32_e32 v57, 6, v22
	v_and_b32_e32 v20, 0x70007, v23
	v_and_b32_e32 v62, 0x380038, v23
	v_lshrrev_b32_e32 v56, 6, v23
	v_and_b32_e32 v19, 0x70007, v24
	v_and_b32_e32 v0, 0x380038, v24
	v_lshrrev_b32_e32 v54, 6, v24
	v_or_b32_e32 v15, 0x64006400, v15
	v_or_b32_e32 v2, 0x64006400, v2
	v_and_b32_e32 v52, 0x70007, v29
	v_and_b32_e32 v53, 0x380038, v29
	v_lshrrev_b32_e32 v31, 6, v29
	v_lshrrev_b32_e32 v34, 6, v27
	;; [unrolled: 1-line block ×3, first 2 shown]
	v_or_b32_e32 v9, 0x64006400, v9
	v_and_b32_e32 v38, 0x380038, v16
	v_or_b32_e32 v46, 0x64006400, v38
	v_or_b32_e32 v4, 0x64006400, v4
	;; [unrolled: 1-line block ×3, first 2 shown]
	s_waitcnt vmcnt(0)
	v_add_u32_e32 v3, v3, v25
	v_cvt_f32_u32_e32 v22, v3
	v_mad_u32_u24 v42, v3, s34, v26
	buffer_load_dword v3, off, s[40:43], 0 offset:76 ; 4-byte Folded Reload
	v_pk_add_f16 v9, v42, v9
	v_cvt_f16_f32_e32 v61, v22
	s_waitcnt vmcnt(0)
	v_add_u32_e32 v3, v3, v25
	v_cvt_f32_u32_e32 v23, v3
	v_mad_u32_u24 v41, v3, s34, v26
	buffer_load_dword v3, off, s[40:43], 0 offset:72 ; 4-byte Folded Reload
	v_cvt_f16_f32_e32 v60, v23
	s_waitcnt vmcnt(0)
	v_add_u32_e32 v3, v3, v25
	v_cvt_f32_u32_e32 v24, v3
	v_mad_u32_u24 v40, v3, s34, v26
	buffer_load_dword v3, off, s[40:43], 0 offset:68 ; 4-byte Folded Reload
	v_cvt_f16_f32_e32 v59, v24
	s_waitcnt vmcnt(0)
	v_add_u32_e32 v3, v3, v25
	v_cvt_f32_u32_e32 v25, v3
	v_mad_u32_u24 v39, v3, s34, v26
	v_sub_f16_e32 v3, 0xd800, v61
	v_mul_u32_u24_e32 v45, 0x10001, v3
	v_sub_f16_e32 v3, 0xd800, v60
	v_cvt_f16_f32_e32 v58, v25
	v_mul_u32_u24_e32 v44, 0x10001, v3
	v_pk_fma_f16 v25, v15, s36, v45 op_sel_hi:[1,0,1]
	v_or_b32_e32 v15, 0x64006400, v18
	v_or_b32_e32 v18, 0x64006400, v30
	v_pk_fma_f16 v29, v18, s36, v44 op_sel_hi:[1,0,1]
	v_or_b32_e32 v18, 0x64006400, v35
	v_pk_add_f16 v35, v39, v2
	v_mov_b32_e32 v2, s29
	ds_read2_b32 v[23:24], v2 offset1:1
	ds_read2_b32 v[27:28], v2 offset0:64 offset1:65
	v_sub_f16_e32 v3, 0xd800, v59
	v_mul_u32_u24_e32 v43, 0x10001, v3
	v_sub_f16_e32 v3, 0xd800, v58
	v_pk_add_f16 v26, v41, v15
	v_or_b32_e32 v15, 0x64006400, v33
	v_mul_u32_u24_e32 v3, 0x10001, v3
	v_pk_add_f16 v30, v40, v15
	v_or_b32_e32 v15, 0x64006400, v37
	v_pk_fma_f16 v37, v15, s36, v3 op_sel_hi:[1,0,1]
	s_waitcnt lgkmcnt(1)
	v_pk_fma_f16 v15, v9, v23, 0
	v_pk_fma_f16 v22, v25, v24, v15
	;; [unrolled: 1-line block ×3, first 2 shown]
	v_pk_fma_f16 v33, v18, s36, v43 op_sel_hi:[1,0,1]
	v_pk_fma_f16 v18, v29, v24, v15
	v_pk_fma_f16 v15, v30, v23, 0
	v_pk_fma_f16 v23, v35, v23, 0
	s_waitcnt lgkmcnt(0)
	v_pk_fma_f16 v9, v9, v27, 0
	v_pk_fma_f16 v15, v33, v24, v15
	;; [unrolled: 1-line block ×10, first 2 shown]
	v_and_b32_e32 v9, 0x70007, v6
	v_or_b32_e32 v9, 0x64006400, v9
	v_and_b32_e32 v28, 0x380038, v6
	v_or_b32_e32 v29, 0x64006400, v28
	v_pk_add_f16 v28, v42, v9
	v_and_b32_e32 v9, 0x70007, v11
	v_or_b32_e32 v9, 0x64006400, v9
	v_and_b32_e32 v30, 0x380038, v11
	v_or_b32_e32 v33, 0x64006400, v30
	v_pk_add_f16 v30, v41, v9
	;; [unrolled: 5-line block ×3, first 2 shown]
	v_and_b32_e32 v9, 0x70007, v16
	v_or_b32_e32 v9, 0x64006400, v9
	v_pk_add_f16 v38, v39, v9
	v_pk_fma_f16 v9, v46, s36, v3 op_sel_hi:[1,0,1]
	ds_read2_b32 v[46:47], v2 offset0:2 offset1:3
	v_pk_fma_f16 v29, v29, s36, v45 op_sel_hi:[1,0,1]
	v_pk_fma_f16 v37, v37, s36, v43 op_sel_hi:[1,0,1]
	;; [unrolled: 1-line block ×3, first 2 shown]
	v_and_b32_e32 v6, 0x1c001c0, v6
	s_waitcnt lgkmcnt(0)
	v_pk_fma_f16 v22, v28, v46, v22
	v_pk_fma_f16 v15, v35, v46, v15
	;; [unrolled: 1-line block ×5, first 2 shown]
	ds_read2_b32 v[22:23], v2 offset0:66 offset1:67
	v_pk_fma_f16 v18, v30, v46, v18
	v_pk_fma_f16 v46, v9, v47, v15
	v_or_b32_e32 v6, 0x64006400, v6
	v_and_b32_e32 v11, 0x1c001c0, v11
	s_waitcnt lgkmcnt(0)
	v_pk_fma_f16 v15, v28, v22, v24
	v_pk_fma_f16 v24, v29, v23, v15
	;; [unrolled: 1-line block ×8, first 2 shown]
	v_sub_f16_e32 v15, 0xcc00, v61
	v_mul_u32_u24_e32 v61, 0x10001, v15
	v_sub_f16_e32 v15, 0xcc00, v60
	v_mul_u32_u24_e32 v60, 0x10001, v15
	;; [unrolled: 2-line block ×4, first 2 shown]
	v_or_b32_e32 v15, 0x64006400, v21
	v_pk_add_f16 v21, v42, v15
	v_or_b32_e32 v15, 0x64006400, v20
	v_pk_add_f16 v20, v41, v15
	v_and_b32_e32 v15, 0x1c001c0, v17
	v_or_b32_e32 v15, 0x64006400, v15
	v_or_b32_e32 v17, 0x64006400, v19
	v_pk_fma_f16 v19, v15, s37, v59 op_sel_hi:[1,0,1]
	v_and_b32_e32 v15, 0x1c001c0, v16
	v_or_b32_e32 v15, 0x64006400, v15
	v_pk_fma_f16 v22, v15, s37, v58 op_sel_hi:[1,0,1]
	ds_read2_b32 v[15:16], v2 offset0:4 offset1:5
	v_pk_fma_f16 v6, v6, s37, v61 op_sel_hi:[1,0,1]
	v_or_b32_e32 v11, 0x64006400, v11
	v_pk_fma_f16 v18, v33, v47, v18
	v_pk_fma_f16 v11, v11, s37, v60 op_sel_hi:[1,0,1]
	v_pk_add_f16 v23, v39, v4
	s_waitcnt lgkmcnt(0)
	v_pk_fma_f16 v4, v6, v15, v48
	v_pk_fma_f16 v27, v21, v16, v4
	;; [unrolled: 1-line block ×3, first 2 shown]
	v_pk_add_f16 v17, v40, v17
	v_pk_fma_f16 v28, v20, v16, v4
	v_pk_fma_f16 v4, v19, v15, v49
	;; [unrolled: 1-line block ×5, first 2 shown]
	ds_read2_b32 v[15:16], v2 offset0:68 offset1:69
	v_and_b32_e32 v18, 0x70007, v56
	s_add_i32 s29, s29, 64
	s_cmp_ge_i32 s25, s26
	s_waitcnt lgkmcnt(0)
	v_pk_fma_f16 v4, v6, v15, v24
	v_pk_fma_f16 v6, v11, v15, v25
	;; [unrolled: 1-line block ×3, first 2 shown]
	v_pk_fma_f16 v20, v0, s36, v43 op_sel_hi:[1,0,1]
	v_or_b32_e32 v0, 0x64006400, v1
	v_and_b32_e32 v1, 0x70007, v55
	v_pk_fma_f16 v11, v19, v15, v26
	v_pk_fma_f16 v9, v22, v15, v9
	v_or_b32_e32 v1, 0x64006400, v1
	v_pk_fma_f16 v4, v21, v16, v4
	v_pk_fma_f16 v11, v17, v16, v11
	;; [unrolled: 1-line block ×3, first 2 shown]
	v_pk_fma_f16 v22, v0, s36, v3 op_sel_hi:[1,0,1]
	v_pk_add_f16 v23, v39, v1
	ds_read2_b32 v[0:1], v2 offset0:6 offset1:7
	v_or_b32_e32 v9, 0x64006400, v63
	v_and_b32_e32 v15, 0x70007, v57
	v_or_b32_e32 v17, 0x64006400, v15
	v_pk_fma_f16 v15, v9, s36, v45 op_sel_hi:[1,0,1]
	v_or_b32_e32 v9, 0x64006400, v62
	v_or_b32_e32 v19, 0x64006400, v18
	v_pk_fma_f16 v18, v9, s36, v44 op_sel_hi:[1,0,1]
	v_and_b32_e32 v9, 0x70007, v54
	v_or_b32_e32 v9, 0x64006400, v9
	v_pk_add_f16 v17, v42, v17
	v_pk_add_f16 v19, v41, v19
	;; [unrolled: 1-line block ×3, first 2 shown]
	s_waitcnt lgkmcnt(0)
	v_pk_fma_f16 v9, v15, v0, v27
	v_pk_fma_f16 v24, v18, v0, v28
	;; [unrolled: 1-line block ×8, first 2 shown]
	ds_read2_b32 v[0:1], v2 offset0:70 offset1:71
	s_waitcnt lgkmcnt(0)
	v_pk_fma_f16 v4, v15, v0, v4
	v_pk_fma_f16 v6, v18, v0, v6
	;; [unrolled: 1-line block ×8, first 2 shown]
	v_and_b32_e32 v0, 0x380038, v57
	v_and_b32_e32 v1, 0x1c001c0, v57
	v_or_b32_e32 v0, 0x64006400, v0
	v_or_b32_e32 v1, 0x64006400, v1
	v_pk_fma_f16 v16, v0, s36, v45 op_sel_hi:[1,0,1]
	v_pk_fma_f16 v17, v1, s37, v61 op_sel_hi:[1,0,1]
	v_and_b32_e32 v0, 0x380038, v56
	v_and_b32_e32 v1, 0x1c001c0, v56
	v_or_b32_e32 v0, 0x64006400, v0
	v_or_b32_e32 v1, 0x64006400, v1
	v_pk_fma_f16 v18, v0, s36, v44 op_sel_hi:[1,0,1]
	v_pk_fma_f16 v19, v1, s37, v60 op_sel_hi:[1,0,1]
	;; [unrolled: 6-line block ×4, first 2 shown]
	ds_read2_b32 v[0:1], v2 offset0:8 offset1:9
	s_waitcnt lgkmcnt(0)
	v_pk_fma_f16 v9, v16, v0, v9
	v_pk_fma_f16 v24, v18, v0, v24
	;; [unrolled: 1-line block ×8, first 2 shown]
	ds_read2_b32 v[0:1], v2 offset0:72 offset1:73
	s_waitcnt lgkmcnt(0)
	v_pk_fma_f16 v4, v16, v0, v4
	v_pk_fma_f16 v6, v18, v0, v6
	;; [unrolled: 1-line block ×8, first 2 shown]
	buffer_load_dword v1, off, s[40:43], 0 offset:48 ; 4-byte Folded Reload
	v_or_b32_e32 v0, 0x64006400, v10
	v_pk_add_f16 v10, v42, v0
	buffer_load_dword v0, off, s[40:43], 0 offset:52 ; 4-byte Folded Reload
	s_waitcnt vmcnt(1)
	v_or_b32_e32 v1, 0x64006400, v1
	v_pk_fma_f16 v16, v1, s36, v45 op_sel_hi:[1,0,1]
	buffer_load_dword v1, off, s[40:43], 0 offset:56 ; 4-byte Folded Reload
	s_waitcnt vmcnt(1)
	v_or_b32_e32 v0, 0x64006400, v0
	v_pk_add_f16 v17, v41, v0
	buffer_load_dword v0, off, s[40:43], 0 offset:60 ; 4-byte Folded Reload
	s_waitcnt vmcnt(1)
	v_or_b32_e32 v1, 0x64006400, v1
	v_pk_fma_f16 v18, v1, s36, v44 op_sel_hi:[1,0,1]
	buffer_load_dword v1, off, s[40:43], 0 offset:64 ; 4-byte Folded Reload
	s_waitcnt vmcnt(1)
	v_or_b32_e32 v0, 0x64006400, v0
	v_pk_add_f16 v19, v40, v0
	v_or_b32_e32 v0, 0x64006400, v52
	v_pk_add_f16 v21, v39, v0
	s_waitcnt vmcnt(0)
	v_or_b32_e32 v1, 0x64006400, v1
	v_pk_fma_f16 v20, v1, s36, v43 op_sel_hi:[1,0,1]
	v_or_b32_e32 v1, 0x64006400, v53
	v_pk_fma_f16 v22, v1, s36, v3 op_sel_hi:[1,0,1]
	ds_read2_b32 v[0:1], v2 offset0:10 offset1:11
	s_waitcnt lgkmcnt(0)
	v_pk_fma_f16 v9, v10, v0, v9
	v_pk_fma_f16 v23, v17, v0, v24
	;; [unrolled: 1-line block ×8, first 2 shown]
	ds_read2_b32 v[0:1], v2 offset0:74 offset1:75
	s_waitcnt lgkmcnt(0)
	v_pk_fma_f16 v4, v10, v0, v4
	v_pk_fma_f16 v16, v16, v1, v4
	;; [unrolled: 1-line block ×7, first 2 shown]
	v_and_b32_e32 v0, 0x380038, v36
	v_or_b32_e32 v0, 0x64006400, v0
	v_pk_fma_f16 v15, v0, s36, v45 op_sel_hi:[1,0,1]
	v_and_b32_e32 v0, 0x380038, v34
	v_or_b32_e32 v0, 0x64006400, v0
	v_pk_fma_f16 v22, v0, s36, v44 op_sel_hi:[1,0,1]
	;; [unrolled: 3-line block ×3, first 2 shown]
	v_and_b32_e32 v0, 0x380038, v31
	v_or_b32_e32 v0, 0x64006400, v0
	v_pk_fma_f16 v20, v20, v1, v4
	v_pk_fma_f16 v4, v0, s36, v3 op_sel_hi:[1,0,1]
	v_and_b32_e32 v0, 0x70007, v36
	v_or_b32_e32 v0, 0x64006400, v0
	v_pk_add_f16 v3, v42, v0
	v_and_b32_e32 v0, 0x70007, v34
	v_or_b32_e32 v0, 0x64006400, v0
	v_pk_add_f16 v27, v41, v0
	;; [unrolled: 3-line block ×4, first 2 shown]
	ds_read2_b32 v[0:1], v2 offset0:12 offset1:13
	ds_read2_b32 v[18:19], v2 offset0:76 offset1:77
	s_waitcnt lgkmcnt(1)
	v_pk_fma_f16 v6, v3, v0, v9
	v_pk_fma_f16 v9, v27, v0, v23
	;; [unrolled: 1-line block ×5, first 2 shown]
	s_waitcnt lgkmcnt(0)
	v_pk_fma_f16 v0, v3, v18, v16
	v_pk_fma_f16 v6, v15, v1, v6
	;; [unrolled: 1-line block ×10, first 2 shown]
	buffer_load_dword v18, off, s[40:43], 0 offset:28 ; 4-byte Folded Reload
	buffer_load_dword v19, off, s[40:43], 0 offset:12 ; 4-byte Folded Reload
	;; [unrolled: 1-line block ×7, first 2 shown]
	buffer_load_dword v25, off, s[40:43], 0 ; 4-byte Folded Reload
	v_pk_fma_f16 v10, v26, v1, v10
	ds_read2_b32 v[0:1], v2 offset0:14 offset1:15
	ds_read2_b32 v[2:3], v2 offset0:78 offset1:79
	s_waitcnt vmcnt(7)
	v_and_b32_e32 v18, 0x20002, v18
	s_waitcnt vmcnt(6)
	v_and_or_b32 v18, v19, s34, v18
	s_waitcnt vmcnt(5)
	v_and_b32_e32 v20, 0x20002, v20
	s_waitcnt vmcnt(4)
	v_and_b32_e32 v24, 0x20002, v24
	;; [unrolled: 2-line block ×3, first 2 shown]
	buffer_load_dword v19, off, s[40:43], 0 offset:44 ; 4-byte Folded Reload
	s_waitcnt vmcnt(3)
	v_and_or_b32 v20, v21, s34, v20
	buffer_load_dword v21, off, s[40:43], 0 offset:36 ; 4-byte Folded Reload
	s_waitcnt vmcnt(3)
	v_and_or_b32 v22, v23, s34, v22
	s_waitcnt vmcnt(2)
	v_and_or_b32 v24, v25, s34, v24
	buffer_load_dword v25, off, s[40:43], 0 offset:40 ; 4-byte Folded Reload
	buffer_load_dword v23, off, s[40:43], 0 offset:32 ; 4-byte Folded Reload
	s_waitcnt vmcnt(3)
	v_and_b32_e32 v19, 0x40004, v19
	v_or3_b32 v18, v18, v19, s35
	s_waitcnt vmcnt(2)
	v_and_b32_e32 v21, 0x40004, v21
	v_and_b32_e32 v19, 0x1c001c0, v36
	v_or3_b32 v20, v20, v21, s35
	s_waitcnt vmcnt(1)
	v_and_b32_e32 v25, 0x40004, v25
	s_waitcnt vmcnt(0)
	v_and_b32_e32 v23, 0x40004, v23
	v_and_b32_e32 v21, 0x1c001c0, v34
	v_or3_b32 v22, v22, v23, s35
	v_and_b32_e32 v23, 0x1c001c0, v32
	v_or3_b32 v24, v24, v25, s35
	v_and_b32_e32 v25, 0x1c001c0, v31
	v_or_b32_e32 v19, 0x64006400, v19
	v_or_b32_e32 v21, 0x64006400, v21
	;; [unrolled: 1-line block ×4, first 2 shown]
	v_pk_fma_f16 v19, v19, s37, v61 op_sel_hi:[1,0,1]
	v_pk_fma_f16 v21, v21, s37, v60 op_sel_hi:[1,0,1]
	;; [unrolled: 1-line block ×4, first 2 shown]
	v_pk_add_f16 v18, v42, v18
	v_pk_add_f16 v20, v41, v20
	;; [unrolled: 1-line block ×4, first 2 shown]
	s_waitcnt lgkmcnt(1)
	v_pk_fma_f16 v6, v19, v0, v6
	v_pk_fma_f16 v9, v21, v0, v9
	;; [unrolled: 1-line block ×8, first 2 shown]
	s_waitcnt lgkmcnt(0)
	v_pk_fma_f16 v1, v19, v2, v15
	v_pk_fma_f16 v11, v21, v2, v16
	;; [unrolled: 1-line block ×8, first 2 shown]
	v_pack_b32_f16 v3, v6, v9
	v_perm_b32 v4, v9, v6, s38
	v_pk_add_f16 v3, v3, v4
	v_pk_fma_f16 v14, v3, v50, v14
	v_pack_b32_f16 v3, v1, v11
	v_perm_b32 v1, v11, v1, s38
	v_pk_add_f16 v1, v3, v1
	v_pk_fma_f16 v12, v1, v50, v12
	;; [unrolled: 4-line block ×4, first 2 shown]
	v_mov_b32_e32 v0, s31
	v_addc_co_u32_e64 v8, s[6:7], v8, v0, s[6:7]
	s_cbranch_scc1 .LBB20_44
.LBB20_27:                              ; =>This Inner Loop Header: Depth=1
	s_cmp_lg_u32 s25, s30
	s_cbranch_scc1 .LBB20_26
; %bb.28:                               ;   in Loop: Header=BB20_27 Depth=1
	buffer_load_dword v0, off, s[40:43], 0 offset:96 ; 4-byte Folded Reload
	buffer_load_dword v1, off, s[40:43], 0 offset:100 ; 4-byte Folded Reload
	s_add_i32 s28, s28, 1
	s_mul_i32 s39, s28, s16
	s_ashr_i32 s6, s39, 31
	s_lshr_b32 s6, s6, 27
	s_add_i32 s6, s39, s6
	s_ashr_i32 s6, s6, 5
	v_mov_b32_e32 v2, s11
	s_waitcnt vmcnt(0)
	v_mad_u64_u32 v[0:1], s[6:7], s6, 3, v[0:1]
	v_ashrrev_i32_e32 v1, 31, v0
	v_lshlrev_b64 v[0:1], 2, v[0:1]
	v_add_co_u32_e64 v0, s[6:7], s10, v0
	v_addc_co_u32_e64 v1, s[6:7], v2, v1, s[6:7]
	global_load_dword v3, v[0:1], off
                                        ; implicit-def: $vgpr2
	s_and_saveexec_b64 s[6:7], vcc
	s_xor_b64 s[6:7], exec, s[6:7]
	s_cbranch_execz .LBB20_42
; %bb.29:                               ;   in Loop: Header=BB20_27 Depth=1
                                        ; implicit-def: $vgpr2
	s_and_saveexec_b64 s[18:19], s[0:1]
	s_xor_b64 s[18:19], exec, s[18:19]
	s_cbranch_execz .LBB20_39
; %bb.30:                               ;   in Loop: Header=BB20_27 Depth=1
                                        ; implicit-def: $vgpr2
	s_and_saveexec_b64 s[20:21], s[2:3]
	;; [unrolled: 5-line block ×3, first 2 shown]
	s_xor_b64 s[22:23], exec, s[22:23]
	s_cbranch_execz .LBB20_33
; %bb.32:                               ;   in Loop: Header=BB20_27 Depth=1
	buffer_load_dword v0, off, s[40:43], 0 offset:112 ; 4-byte Folded Reload
	s_waitcnt vmcnt(0)
	v_lshrrev_b32_e32 v2, v0, v3
                                        ; implicit-def: $vgpr0_vgpr1
                                        ; implicit-def: $vgpr3
.LBB20_33:                              ;   in Loop: Header=BB20_27 Depth=1
	s_andn2_saveexec_b64 s[22:23], s[22:23]
	s_cbranch_execz .LBB20_35
; %bb.34:                               ;   in Loop: Header=BB20_27 Depth=1
	global_load_dword v0, v[0:1], off offset:4
	s_waitcnt vmcnt(0)
	v_alignbit_b32 v0, v0, v3, 28
	v_and_b32_e32 v2, 0xfff, v0
.LBB20_35:                              ;   in Loop: Header=BB20_27 Depth=1
	s_or_b64 exec, exec, s[22:23]
                                        ; implicit-def: $vgpr3
.LBB20_36:                              ;   in Loop: Header=BB20_27 Depth=1
	s_andn2_saveexec_b64 s[20:21], s[20:21]
	s_cbranch_execz .LBB20_38
; %bb.37:                               ;   in Loop: Header=BB20_27 Depth=1
	buffer_load_dword v0, off, s[40:43], 0 offset:108 ; 4-byte Folded Reload
	s_waitcnt vmcnt(0)
	v_lshrrev_b32_e32 v2, v0, v3
.LBB20_38:                              ;   in Loop: Header=BB20_27 Depth=1
	s_or_b64 exec, exec, s[20:21]
                                        ; implicit-def: $vgpr0_vgpr1
                                        ; implicit-def: $vgpr3
.LBB20_39:                              ;   in Loop: Header=BB20_27 Depth=1
	s_andn2_saveexec_b64 s[18:19], s[18:19]
	s_cbranch_execz .LBB20_41
; %bb.40:                               ;   in Loop: Header=BB20_27 Depth=1
	global_load_dword v0, v[0:1], off offset:4
	s_waitcnt vmcnt(0)
	v_perm_b32 v0, v3, v0, s17
	v_and_b32_e32 v2, 0xfff, v0
.LBB20_41:                              ;   in Loop: Header=BB20_27 Depth=1
	s_or_b64 exec, exec, s[18:19]
                                        ; implicit-def: $vgpr3
.LBB20_42:                              ;   in Loop: Header=BB20_27 Depth=1
	s_andn2_saveexec_b64 s[6:7], s[6:7]
	s_cbranch_execz .LBB20_25
; %bb.43:                               ;   in Loop: Header=BB20_27 Depth=1
	buffer_load_dword v0, off, s[40:43], 0 offset:104 ; 4-byte Folded Reload
	s_waitcnt vmcnt(0)
	v_lshrrev_b32_e32 v2, v0, v3
	s_branch .LBB20_25
.LBB20_44:
	buffer_load_dword v0, off, s[40:43], 0 offset:88 ; 4-byte Folded Reload
	buffer_load_dword v1, off, s[40:43], 0 offset:92 ; 4-byte Folded Reload
	s_mul_i32 s24, s24, s16
	v_mov_b32_e32 v3, s15
	s_mov_b64 s[0:1], 0
	s_waitcnt vmcnt(1)
	v_add_u32_e32 v0, s24, v0
	s_waitcnt vmcnt(0)
	v_ashrrev_i32_e32 v1, 31, v0
	v_lshlrev_b64 v[1:2], 1, v[0:1]
	v_add_co_u32_e32 v1, vcc, s14, v1
	v_addc_co_u32_e32 v2, vcc, v3, v2, vcc
	global_load_dword v4, v[1:2], off
.LBB20_45:                              ; =>This Inner Loop Header: Depth=1
	s_waitcnt vmcnt(0)
	v_pk_add_f16 v3, v14, v4
	global_atomic_cmpswap v3, v[1:2], v[3:4], off glc
	s_waitcnt vmcnt(0)
	v_cmp_eq_u32_e32 vcc, v4, v3
	s_or_b64 s[0:1], vcc, s[0:1]
	v_mov_b32_e32 v4, v3
	s_andn2_b64 exec, exec, s[0:1]
	s_cbranch_execnz .LBB20_45
; %bb.46:
	s_or_b64 exec, exec, s[0:1]
	global_load_dword v4, v[1:2], off offset:4
	s_mov_b64 s[0:1], 0
.LBB20_47:                              ; =>This Inner Loop Header: Depth=1
	s_waitcnt vmcnt(0)
	v_pk_add_f16 v3, v13, v4
	global_atomic_cmpswap v3, v[1:2], v[3:4], off offset:4 glc
	s_waitcnt vmcnt(0)
	v_cmp_eq_u32_e32 vcc, v4, v3
	s_or_b64 s[0:1], vcc, s[0:1]
	v_mov_b32_e32 v4, v3
	s_andn2_b64 exec, exec, s[0:1]
	s_cbranch_execnz .LBB20_47
; %bb.48:
	s_or_b64 exec, exec, s[0:1]
	v_add_u32_e32 v0, s16, v0
	v_ashrrev_i32_e32 v1, 31, v0
	v_lshlrev_b64 v[0:1], 1, v[0:1]
	v_mov_b32_e32 v2, s15
	v_add_co_u32_e32 v0, vcc, s14, v0
	v_addc_co_u32_e32 v1, vcc, v2, v1, vcc
	global_load_dword v3, v[0:1], off
	s_mov_b64 s[0:1], 0
.LBB20_49:                              ; =>This Inner Loop Header: Depth=1
	s_waitcnt vmcnt(0)
	v_pk_add_f16 v2, v12, v3
	global_atomic_cmpswap v2, v[0:1], v[2:3], off glc
	s_waitcnt vmcnt(0)
	v_cmp_eq_u32_e32 vcc, v3, v2
	s_or_b64 s[0:1], vcc, s[0:1]
	v_mov_b32_e32 v3, v2
	s_andn2_b64 exec, exec, s[0:1]
	s_cbranch_execnz .LBB20_49
; %bb.50:
	s_or_b64 exec, exec, s[0:1]
	global_load_dword v3, v[0:1], off offset:4
	s_mov_b64 s[0:1], 0
.LBB20_51:                              ; =>This Inner Loop Header: Depth=1
	s_waitcnt vmcnt(0)
	v_pk_add_f16 v2, v5, v3
	global_atomic_cmpswap v2, v[0:1], v[2:3], off offset:4 glc
	s_waitcnt vmcnt(0)
	v_cmp_eq_u32_e32 vcc, v3, v2
	s_or_b64 s[0:1], vcc, s[0:1]
	v_mov_b32_e32 v3, v2
	s_andn2_b64 exec, exec, s[0:1]
	s_cbranch_execnz .LBB20_51
.LBB20_52:
	s_endpgm
	.section	.rodata,"a",@progbits
	.p2align	6, 0x0
	.amdhsa_kernel _ZN4vllm4gptq33gemm_half_q_half_gptq_3bit_kernelILb1ELi2EEEvPK6__halfPKjS6_S4_PS2_iiiibPKi
		.amdhsa_group_segment_fixed_size 512
		.amdhsa_private_segment_fixed_size 120
		.amdhsa_kernarg_size 72
		.amdhsa_user_sgpr_count 6
		.amdhsa_user_sgpr_private_segment_buffer 1
		.amdhsa_user_sgpr_dispatch_ptr 0
		.amdhsa_user_sgpr_queue_ptr 0
		.amdhsa_user_sgpr_kernarg_segment_ptr 1
		.amdhsa_user_sgpr_dispatch_id 0
		.amdhsa_user_sgpr_flat_scratch_init 0
		.amdhsa_user_sgpr_private_segment_size 0
		.amdhsa_uses_dynamic_stack 0
		.amdhsa_system_sgpr_private_segment_wavefront_offset 1
		.amdhsa_system_sgpr_workgroup_id_x 1
		.amdhsa_system_sgpr_workgroup_id_y 1
		.amdhsa_system_sgpr_workgroup_id_z 1
		.amdhsa_system_sgpr_workgroup_info 0
		.amdhsa_system_vgpr_workitem_id 0
		.amdhsa_next_free_vgpr 64
		.amdhsa_next_free_sgpr 44
		.amdhsa_reserve_vcc 1
		.amdhsa_reserve_flat_scratch 0
		.amdhsa_float_round_mode_32 0
		.amdhsa_float_round_mode_16_64 0
		.amdhsa_float_denorm_mode_32 3
		.amdhsa_float_denorm_mode_16_64 3
		.amdhsa_dx10_clamp 1
		.amdhsa_ieee_mode 1
		.amdhsa_fp16_overflow 0
		.amdhsa_exception_fp_ieee_invalid_op 0
		.amdhsa_exception_fp_denorm_src 0
		.amdhsa_exception_fp_ieee_div_zero 0
		.amdhsa_exception_fp_ieee_overflow 0
		.amdhsa_exception_fp_ieee_underflow 0
		.amdhsa_exception_fp_ieee_inexact 0
		.amdhsa_exception_int_div_zero 0
	.end_amdhsa_kernel
	.section	.text._ZN4vllm4gptq33gemm_half_q_half_gptq_3bit_kernelILb1ELi2EEEvPK6__halfPKjS6_S4_PS2_iiiibPKi,"axG",@progbits,_ZN4vllm4gptq33gemm_half_q_half_gptq_3bit_kernelILb1ELi2EEEvPK6__halfPKjS6_S4_PS2_iiiibPKi,comdat
.Lfunc_end20:
	.size	_ZN4vllm4gptq33gemm_half_q_half_gptq_3bit_kernelILb1ELi2EEEvPK6__halfPKjS6_S4_PS2_iiiibPKi, .Lfunc_end20-_ZN4vllm4gptq33gemm_half_q_half_gptq_3bit_kernelILb1ELi2EEEvPK6__halfPKjS6_S4_PS2_iiiibPKi
                                        ; -- End function
	.set _ZN4vllm4gptq33gemm_half_q_half_gptq_3bit_kernelILb1ELi2EEEvPK6__halfPKjS6_S4_PS2_iiiibPKi.num_vgpr, 64
	.set _ZN4vllm4gptq33gemm_half_q_half_gptq_3bit_kernelILb1ELi2EEEvPK6__halfPKjS6_S4_PS2_iiiibPKi.num_agpr, 0
	.set _ZN4vllm4gptq33gemm_half_q_half_gptq_3bit_kernelILb1ELi2EEEvPK6__halfPKjS6_S4_PS2_iiiibPKi.numbered_sgpr, 44
	.set _ZN4vllm4gptq33gemm_half_q_half_gptq_3bit_kernelILb1ELi2EEEvPK6__halfPKjS6_S4_PS2_iiiibPKi.num_named_barrier, 0
	.set _ZN4vllm4gptq33gemm_half_q_half_gptq_3bit_kernelILb1ELi2EEEvPK6__halfPKjS6_S4_PS2_iiiibPKi.private_seg_size, 120
	.set _ZN4vllm4gptq33gemm_half_q_half_gptq_3bit_kernelILb1ELi2EEEvPK6__halfPKjS6_S4_PS2_iiiibPKi.uses_vcc, 1
	.set _ZN4vllm4gptq33gemm_half_q_half_gptq_3bit_kernelILb1ELi2EEEvPK6__halfPKjS6_S4_PS2_iiiibPKi.uses_flat_scratch, 0
	.set _ZN4vllm4gptq33gemm_half_q_half_gptq_3bit_kernelILb1ELi2EEEvPK6__halfPKjS6_S4_PS2_iiiibPKi.has_dyn_sized_stack, 0
	.set _ZN4vllm4gptq33gemm_half_q_half_gptq_3bit_kernelILb1ELi2EEEvPK6__halfPKjS6_S4_PS2_iiiibPKi.has_recursion, 0
	.set _ZN4vllm4gptq33gemm_half_q_half_gptq_3bit_kernelILb1ELi2EEEvPK6__halfPKjS6_S4_PS2_iiiibPKi.has_indirect_call, 0
	.section	.AMDGPU.csdata,"",@progbits
; Kernel info:
; codeLenInByte = 6284
; TotalNumSgprs: 48
; NumVgprs: 64
; ScratchSize: 120
; MemoryBound: 0
; FloatMode: 240
; IeeeMode: 1
; LDSByteSize: 512 bytes/workgroup (compile time only)
; SGPRBlocks: 5
; VGPRBlocks: 15
; NumSGPRsForWavesPerEU: 48
; NumVGPRsForWavesPerEU: 64
; Occupancy: 4
; WaveLimiterHint : 0
; COMPUTE_PGM_RSRC2:SCRATCH_EN: 1
; COMPUTE_PGM_RSRC2:USER_SGPR: 6
; COMPUTE_PGM_RSRC2:TRAP_HANDLER: 0
; COMPUTE_PGM_RSRC2:TGID_X_EN: 1
; COMPUTE_PGM_RSRC2:TGID_Y_EN: 1
; COMPUTE_PGM_RSRC2:TGID_Z_EN: 1
; COMPUTE_PGM_RSRC2:TIDIG_COMP_CNT: 0
	.section	.text._ZN4vllm4gptq33gemm_half_q_half_gptq_4bit_kernelILb1ELi2EEEvPK6__halfPKjS6_S4_PS2_iiiibPKi,"axG",@progbits,_ZN4vllm4gptq33gemm_half_q_half_gptq_4bit_kernelILb1ELi2EEEvPK6__halfPKjS6_S4_PS2_iiiibPKi,comdat
	.protected	_ZN4vllm4gptq33gemm_half_q_half_gptq_4bit_kernelILb1ELi2EEEvPK6__halfPKjS6_S4_PS2_iiiibPKi ; -- Begin function _ZN4vllm4gptq33gemm_half_q_half_gptq_4bit_kernelILb1ELi2EEEvPK6__halfPKjS6_S4_PS2_iiiibPKi
	.globl	_ZN4vllm4gptq33gemm_half_q_half_gptq_4bit_kernelILb1ELi2EEEvPK6__halfPKjS6_S4_PS2_iiiibPKi
	.p2align	8
	.type	_ZN4vllm4gptq33gemm_half_q_half_gptq_4bit_kernelILb1ELi2EEEvPK6__halfPKjS6_S4_PS2_iiiibPKi,@function
_ZN4vllm4gptq33gemm_half_q_half_gptq_4bit_kernelILb1ELi2EEEvPK6__halfPKjS6_S4_PS2_iiiibPKi: ; @_ZN4vllm4gptq33gemm_half_q_half_gptq_4bit_kernelILb1ELi2EEEvPK6__halfPKjS6_S4_PS2_iiiibPKi
; %bb.0:
	s_load_dwordx4 s[0:3], s[4:5], 0x2c
	s_lshl_b32 s22, s8, 7
	s_add_i32 s8, s22, 0x80
	v_cvt_f64_u32_e32 v[1:2], s8
	s_load_dwordx8 s[8:15], s[4:5], 0x8
	s_waitcnt lgkmcnt(0)
	v_cvt_f64_i32_e32 v[3:4], s1
	s_lshl_b32 s7, s7, 1
	v_min_f64 v[1:2], v[1:2], v[3:4]
	v_cvt_i32_f64_e32 v2, v[1:2]
	v_add_u32_e32 v1, s22, v0
	v_readfirstlane_b32 s23, v2
	v_cmp_lt_u32_e32 vcc, v1, v2
	s_and_saveexec_b64 s[16:17], vcc
	s_cbranch_execz .LBB21_6
; %bb.1:
	s_load_dwordx2 s[20:21], s[4:5], 0x40
	s_load_dwordx2 s[18:19], s[4:5], 0x0
	v_mov_b32_e32 v2, 0
	v_lshlrev_b64 v[3:4], 2, v[1:2]
	s_waitcnt lgkmcnt(0)
	v_mov_b32_e32 v5, s21
	v_add_co_u32_e32 v3, vcc, s20, v3
	s_cmp_lg_u64 s[20:21], 0
	v_addc_co_u32_e32 v4, vcc, v5, v4, vcc
	v_mov_b32_e32 v6, v2
	s_cselect_b64 s[4:5], -1, 0
	s_cmp_eq_u64 s[20:21], 0
	v_mov_b32_e32 v5, v1
	s_cbranch_scc1 .LBB21_3
; %bb.2:
	global_load_dword v5, v[3:4], off
	s_waitcnt vmcnt(0)
	v_ashrrev_i32_e32 v6, 31, v5
.LBB21_3:
	s_mul_i32 s20, s7, s1
	s_ashr_i32 s21, s20, 31
	s_lshl_b64 s[24:25], s[20:21], 1
	s_add_u32 s21, s18, s24
	v_lshlrev_b64 v[5:6], 1, v[5:6]
	s_addc_u32 s24, s19, s25
	v_mov_b32_e32 v7, s24
	v_add_co_u32_e32 v5, vcc, s21, v5
	v_addc_co_u32_e32 v6, vcc, v7, v6, vcc
	global_load_ushort v6, v[5:6], off
	v_lshlrev_b32_e32 v5, 1, v0
	s_andn2_b64 vcc, exec, s[4:5]
	s_waitcnt vmcnt(0)
	ds_write_b16 v5, v6
	s_cbranch_vccnz .LBB21_5
; %bb.4:
	global_load_dword v1, v[3:4], off
	s_waitcnt vmcnt(0)
	v_ashrrev_i32_e32 v2, 31, v1
.LBB21_5:
	s_add_i32 s4, s20, s1
	s_ashr_i32 s5, s4, 31
	s_lshl_b64 s[4:5], s[4:5], 1
	s_add_u32 s4, s18, s4
	v_lshlrev_b64 v[1:2], 1, v[1:2]
	s_addc_u32 s5, s19, s5
	v_mov_b32_e32 v3, s5
	v_add_co_u32_e32 v1, vcc, s4, v1
	v_addc_co_u32_e32 v2, vcc, v3, v2, vcc
	global_load_ushort v1, v[1:2], off
	s_waitcnt vmcnt(0)
	ds_write_b16 v5, v1 offset:256
.LBB21_6:
	s_or_b64 exec, exec, s[16:17]
	v_lshlrev_b32_e32 v1, 2, v0
	v_lshl_add_u32 v1, s6, 9, v1
	v_cmp_gt_i32_e32 vcc, s0, v1
	s_and_saveexec_b64 s[4:5], vcc
	s_cbranch_execz .LBB21_20
; %bb.7:
	s_abs_i32 s4, s2
	v_cvt_f32_u32_e32 v2, s4
	v_mov_b32_e32 v12, 0
	v_mov_b32_e32 v9, 0
	;; [unrolled: 1-line block ×3, first 2 shown]
	v_rcp_iflag_f32_e32 v2, v2
	v_mov_b32_e32 v11, 0
	v_mov_b32_e32 v13, 0
	s_cmp_ge_i32 s22, s23
	v_mul_f32_e32 v2, 0x4f7ffffe, v2
	v_cvt_u32_f32_e32 v2, v2
	v_mov_b32_e32 v14, 0
	v_mov_b32_e32 v16, 0
	;; [unrolled: 1-line block ×3, first 2 shown]
	v_readfirstlane_b32 s5, v2
	s_waitcnt lgkmcnt(0)
	s_barrier
	s_cbranch_scc1 .LBB21_12
; %bb.8:
	s_sub_i32 s16, 0, s4
	s_mul_i32 s16, s16, s5
	s_mul_hi_u32 s16, s5, s16
	s_ashr_i32 s6, s1, 31
	s_abs_i32 s1, s1
	s_add_i32 s5, s5, s16
	s_ashr_i32 s2, s2, 31
	s_mul_hi_u32 s5, s1, s5
	s_xor_b32 s2, s6, s2
	s_mul_i32 s6, s5, s4
	s_sub_i32 s1, s1, s6
	s_add_i32 s6, s5, 1
	s_sub_i32 s16, s1, s4
	s_cmp_ge_u32 s1, s4
	s_cselect_b32 s5, s6, s5
	s_cselect_b32 s1, s16, s1
	s_add_i32 s6, s5, 1
	s_cmp_ge_u32 s1, s4
	s_cselect_b32 s1, s6, s5
	s_xor_b32 s1, s1, s2
	s_sub_i32 s6, s1, s2
	v_cvt_f32_u32_e32 v3, s6
	s_bitcmp1_b32 s3, 0
	s_cselect_b64 s[2:3], -1, 0
	s_sub_i32 s1, 0, s6
	v_rcp_iflag_f32_e32 v3, v3
	s_xor_b64 s[2:3], s[2:3], -1
	v_ashrrev_i32_e32 v2, 31, v1
	v_lshrrev_b32_e32 v4, 29, v2
	v_mul_f32_e32 v3, 0x4f7ffffe, v3
	v_cvt_u32_f32_e32 v3, v3
	v_add_u32_e32 v4, v1, v4
	v_ashrrev_i32_e32 v8, 3, v4
	v_mov_b32_e32 v9, s13
	v_readfirstlane_b32 s4, v3
	s_mul_i32 s1, s1, s4
	s_mul_hi_u32 s1, s4, s1
	s_add_i32 s4, s4, s1
	s_mul_hi_u32 s1, s22, s4
	s_mul_i32 s4, s1, s6
	s_sub_i32 s4, s22, s4
	s_add_i32 s5, s1, 1
	s_sub_i32 s16, s4, s6
	s_cmp_ge_u32 s4, s6
	s_cselect_b32 s1, s5, s1
	s_cselect_b32 s4, s16, s4
	s_add_i32 s5, s1, 1
	s_cmp_ge_u32 s4, s6
	s_cselect_b32 s16, s5, s1
	s_mul_i32 s1, s16, s0
	s_ashr_i32 s4, s1, 31
	s_lshr_b32 s4, s4, 29
	s_add_i32 s4, s1, s4
	v_add_u32_e32 v5, s1, v1
	s_ashr_i32 s4, s4, 3
	v_ashrrev_i32_e32 v6, 31, v5
	v_add_u32_e32 v3, s4, v8
	v_lshlrev_b64 v[5:6], 1, v[5:6]
	v_ashrrev_i32_e32 v4, 31, v3
	v_lshlrev_b64 v[3:4], 2, v[3:4]
	v_add_co_u32_e32 v5, vcc, s12, v5
	v_addc_co_u32_e32 v6, vcc, v9, v6, vcc
	v_mov_b32_e32 v7, s11
	v_add_co_u32_e32 v3, vcc, s10, v3
	v_addc_co_u32_e32 v4, vcc, v7, v4, vcc
	global_load_dwordx2 v[5:6], v[5:6], off
	s_lshr_b32 s1, s22, 3
	global_load_dword v4, v[3:4], off
	v_cndmask_b32_e64 v18, 0, 1, s[2:3]
	s_mul_i32 s2, s0, s1
	s_ashr_i32 s3, s2, 31
	v_lshlrev_b32_e32 v7, 4, v0
	s_lshl_b64 s[2:3], s[2:3], 2
	v_and_b32_e32 v17, 16, v7
	v_lshlrev_b64 v[2:3], 2, v[1:2]
	s_add_u32 s20, s8, s2
	s_addc_u32 s2, s9, s3
	s_mov_b32 s18, 0x10001
	v_mov_b32_e32 v0, 0xe400e400
	v_mov_b32_e32 v12, s2
	v_add_co_u32_e32 v2, vcc, s20, v2
	v_addc_co_u32_e32 v3, vcc, v12, v3, vcc
	s_ashr_i32 s1, s0, 31
	s_mov_b32 s17, 0
	s_movk_i32 s19, 0x2c00
	v_mov_b32_e32 v15, 0
	v_mov_b32_e32 v16, 0
	;; [unrolled: 1-line block ×7, first 2 shown]
	s_add_i32 s8, s6, s22
	s_lshl_b64 s[2:3], s[0:1], 4
	s_lshl_b64 s[4:5], s[0:1], 2
	s_waitcnt vmcnt(1)
	v_cvt_f32_f16_e32 v19, v5
	v_cvt_f32_f16_sdwa v20, v5 dst_sel:DWORD dst_unused:UNUSED_PAD src0_sel:WORD_1
	s_waitcnt vmcnt(0)
	v_lshrrev_b32_e32 v5, v7, v4
	v_cvt_f32_f16_e32 v21, v6
	v_cvt_f32_f16_sdwa v22, v6 dst_sel:DWORD dst_unused:UNUSED_PAD src0_sel:WORD_1
	v_bfe_u32 v4, v4, v17, 4
	v_bfe_u32 v6, v5, 12, 4
	;; [unrolled: 1-line block ×4, first 2 shown]
	v_add_u32_e32 v4, v4, v18
	v_add_u32_e32 v6, v6, v18
	;; [unrolled: 1-line block ×4, first 2 shown]
	v_cvt_f32_ubyte0_e32 v12, v4
	v_mad_u32_u24 v23, v4, s18, v0
	v_cvt_f32_ubyte0_e32 v4, v6
	v_mad_u32_u24 v26, v6, s18, v0
	v_cvt_f32_ubyte0_e32 v6, v7
	v_mad_u32_u24 v24, v7, s18, v0
	v_cvt_f32_ubyte0_e32 v7, v5
	v_mad_u32_u24 v25, v5, s18, v0
	v_cvt_f16_f32_e32 v5, v12
	v_cvt_f16_f32_e32 v4, v4
	;; [unrolled: 1-line block ×4, first 2 shown]
	v_sub_f16_e32 v5, 0xd400, v5
	v_sub_f16_e32 v4, 0xd400, v4
	;; [unrolled: 1-line block ×4, first 2 shown]
	v_mul_u32_u24_e32 v27, 0x10001, v5
	v_mul_u32_u24_e32 v28, 0x10001, v4
	v_mul_u32_u24_e32 v29, 0x10001, v6
	v_mul_u32_u24_e32 v30, 0x10001, v7
	v_mov_b32_e32 v12, 0
	s_branch .LBB21_10
.LBB21_9:                               ;   in Loop: Header=BB21_10 Depth=1
	global_load_dwordx4 v[37:40], v[2:3], off
	s_add_i32 s22, s22, 32
	s_waitcnt vmcnt(0)
	v_lshrrev_b32_e32 v6, 8, v37
	v_and_b32_e32 v5, 0xf000f0, v37
	v_and_b32_e32 v7, 0xf000f, v6
	;; [unrolled: 1-line block ×4, first 2 shown]
	v_or_b32_e32 v5, 0x64006400, v5
	v_or_b32_e32 v32, 0x64006400, v6
	;; [unrolled: 1-line block ×4, first 2 shown]
	v_pk_fma_f16 v7, v5, s19, v27 op_sel_hi:[1,0,1]
	v_pk_fma_f16 v5, v32, s19, v27 op_sel_hi:[1,0,1]
	v_and_b32_e32 v32, 0xf000f0, v38
	v_pk_add_f16 v6, v23, v4
	v_pk_add_f16 v4, v23, v31
	v_and_b32_e32 v31, 0xf000f, v38
	v_or_b32_e32 v33, 0x64006400, v32
	v_lshrrev_b32_e32 v32, 8, v38
	v_or_b32_e32 v31, 0x64006400, v31
	v_and_b32_e32 v34, 0xf000f, v32
	v_and_b32_e32 v32, 0xf000f0, v32
	;; [unrolled: 1-line block ×3, first 2 shown]
	v_or_b32_e32 v35, 0x64006400, v32
	v_pk_add_f16 v32, v25, v31
	v_and_b32_e32 v31, 0xf000f, v39
	v_or_b32_e32 v37, 0x64006400, v36
	v_lshrrev_b32_e32 v36, 8, v39
	v_or_b32_e32 v31, 0x64006400, v31
	v_and_b32_e32 v38, 0xf000f, v36
	v_and_b32_e32 v36, 0xf000f0, v36
	v_or_b32_e32 v39, 0x64006400, v36
	v_pk_add_f16 v36, v24, v31
	v_and_b32_e32 v31, 0xf000f, v40
	v_and_b32_e32 v41, 0xf000f0, v40
	v_lshrrev_b32_e32 v40, 8, v40
	v_or_b32_e32 v31, 0x64006400, v31
	v_and_b32_e32 v42, 0xf000f, v40
	v_and_b32_e32 v40, 0xf000f0, v40
	v_or_b32_e32 v43, 0x64006400, v40
	v_pk_add_f16 v40, v26, v31
	v_mov_b32_e32 v31, s17
	ds_read2_b32 v[44:45], v31 offset1:1
	v_or_b32_e32 v34, 0x64006400, v34
	v_pk_fma_f16 v33, v33, s19, v30 op_sel_hi:[1,0,1]
	v_pk_add_f16 v34, v25, v34
	v_pk_fma_f16 v35, v35, s19, v30 op_sel_hi:[1,0,1]
	s_waitcnt lgkmcnt(0)
	v_pk_fma_f16 v46, v6, v44, 0
	v_pk_fma_f16 v48, v7, v45, v46
	ds_read2_b32 v[46:47], v31 offset0:2 offset1:3
	v_or_b32_e32 v41, 0x64006400, v41
	v_or_b32_e32 v42, 0x64006400, v42
	v_pk_fma_f16 v41, v41, s19, v28 op_sel_hi:[1,0,1]
	v_pk_add_f16 v42, v26, v42
	s_waitcnt lgkmcnt(0)
	v_pk_fma_f16 v48, v4, v46, v48
	v_pk_fma_f16 v48, v5, v47, v48
	v_cvt_f32_f16_e32 v49, v48
	v_cvt_f32_f16_sdwa v48, v48 dst_sel:DWORD dst_unused:UNUSED_PAD src0_sel:WORD_1
	v_pk_fma_f16 v43, v43, s19, v28 op_sel_hi:[1,0,1]
	v_pk_fma_f16 v37, v37, s19, v29 op_sel_hi:[1,0,1]
	v_or_b32_e32 v38, 0x64006400, v38
	v_add_f32_e32 v48, v49, v48
	v_fmac_f32_e32 v15, v48, v19
	v_pk_fma_f16 v48, v32, v44, 0
	v_pk_fma_f16 v48, v33, v45, v48
	;; [unrolled: 1-line block ×4, first 2 shown]
	v_cvt_f32_f16_e32 v49, v48
	v_cvt_f32_f16_sdwa v48, v48 dst_sel:DWORD dst_unused:UNUSED_PAD src0_sel:WORD_1
	v_pk_add_f16 v38, v24, v38
	v_pk_fma_f16 v39, v39, s19, v29 op_sel_hi:[1,0,1]
	s_add_i32 s17, s17, 64
	v_add_f32_e32 v48, v49, v48
	v_fmac_f32_e32 v16, v48, v20
	v_pk_fma_f16 v48, v36, v44, 0
	v_pk_fma_f16 v44, v40, v44, 0
	v_pk_fma_f16 v44, v41, v45, v44
	v_pk_fma_f16 v44, v42, v46, v44
	v_pk_fma_f16 v44, v43, v47, v44
	v_pk_fma_f16 v48, v37, v45, v48
	v_cvt_f32_f16_e32 v45, v44
	v_cvt_f32_f16_sdwa v44, v44 dst_sel:DWORD dst_unused:UNUSED_PAD src0_sel:WORD_1
	v_pk_fma_f16 v48, v38, v46, v48
	v_pk_fma_f16 v48, v39, v47, v48
	v_cvt_f32_f16_e32 v49, v48
	v_add_f32_e32 v44, v45, v44
	v_fmac_f32_e32 v13, v44, v22
	ds_read2_b32 v[44:45], v31 offset0:64 offset1:65
	v_cvt_f32_f16_sdwa v48, v48 dst_sel:DWORD dst_unused:UNUSED_PAD src0_sel:WORD_1
	s_cmp_ge_i32 s22, s23
	s_waitcnt lgkmcnt(0)
	v_pk_fma_f16 v6, v6, v44, 0
	v_pk_fma_f16 v46, v7, v45, v6
	ds_read2_b32 v[6:7], v31 offset0:66 offset1:67
	v_add_f32_e32 v48, v49, v48
	v_fmac_f32_e32 v14, v48, v21
	s_waitcnt lgkmcnt(0)
	v_pk_fma_f16 v4, v4, v6, v46
	v_pk_fma_f16 v4, v5, v7, v4
	v_cvt_f32_f16_e32 v5, v4
	v_cvt_f32_f16_sdwa v4, v4 dst_sel:DWORD dst_unused:UNUSED_PAD src0_sel:WORD_1
	v_add_f32_e32 v4, v5, v4
	v_fmac_f32_e32 v11, v4, v19
	v_pk_fma_f16 v4, v32, v44, 0
	v_pk_fma_f16 v4, v33, v45, v4
	v_pk_fma_f16 v4, v34, v6, v4
	v_pk_fma_f16 v4, v35, v7, v4
	v_cvt_f32_f16_e32 v5, v4
	v_cvt_f32_f16_sdwa v4, v4 dst_sel:DWORD dst_unused:UNUSED_PAD src0_sel:WORD_1
	v_add_f32_e32 v4, v5, v4
	v_fmac_f32_e32 v10, v4, v20
	v_pk_fma_f16 v4, v36, v44, 0
	v_pk_fma_f16 v4, v37, v45, v4
	;; [unrolled: 8-line block ×3, first 2 shown]
	v_pk_fma_f16 v4, v42, v6, v4
	v_pk_fma_f16 v4, v43, v7, v4
	v_cvt_f32_f16_e32 v5, v4
	v_cvt_f32_f16_sdwa v4, v4 dst_sel:DWORD dst_unused:UNUSED_PAD src0_sel:WORD_1
	v_mov_b32_e32 v6, s5
	v_add_f32_e32 v4, v5, v4
	v_fmac_f32_e32 v12, v4, v22
	v_add_co_u32_e32 v4, vcc, s4, v2
	v_addc_co_u32_e32 v5, vcc, v3, v6, vcc
	global_load_dwordx4 v[40:43], v[4:5], off
	v_add_co_u32_e32 v4, vcc, s4, v4
	v_addc_co_u32_e32 v5, vcc, v5, v6, vcc
	s_waitcnt vmcnt(0)
	v_lshrrev_b32_e32 v33, 8, v40
	v_and_b32_e32 v7, 0xf000f, v40
	v_and_b32_e32 v32, 0xf000f0, v40
	;; [unrolled: 1-line block ×4, first 2 shown]
	v_lshrrev_b32_e32 v37, 8, v41
	v_or_b32_e32 v7, 0x64006400, v7
	v_or_b32_e32 v32, 0x64006400, v32
	;; [unrolled: 1-line block ×4, first 2 shown]
	v_and_b32_e32 v38, 0xf000f, v37
	v_and_b32_e32 v37, 0xf000f0, v37
	v_pk_add_f16 v33, v23, v7
	v_pk_fma_f16 v34, v32, s19, v27 op_sel_hi:[1,0,1]
	v_pk_add_f16 v7, v23, v35
	v_pk_fma_f16 v32, v36, s19, v27 op_sel_hi:[1,0,1]
	v_and_b32_e32 v35, 0xf000f, v41
	v_and_b32_e32 v36, 0xf000f0, v41
	v_or_b32_e32 v38, 0x64006400, v38
	v_or_b32_e32 v39, 0x64006400, v37
	v_lshrrev_b32_e32 v41, 8, v42
	v_pk_add_f16 v37, v25, v38
	v_pk_fma_f16 v38, v39, s19, v30 op_sel_hi:[1,0,1]
	v_and_b32_e32 v39, 0xf000f, v42
	v_and_b32_e32 v40, 0xf000f0, v42
	v_and_b32_e32 v42, 0xf000f, v41
	v_and_b32_e32 v41, 0xf000f0, v41
	v_or_b32_e32 v42, 0x64006400, v42
	v_or_b32_e32 v44, 0x64006400, v41
	v_pk_add_f16 v41, v24, v42
	v_pk_fma_f16 v42, v44, s19, v29 op_sel_hi:[1,0,1]
	v_and_b32_e32 v44, 0xf000f, v43
	v_and_b32_e32 v45, 0xf000f0, v43
	v_lshrrev_b32_e32 v43, 8, v43
	v_and_b32_e32 v46, 0xf000f, v43
	v_and_b32_e32 v43, 0xf000f0, v43
	v_or_b32_e32 v44, 0x64006400, v44
	v_or_b32_e32 v45, 0x64006400, v45
	;; [unrolled: 1-line block ×4, first 2 shown]
	v_pk_add_f16 v43, v26, v44
	v_pk_fma_f16 v44, v45, s19, v28 op_sel_hi:[1,0,1]
	v_pk_add_f16 v45, v26, v46
	v_pk_fma_f16 v46, v47, s19, v28 op_sel_hi:[1,0,1]
	ds_read2_b32 v[47:48], v31 offset0:4 offset1:5
	v_or_b32_e32 v35, 0x64006400, v35
	v_or_b32_e32 v36, 0x64006400, v36
	v_pk_add_f16 v35, v25, v35
	v_pk_fma_f16 v36, v36, s19, v30 op_sel_hi:[1,0,1]
	s_waitcnt lgkmcnt(0)
	v_pk_fma_f16 v49, v33, v47, 0
	v_pk_fma_f16 v51, v34, v48, v49
	ds_read2_b32 v[49:50], v31 offset0:6 offset1:7
	v_or_b32_e32 v39, 0x64006400, v39
	v_pk_add_f16 v39, v24, v39
	v_or_b32_e32 v40, 0x64006400, v40
	v_pk_fma_f16 v40, v40, s19, v29 op_sel_hi:[1,0,1]
	s_waitcnt lgkmcnt(0)
	v_pk_fma_f16 v51, v7, v49, v51
	v_pk_fma_f16 v51, v32, v50, v51
	v_cvt_f32_f16_e32 v52, v51
	v_cvt_f32_f16_sdwa v51, v51 dst_sel:DWORD dst_unused:UNUSED_PAD src0_sel:WORD_1
	v_add_f32_e32 v51, v52, v51
	v_fmac_f32_e32 v15, v51, v19
	v_pk_fma_f16 v51, v35, v47, 0
	v_pk_fma_f16 v51, v36, v48, v51
	;; [unrolled: 1-line block ×4, first 2 shown]
	v_cvt_f32_f16_e32 v52, v51
	v_cvt_f32_f16_sdwa v51, v51 dst_sel:DWORD dst_unused:UNUSED_PAD src0_sel:WORD_1
	v_add_f32_e32 v51, v52, v51
	v_fmac_f32_e32 v16, v51, v20
	v_pk_fma_f16 v51, v39, v47, 0
	v_pk_fma_f16 v47, v43, v47, 0
	;; [unrolled: 1-line block ×6, first 2 shown]
	v_cvt_f32_f16_e32 v48, v47
	v_cvt_f32_f16_sdwa v47, v47 dst_sel:DWORD dst_unused:UNUSED_PAD src0_sel:WORD_1
	v_pk_fma_f16 v51, v41, v49, v51
	v_pk_fma_f16 v51, v42, v50, v51
	v_cvt_f32_f16_e32 v52, v51
	v_add_f32_e32 v47, v48, v47
	v_fmac_f32_e32 v13, v47, v22
	ds_read2_b32 v[47:48], v31 offset0:68 offset1:69
	v_cvt_f32_f16_sdwa v51, v51 dst_sel:DWORD dst_unused:UNUSED_PAD src0_sel:WORD_1
	s_waitcnt lgkmcnt(0)
	v_pk_fma_f16 v33, v33, v47, 0
	v_pk_fma_f16 v49, v34, v48, v33
	ds_read2_b32 v[33:34], v31 offset0:70 offset1:71
	v_add_f32_e32 v51, v52, v51
	v_fmac_f32_e32 v14, v51, v21
	s_waitcnt lgkmcnt(0)
	v_pk_fma_f16 v7, v7, v33, v49
	v_pk_fma_f16 v7, v32, v34, v7
	v_cvt_f32_f16_e32 v32, v7
	v_cvt_f32_f16_sdwa v7, v7 dst_sel:DWORD dst_unused:UNUSED_PAD src0_sel:WORD_1
	v_add_f32_e32 v7, v32, v7
	v_fmac_f32_e32 v11, v7, v19
	v_pk_fma_f16 v7, v35, v47, 0
	v_pk_fma_f16 v7, v36, v48, v7
	v_pk_fma_f16 v7, v37, v33, v7
	v_pk_fma_f16 v7, v38, v34, v7
	v_cvt_f32_f16_e32 v32, v7
	v_cvt_f32_f16_sdwa v7, v7 dst_sel:DWORD dst_unused:UNUSED_PAD src0_sel:WORD_1
	v_add_f32_e32 v7, v32, v7
	v_fmac_f32_e32 v10, v7, v20
	v_pk_fma_f16 v7, v39, v47, 0
	v_pk_fma_f16 v7, v40, v48, v7
	;; [unrolled: 8-line block ×3, first 2 shown]
	v_pk_fma_f16 v7, v45, v33, v7
	v_pk_fma_f16 v7, v46, v34, v7
	v_cvt_f32_f16_e32 v32, v7
	v_cvt_f32_f16_sdwa v7, v7 dst_sel:DWORD dst_unused:UNUSED_PAD src0_sel:WORD_1
	v_add_f32_e32 v7, v32, v7
	global_load_dwordx4 v[32:35], v[4:5], off
	v_fmac_f32_e32 v12, v7, v22
	v_add_co_u32_e32 v4, vcc, s4, v4
	v_addc_co_u32_e32 v5, vcc, v5, v6, vcc
	v_add_co_u32_e32 v2, vcc, s2, v2
	s_waitcnt vmcnt(0)
	v_and_b32_e32 v7, 0xf000f, v32
	v_and_b32_e32 v36, 0xf000f0, v32
	v_lshrrev_b32_e32 v32, 8, v32
	v_and_b32_e32 v37, 0xf000f, v32
	v_and_b32_e32 v32, 0xf000f0, v32
	v_or_b32_e32 v32, 0x64006400, v32
	v_pk_fma_f16 v38, v32, s19, v27 op_sel_hi:[1,0,1]
	v_and_b32_e32 v32, 0xf000f, v33
	v_and_b32_e32 v39, 0xf000f0, v33
	v_lshrrev_b32_e32 v33, 8, v33
	v_and_b32_e32 v40, 0xf000f, v33
	v_and_b32_e32 v33, 0xf000f0, v33
	v_or_b32_e32 v32, 0x64006400, v32
	v_or_b32_e32 v33, 0x64006400, v33
	v_pk_add_f16 v41, v25, v32
	v_pk_fma_f16 v42, v33, s19, v30 op_sel_hi:[1,0,1]
	v_and_b32_e32 v32, 0xf000f, v34
	v_and_b32_e32 v33, 0xf000f0, v34
	v_or_b32_e32 v32, 0x64006400, v32
	v_or_b32_e32 v33, 0x64006400, v33
	v_pk_add_f16 v44, v24, v32
	v_pk_fma_f16 v45, v33, s19, v29 op_sel_hi:[1,0,1]
	v_and_b32_e32 v32, 0xf000f, v35
	v_and_b32_e32 v33, 0xf000f0, v35
	v_lshrrev_b32_e32 v34, 8, v34
	v_or_b32_e32 v32, 0x64006400, v32
	v_or_b32_e32 v33, 0x64006400, v33
	v_and_b32_e32 v43, 0xf000f, v34
	v_and_b32_e32 v34, 0xf000f0, v34
	v_pk_add_f16 v47, v26, v32
	v_pk_fma_f16 v48, v33, s19, v28 op_sel_hi:[1,0,1]
	ds_read2_b32 v[32:33], v31 offset0:8 offset1:9
	v_or_b32_e32 v34, 0x64006400, v34
	v_pk_fma_f16 v46, v34, s19, v29 op_sel_hi:[1,0,1]
	v_lshrrev_b32_e32 v34, 8, v35
	v_or_b32_e32 v7, 0x64006400, v7
	v_and_b32_e32 v35, 0xf000f, v34
	v_and_b32_e32 v34, 0xf000f0, v34
	v_or_b32_e32 v36, 0x64006400, v36
	v_pk_add_f16 v7, v23, v7
	v_or_b32_e32 v34, 0x64006400, v34
	v_pk_fma_f16 v36, v36, s19, v27 op_sel_hi:[1,0,1]
	v_or_b32_e32 v35, 0x64006400, v35
	v_pk_fma_f16 v50, v34, s19, v28 op_sel_hi:[1,0,1]
	s_waitcnt lgkmcnt(0)
	v_pk_fma_f16 v34, v7, v32, 0
	v_pk_add_f16 v49, v26, v35
	v_pk_fma_f16 v51, v36, v33, v34
	ds_read2_b32 v[34:35], v31 offset0:10 offset1:11
	v_or_b32_e32 v37, 0x64006400, v37
	v_pk_add_f16 v37, v23, v37
	v_or_b32_e32 v39, 0x64006400, v39
	v_or_b32_e32 v40, 0x64006400, v40
	s_waitcnt lgkmcnt(0)
	v_pk_fma_f16 v51, v37, v34, v51
	v_pk_fma_f16 v51, v38, v35, v51
	v_cvt_f32_f16_e32 v52, v51
	v_cvt_f32_f16_sdwa v51, v51 dst_sel:DWORD dst_unused:UNUSED_PAD src0_sel:WORD_1
	v_pk_fma_f16 v39, v39, s19, v30 op_sel_hi:[1,0,1]
	v_pk_add_f16 v40, v25, v40
	v_or_b32_e32 v43, 0x64006400, v43
	v_add_f32_e32 v51, v52, v51
	v_fmac_f32_e32 v15, v51, v19
	v_pk_fma_f16 v51, v41, v32, 0
	v_pk_fma_f16 v51, v39, v33, v51
	;; [unrolled: 1-line block ×4, first 2 shown]
	v_cvt_f32_f16_e32 v52, v51
	v_cvt_f32_f16_sdwa v51, v51 dst_sel:DWORD dst_unused:UNUSED_PAD src0_sel:WORD_1
	v_pk_add_f16 v43, v24, v43
	v_add_f32_e32 v51, v52, v51
	v_fmac_f32_e32 v16, v51, v20
	v_pk_fma_f16 v51, v44, v32, 0
	v_pk_fma_f16 v32, v47, v32, 0
	;; [unrolled: 1-line block ×6, first 2 shown]
	v_cvt_f32_f16_e32 v33, v32
	v_cvt_f32_f16_sdwa v32, v32 dst_sel:DWORD dst_unused:UNUSED_PAD src0_sel:WORD_1
	v_pk_fma_f16 v51, v43, v34, v51
	v_pk_fma_f16 v51, v46, v35, v51
	ds_read2_b32 v[34:35], v31 offset0:74 offset1:75
	v_add_f32_e32 v32, v33, v32
	v_fmac_f32_e32 v13, v32, v22
	ds_read2_b32 v[32:33], v31 offset0:72 offset1:73
	v_cvt_f32_f16_e32 v52, v51
	v_cvt_f32_f16_sdwa v51, v51 dst_sel:DWORD dst_unused:UNUSED_PAD src0_sel:WORD_1
	s_waitcnt lgkmcnt(0)
	v_pk_fma_f16 v7, v7, v32, 0
	v_pk_fma_f16 v7, v36, v33, v7
	;; [unrolled: 1-line block ×4, first 2 shown]
	v_cvt_f32_f16_e32 v36, v7
	v_cvt_f32_f16_sdwa v7, v7 dst_sel:DWORD dst_unused:UNUSED_PAD src0_sel:WORD_1
	v_add_f32_e32 v51, v52, v51
	v_fmac_f32_e32 v14, v51, v21
	v_add_f32_e32 v7, v36, v7
	v_fmac_f32_e32 v11, v7, v19
	v_pk_fma_f16 v7, v41, v32, 0
	v_pk_fma_f16 v7, v39, v33, v7
	v_pk_fma_f16 v7, v40, v34, v7
	v_pk_fma_f16 v7, v42, v35, v7
	v_cvt_f32_f16_e32 v36, v7
	v_cvt_f32_f16_sdwa v7, v7 dst_sel:DWORD dst_unused:UNUSED_PAD src0_sel:WORD_1
	v_add_f32_e32 v7, v36, v7
	v_fmac_f32_e32 v10, v7, v20
	v_pk_fma_f16 v7, v44, v32, 0
	v_pk_fma_f16 v7, v45, v33, v7
	v_pk_fma_f16 v7, v43, v34, v7
	v_pk_fma_f16 v7, v46, v35, v7
	v_cvt_f32_f16_e32 v36, v7
	v_cvt_f32_f16_sdwa v7, v7 dst_sel:DWORD dst_unused:UNUSED_PAD src0_sel:WORD_1
	v_add_f32_e32 v7, v36, v7
	v_fmac_f32_e32 v9, v7, v21
	v_pk_fma_f16 v7, v47, v32, 0
	v_pk_fma_f16 v7, v48, v33, v7
	v_pk_fma_f16 v7, v49, v34, v7
	v_pk_fma_f16 v7, v50, v35, v7
	v_cvt_f32_f16_e32 v32, v7
	v_cvt_f32_f16_sdwa v7, v7 dst_sel:DWORD dst_unused:UNUSED_PAD src0_sel:WORD_1
	v_add_f32_e32 v7, v32, v7
	global_load_dwordx4 v[32:35], v[4:5], off
	v_fmac_f32_e32 v12, v7, v22
	s_waitcnt vmcnt(0)
	v_lshrrev_b32_e32 v6, 8, v32
	v_and_b32_e32 v7, 0xf000f, v6
	v_and_b32_e32 v6, 0xf000f0, v6
	v_or_b32_e32 v7, 0x64006400, v7
	v_or_b32_e32 v6, 0x64006400, v6
	v_and_b32_e32 v4, 0xf000f, v32
	v_and_b32_e32 v5, 0xf000f0, v32
	v_pk_add_f16 v44, v23, v7
	v_pk_fma_f16 v45, v6, s19, v27 op_sel_hi:[1,0,1]
	v_and_b32_e32 v6, 0xf000f, v33
	v_and_b32_e32 v7, 0xf000f0, v33
	v_lshrrev_b32_e32 v32, 8, v33
	v_or_b32_e32 v6, 0x64006400, v6
	v_or_b32_e32 v7, 0x64006400, v7
	v_and_b32_e32 v33, 0xf000f, v32
	v_and_b32_e32 v32, 0xf000f0, v32
	v_or_b32_e32 v32, 0x64006400, v32
	v_pk_add_f16 v40, v25, v6
	v_pk_fma_f16 v41, v7, s19, v30 op_sel_hi:[1,0,1]
	v_and_b32_e32 v6, 0xf000f, v34
	v_and_b32_e32 v7, 0xf000f0, v34
	v_or_b32_e32 v33, 0x64006400, v33
	v_pk_fma_f16 v43, v32, s19, v30 op_sel_hi:[1,0,1]
	v_or_b32_e32 v6, 0x64006400, v6
	v_or_b32_e32 v7, 0x64006400, v7
	v_lshrrev_b32_e32 v32, 8, v34
	v_pk_add_f16 v42, v25, v33
	v_and_b32_e32 v33, 0xf000f, v32
	v_and_b32_e32 v32, 0xf000f0, v32
	v_pk_add_f16 v36, v24, v6
	v_pk_fma_f16 v37, v7, s19, v29 op_sel_hi:[1,0,1]
	v_and_b32_e32 v6, 0xf000f, v35
	v_and_b32_e32 v7, 0xf000f0, v35
	v_or_b32_e32 v32, 0x64006400, v32
	v_or_b32_e32 v6, 0x64006400, v6
	;; [unrolled: 1-line block ×3, first 2 shown]
	v_pk_fma_f16 v39, v32, s19, v29 op_sel_hi:[1,0,1]
	v_lshrrev_b32_e32 v32, 8, v35
	v_pk_add_f16 v34, v26, v6
	v_pk_fma_f16 v35, v7, s19, v28 op_sel_hi:[1,0,1]
	ds_read2_b32 v[6:7], v31 offset0:12 offset1:13
	v_or_b32_e32 v33, 0x64006400, v33
	v_or_b32_e32 v4, 0x64006400, v4
	v_pk_add_f16 v38, v24, v33
	v_and_b32_e32 v33, 0xf000f, v32
	v_and_b32_e32 v32, 0xf000f0, v32
	v_or_b32_e32 v5, 0x64006400, v5
	v_pk_add_f16 v4, v23, v4
	v_or_b32_e32 v33, 0x64006400, v33
	v_or_b32_e32 v46, 0x64006400, v32
	v_pk_fma_f16 v5, v5, s19, v27 op_sel_hi:[1,0,1]
	v_pk_add_f16 v32, v26, v33
	v_pk_fma_f16 v33, v46, s19, v28 op_sel_hi:[1,0,1]
	s_waitcnt lgkmcnt(0)
	v_pk_fma_f16 v46, v4, v6, 0
	v_pk_fma_f16 v48, v5, v7, v46
	ds_read2_b32 v[46:47], v31 offset0:14 offset1:15
	s_waitcnt lgkmcnt(0)
	v_pk_fma_f16 v48, v44, v46, v48
	v_pk_fma_f16 v48, v45, v47, v48
	v_cvt_f32_f16_e32 v49, v48
	v_cvt_f32_f16_sdwa v48, v48 dst_sel:DWORD dst_unused:UNUSED_PAD src0_sel:WORD_1
	v_add_f32_e32 v48, v49, v48
	v_fmac_f32_e32 v15, v48, v19
	v_pk_fma_f16 v48, v40, v6, 0
	v_pk_fma_f16 v48, v41, v7, v48
	;; [unrolled: 1-line block ×4, first 2 shown]
	v_cvt_f32_f16_e32 v49, v48
	v_cvt_f32_f16_sdwa v48, v48 dst_sel:DWORD dst_unused:UNUSED_PAD src0_sel:WORD_1
	v_add_f32_e32 v48, v49, v48
	v_fmac_f32_e32 v16, v48, v20
	v_pk_fma_f16 v48, v36, v6, 0
	v_pk_fma_f16 v6, v34, v6, 0
	;; [unrolled: 1-line block ×6, first 2 shown]
	v_cvt_f32_f16_e32 v7, v6
	v_cvt_f32_f16_sdwa v6, v6 dst_sel:DWORD dst_unused:UNUSED_PAD src0_sel:WORD_1
	v_pk_fma_f16 v48, v38, v46, v48
	v_pk_fma_f16 v48, v39, v47, v48
	v_cvt_f32_f16_e32 v49, v48
	v_add_f32_e32 v6, v7, v6
	v_fmac_f32_e32 v13, v6, v22
	ds_read2_b32 v[6:7], v31 offset0:76 offset1:77
	v_cvt_f32_f16_sdwa v48, v48 dst_sel:DWORD dst_unused:UNUSED_PAD src0_sel:WORD_1
	s_waitcnt lgkmcnt(0)
	v_pk_fma_f16 v4, v4, v6, 0
	v_pk_fma_f16 v46, v5, v7, v4
	ds_read2_b32 v[4:5], v31 offset0:78 offset1:79
	v_add_f32_e32 v48, v49, v48
	v_fmac_f32_e32 v14, v48, v21
	s_waitcnt lgkmcnt(0)
	v_pk_fma_f16 v31, v44, v4, v46
	v_pk_fma_f16 v31, v45, v5, v31
	v_cvt_f32_f16_e32 v44, v31
	v_cvt_f32_f16_sdwa v31, v31 dst_sel:DWORD dst_unused:UNUSED_PAD src0_sel:WORD_1
	v_add_f32_e32 v31, v44, v31
	v_fmac_f32_e32 v11, v31, v19
	v_pk_fma_f16 v31, v40, v6, 0
	v_pk_fma_f16 v31, v41, v7, v31
	;; [unrolled: 1-line block ×4, first 2 shown]
	v_cvt_f32_f16_e32 v40, v31
	v_cvt_f32_f16_sdwa v31, v31 dst_sel:DWORD dst_unused:UNUSED_PAD src0_sel:WORD_1
	v_add_f32_e32 v31, v40, v31
	v_fmac_f32_e32 v10, v31, v20
	v_pk_fma_f16 v31, v36, v6, 0
	v_pk_fma_f16 v6, v34, v6, 0
	;; [unrolled: 1-line block ×8, first 2 shown]
	v_cvt_f32_f16_e32 v5, v4
	v_cvt_f32_f16_sdwa v4, v4 dst_sel:DWORD dst_unused:UNUSED_PAD src0_sel:WORD_1
	v_cvt_f32_f16_e32 v36, v31
	v_cvt_f32_f16_sdwa v31, v31 dst_sel:DWORD dst_unused:UNUSED_PAD src0_sel:WORD_1
	v_add_f32_e32 v4, v5, v4
	v_fmac_f32_e32 v12, v4, v22
	v_add_f32_e32 v31, v36, v31
	v_mov_b32_e32 v4, s3
	v_fmac_f32_e32 v9, v31, v21
	v_addc_co_u32_e32 v3, vcc, v3, v4, vcc
	s_cbranch_scc1 .LBB21_12
.LBB21_10:                              ; =>This Inner Loop Header: Depth=1
	s_cmp_lg_u32 s22, s8
	s_cbranch_scc1 .LBB21_9
; %bb.11:                               ;   in Loop: Header=BB21_10 Depth=1
	s_add_i32 s16, s16, 1
	s_mul_i32 s1, s16, s0
	s_ashr_i32 s9, s1, 31
	s_lshr_b32 s9, s9, 29
	s_add_i32 s9, s1, s9
	v_add_u32_e32 v6, s1, v1
	s_ashr_i32 s9, s9, 3
	v_ashrrev_i32_e32 v7, 31, v6
	v_add_u32_e32 v4, s9, v8
	v_lshlrev_b64 v[6:7], 1, v[6:7]
	v_ashrrev_i32_e32 v5, 31, v4
	v_lshlrev_b64 v[4:5], 2, v[4:5]
	v_mov_b32_e32 v20, s13
	v_add_co_u32_e32 v6, vcc, s12, v6
	v_addc_co_u32_e32 v7, vcc, v20, v7, vcc
	v_mov_b32_e32 v19, s11
	v_add_co_u32_e32 v4, vcc, s10, v4
	v_addc_co_u32_e32 v5, vcc, v19, v5, vcc
	global_load_dword v4, v[4:5], off
	s_add_i32 s8, s8, s6
	global_load_dwordx2 v[6:7], v[6:7], off
	s_waitcnt vmcnt(1)
	v_lshrrev_b32_e32 v5, v17, v4
	v_bfe_u32 v4, v4, v17, 4
	s_waitcnt vmcnt(0)
	v_cvt_f32_f16_e32 v19, v6
	v_cvt_f32_f16_sdwa v20, v6 dst_sel:DWORD dst_unused:UNUSED_PAD src0_sel:WORD_1
	v_cvt_f32_f16_e32 v21, v7
	v_cvt_f32_f16_sdwa v22, v7 dst_sel:DWORD dst_unused:UNUSED_PAD src0_sel:WORD_1
	v_bfe_u32 v6, v5, 4, 4
	v_bfe_u32 v7, v5, 8, 4
	;; [unrolled: 1-line block ×3, first 2 shown]
	v_add_u32_e32 v4, v4, v18
	v_cvt_f32_ubyte0_e32 v24, v4
	v_mad_u32_u24 v23, v4, s18, v0
	v_add_u32_e32 v4, v6, v18
	v_add_u32_e32 v6, v7, v18
	;; [unrolled: 1-line block ×3, first 2 shown]
	v_cvt_f16_f32_e32 v7, v24
	v_cvt_f32_ubyte0_e32 v27, v4
	v_mad_u32_u24 v25, v4, s18, v0
	v_cvt_f32_ubyte0_e32 v4, v6
	v_mad_u32_u24 v24, v6, s18, v0
	;; [unrolled: 2-line block ×3, first 2 shown]
	v_cvt_f16_f32_e32 v5, v27
	v_cvt_f16_f32_e32 v4, v4
	;; [unrolled: 1-line block ×3, first 2 shown]
	v_sub_f16_e32 v7, 0xd400, v7
	v_sub_f16_e32 v5, 0xd400, v5
	;; [unrolled: 1-line block ×4, first 2 shown]
	v_mul_u32_u24_e32 v27, 0x10001, v7
	v_mul_u32_u24_e32 v30, 0x10001, v5
	;; [unrolled: 1-line block ×4, first 2 shown]
	s_branch .LBB21_9
.LBB21_12:
	s_mul_i32 s7, s7, s0
	v_add_u32_e32 v0, s7, v1
	v_ashrrev_i32_e32 v1, 31, v0
	v_lshlrev_b64 v[1:2], 1, v[0:1]
	v_mov_b32_e32 v3, s15
	v_add_co_u32_e32 v1, vcc, s14, v1
	v_addc_co_u32_e32 v2, vcc, v3, v2, vcc
	global_load_dword v4, v[1:2], off
	v_cvt_f16_f32_e32 v3, v15
	v_cvt_f16_f32_e32 v5, v16
	s_mov_b64 s[2:3], 0
	v_pack_b32_f16 v5, v3, v5
.LBB21_13:                              ; =>This Inner Loop Header: Depth=1
	s_waitcnt vmcnt(0)
	v_pk_add_f16 v3, v5, v4
	global_atomic_cmpswap v3, v[1:2], v[3:4], off glc
	s_waitcnt vmcnt(0)
	v_cmp_eq_u32_e32 vcc, v4, v3
	s_or_b64 s[2:3], vcc, s[2:3]
	v_mov_b32_e32 v4, v3
	s_andn2_b64 exec, exec, s[2:3]
	s_cbranch_execnz .LBB21_13
; %bb.14:
	s_or_b64 exec, exec, s[2:3]
	global_load_dword v4, v[1:2], off offset:4
	v_cvt_f16_f32_e32 v3, v14
	v_cvt_f16_f32_e32 v5, v13
	s_mov_b64 s[2:3], 0
	v_pack_b32_f16 v5, v3, v5
.LBB21_15:                              ; =>This Inner Loop Header: Depth=1
	s_waitcnt vmcnt(0)
	v_pk_add_f16 v3, v5, v4
	global_atomic_cmpswap v3, v[1:2], v[3:4], off offset:4 glc
	s_waitcnt vmcnt(0)
	v_cmp_eq_u32_e32 vcc, v4, v3
	s_or_b64 s[2:3], vcc, s[2:3]
	v_mov_b32_e32 v4, v3
	s_andn2_b64 exec, exec, s[2:3]
	s_cbranch_execnz .LBB21_15
; %bb.16:
	s_or_b64 exec, exec, s[2:3]
	v_add_u32_e32 v0, s0, v0
	v_ashrrev_i32_e32 v1, 31, v0
	v_lshlrev_b64 v[0:1], 1, v[0:1]
	v_mov_b32_e32 v2, s15
	v_add_co_u32_e32 v0, vcc, s14, v0
	v_addc_co_u32_e32 v1, vcc, v2, v1, vcc
	global_load_dword v3, v[0:1], off
	v_cvt_f16_f32_e32 v2, v11
	v_cvt_f16_f32_e32 v4, v10
	s_mov_b64 s[0:1], 0
	v_pack_b32_f16 v4, v2, v4
.LBB21_17:                              ; =>This Inner Loop Header: Depth=1
	s_waitcnt vmcnt(0)
	v_pk_add_f16 v2, v4, v3
	global_atomic_cmpswap v2, v[0:1], v[2:3], off glc
	s_waitcnt vmcnt(0)
	v_cmp_eq_u32_e32 vcc, v3, v2
	s_or_b64 s[0:1], vcc, s[0:1]
	v_mov_b32_e32 v3, v2
	s_andn2_b64 exec, exec, s[0:1]
	s_cbranch_execnz .LBB21_17
; %bb.18:
	s_or_b64 exec, exec, s[0:1]
	global_load_dword v3, v[0:1], off offset:4
	v_cvt_f16_f32_e32 v2, v9
	v_cvt_f16_f32_e32 v4, v12
	s_mov_b64 s[0:1], 0
	v_pack_b32_f16 v4, v2, v4
.LBB21_19:                              ; =>This Inner Loop Header: Depth=1
	s_waitcnt vmcnt(0)
	v_pk_add_f16 v2, v4, v3
	global_atomic_cmpswap v2, v[0:1], v[2:3], off offset:4 glc
	s_waitcnt vmcnt(0)
	v_cmp_eq_u32_e32 vcc, v3, v2
	s_or_b64 s[0:1], vcc, s[0:1]
	v_mov_b32_e32 v3, v2
	s_andn2_b64 exec, exec, s[0:1]
	s_cbranch_execnz .LBB21_19
.LBB21_20:
	s_endpgm
	.section	.rodata,"a",@progbits
	.p2align	6, 0x0
	.amdhsa_kernel _ZN4vllm4gptq33gemm_half_q_half_gptq_4bit_kernelILb1ELi2EEEvPK6__halfPKjS6_S4_PS2_iiiibPKi
		.amdhsa_group_segment_fixed_size 512
		.amdhsa_private_segment_fixed_size 0
		.amdhsa_kernarg_size 72
		.amdhsa_user_sgpr_count 6
		.amdhsa_user_sgpr_private_segment_buffer 1
		.amdhsa_user_sgpr_dispatch_ptr 0
		.amdhsa_user_sgpr_queue_ptr 0
		.amdhsa_user_sgpr_kernarg_segment_ptr 1
		.amdhsa_user_sgpr_dispatch_id 0
		.amdhsa_user_sgpr_flat_scratch_init 0
		.amdhsa_user_sgpr_private_segment_size 0
		.amdhsa_uses_dynamic_stack 0
		.amdhsa_system_sgpr_private_segment_wavefront_offset 0
		.amdhsa_system_sgpr_workgroup_id_x 1
		.amdhsa_system_sgpr_workgroup_id_y 1
		.amdhsa_system_sgpr_workgroup_id_z 1
		.amdhsa_system_sgpr_workgroup_info 0
		.amdhsa_system_vgpr_workitem_id 0
		.amdhsa_next_free_vgpr 53
		.amdhsa_next_free_sgpr 26
		.amdhsa_reserve_vcc 1
		.amdhsa_reserve_flat_scratch 0
		.amdhsa_float_round_mode_32 0
		.amdhsa_float_round_mode_16_64 0
		.amdhsa_float_denorm_mode_32 3
		.amdhsa_float_denorm_mode_16_64 3
		.amdhsa_dx10_clamp 1
		.amdhsa_ieee_mode 1
		.amdhsa_fp16_overflow 0
		.amdhsa_exception_fp_ieee_invalid_op 0
		.amdhsa_exception_fp_denorm_src 0
		.amdhsa_exception_fp_ieee_div_zero 0
		.amdhsa_exception_fp_ieee_overflow 0
		.amdhsa_exception_fp_ieee_underflow 0
		.amdhsa_exception_fp_ieee_inexact 0
		.amdhsa_exception_int_div_zero 0
	.end_amdhsa_kernel
	.section	.text._ZN4vllm4gptq33gemm_half_q_half_gptq_4bit_kernelILb1ELi2EEEvPK6__halfPKjS6_S4_PS2_iiiibPKi,"axG",@progbits,_ZN4vllm4gptq33gemm_half_q_half_gptq_4bit_kernelILb1ELi2EEEvPK6__halfPKjS6_S4_PS2_iiiibPKi,comdat
.Lfunc_end21:
	.size	_ZN4vllm4gptq33gemm_half_q_half_gptq_4bit_kernelILb1ELi2EEEvPK6__halfPKjS6_S4_PS2_iiiibPKi, .Lfunc_end21-_ZN4vllm4gptq33gemm_half_q_half_gptq_4bit_kernelILb1ELi2EEEvPK6__halfPKjS6_S4_PS2_iiiibPKi
                                        ; -- End function
	.set _ZN4vllm4gptq33gemm_half_q_half_gptq_4bit_kernelILb1ELi2EEEvPK6__halfPKjS6_S4_PS2_iiiibPKi.num_vgpr, 53
	.set _ZN4vllm4gptq33gemm_half_q_half_gptq_4bit_kernelILb1ELi2EEEvPK6__halfPKjS6_S4_PS2_iiiibPKi.num_agpr, 0
	.set _ZN4vllm4gptq33gemm_half_q_half_gptq_4bit_kernelILb1ELi2EEEvPK6__halfPKjS6_S4_PS2_iiiibPKi.numbered_sgpr, 26
	.set _ZN4vllm4gptq33gemm_half_q_half_gptq_4bit_kernelILb1ELi2EEEvPK6__halfPKjS6_S4_PS2_iiiibPKi.num_named_barrier, 0
	.set _ZN4vllm4gptq33gemm_half_q_half_gptq_4bit_kernelILb1ELi2EEEvPK6__halfPKjS6_S4_PS2_iiiibPKi.private_seg_size, 0
	.set _ZN4vllm4gptq33gemm_half_q_half_gptq_4bit_kernelILb1ELi2EEEvPK6__halfPKjS6_S4_PS2_iiiibPKi.uses_vcc, 1
	.set _ZN4vllm4gptq33gemm_half_q_half_gptq_4bit_kernelILb1ELi2EEEvPK6__halfPKjS6_S4_PS2_iiiibPKi.uses_flat_scratch, 0
	.set _ZN4vllm4gptq33gemm_half_q_half_gptq_4bit_kernelILb1ELi2EEEvPK6__halfPKjS6_S4_PS2_iiiibPKi.has_dyn_sized_stack, 0
	.set _ZN4vllm4gptq33gemm_half_q_half_gptq_4bit_kernelILb1ELi2EEEvPK6__halfPKjS6_S4_PS2_iiiibPKi.has_recursion, 0
	.set _ZN4vllm4gptq33gemm_half_q_half_gptq_4bit_kernelILb1ELi2EEEvPK6__halfPKjS6_S4_PS2_iiiibPKi.has_indirect_call, 0
	.section	.AMDGPU.csdata,"",@progbits
; Kernel info:
; codeLenInByte = 5296
; TotalNumSgprs: 30
; NumVgprs: 53
; ScratchSize: 0
; MemoryBound: 0
; FloatMode: 240
; IeeeMode: 1
; LDSByteSize: 512 bytes/workgroup (compile time only)
; SGPRBlocks: 3
; VGPRBlocks: 13
; NumSGPRsForWavesPerEU: 30
; NumVGPRsForWavesPerEU: 53
; Occupancy: 4
; WaveLimiterHint : 0
; COMPUTE_PGM_RSRC2:SCRATCH_EN: 0
; COMPUTE_PGM_RSRC2:USER_SGPR: 6
; COMPUTE_PGM_RSRC2:TRAP_HANDLER: 0
; COMPUTE_PGM_RSRC2:TGID_X_EN: 1
; COMPUTE_PGM_RSRC2:TGID_Y_EN: 1
; COMPUTE_PGM_RSRC2:TGID_Z_EN: 1
; COMPUTE_PGM_RSRC2:TIDIG_COMP_CNT: 0
	.section	.text._ZN4vllm4gptq33gemm_half_q_half_gptq_8bit_kernelILb1ELi2EEEvPK6__halfPKjS6_S4_PS2_iiiibPKi,"axG",@progbits,_ZN4vllm4gptq33gemm_half_q_half_gptq_8bit_kernelILb1ELi2EEEvPK6__halfPKjS6_S4_PS2_iiiibPKi,comdat
	.protected	_ZN4vllm4gptq33gemm_half_q_half_gptq_8bit_kernelILb1ELi2EEEvPK6__halfPKjS6_S4_PS2_iiiibPKi ; -- Begin function _ZN4vllm4gptq33gemm_half_q_half_gptq_8bit_kernelILb1ELi2EEEvPK6__halfPKjS6_S4_PS2_iiiibPKi
	.globl	_ZN4vllm4gptq33gemm_half_q_half_gptq_8bit_kernelILb1ELi2EEEvPK6__halfPKjS6_S4_PS2_iiiibPKi
	.p2align	8
	.type	_ZN4vllm4gptq33gemm_half_q_half_gptq_8bit_kernelILb1ELi2EEEvPK6__halfPKjS6_S4_PS2_iiiibPKi,@function
_ZN4vllm4gptq33gemm_half_q_half_gptq_8bit_kernelILb1ELi2EEEvPK6__halfPKjS6_S4_PS2_iiiibPKi: ; @_ZN4vllm4gptq33gemm_half_q_half_gptq_8bit_kernelILb1ELi2EEEvPK6__halfPKjS6_S4_PS2_iiiibPKi
; %bb.0:
	s_mov_b64 s[30:31], s[2:3]
	s_mov_b64 s[28:29], s[0:1]
	s_load_dwordx4 s[0:3], s[4:5], 0x2c
	s_add_u32 s28, s28, s9
	s_addc_u32 s29, s29, 0
	s_lshl_b32 s22, s8, 7
	s_add_i32 s8, s22, 0x80
	v_cvt_f64_u32_e32 v[1:2], s8
	s_waitcnt lgkmcnt(0)
	v_cvt_f64_i32_e32 v[3:4], s1
	s_load_dwordx8 s[8:15], s[4:5], 0x8
	s_lshl_b32 s7, s7, 1
	v_min_f64 v[1:2], v[1:2], v[3:4]
	v_cvt_i32_f64_e32 v2, v[1:2]
	v_add_u32_e32 v1, s22, v0
	v_readfirstlane_b32 s23, v2
	v_cmp_lt_u32_e32 vcc, v1, v2
	s_and_saveexec_b64 s[16:17], vcc
	s_cbranch_execz .LBB22_6
; %bb.1:
	s_load_dwordx2 s[20:21], s[4:5], 0x40
	s_load_dwordx2 s[18:19], s[4:5], 0x0
	v_mov_b32_e32 v2, 0
	v_lshlrev_b64 v[3:4], 2, v[1:2]
	s_waitcnt lgkmcnt(0)
	v_mov_b32_e32 v5, s21
	v_add_co_u32_e32 v3, vcc, s20, v3
	s_cmp_lg_u64 s[20:21], 0
	v_addc_co_u32_e32 v4, vcc, v5, v4, vcc
	v_mov_b32_e32 v6, v2
	s_cselect_b64 s[4:5], -1, 0
	s_cmp_eq_u64 s[20:21], 0
	v_mov_b32_e32 v5, v1
	s_cbranch_scc1 .LBB22_3
; %bb.2:
	global_load_dword v5, v[3:4], off
	s_waitcnt vmcnt(0)
	v_ashrrev_i32_e32 v6, 31, v5
.LBB22_3:
	s_mul_i32 s20, s7, s1
	s_ashr_i32 s21, s20, 31
	s_lshl_b64 s[24:25], s[20:21], 1
	s_add_u32 s21, s18, s24
	v_lshlrev_b64 v[5:6], 1, v[5:6]
	s_addc_u32 s24, s19, s25
	v_mov_b32_e32 v7, s24
	v_add_co_u32_e32 v5, vcc, s21, v5
	v_addc_co_u32_e32 v6, vcc, v7, v6, vcc
	global_load_ushort v6, v[5:6], off
	v_lshlrev_b32_e32 v5, 1, v0
	s_andn2_b64 vcc, exec, s[4:5]
	s_waitcnt vmcnt(0)
	ds_write_b16 v5, v6
	s_cbranch_vccnz .LBB22_5
; %bb.4:
	global_load_dword v1, v[3:4], off
	s_waitcnt vmcnt(0)
	v_ashrrev_i32_e32 v2, 31, v1
.LBB22_5:
	s_add_i32 s4, s20, s1
	s_ashr_i32 s5, s4, 31
	s_lshl_b64 s[4:5], s[4:5], 1
	s_add_u32 s4, s18, s4
	v_lshlrev_b64 v[1:2], 1, v[1:2]
	s_addc_u32 s5, s19, s5
	v_mov_b32_e32 v3, s5
	v_add_co_u32_e32 v1, vcc, s4, v1
	v_addc_co_u32_e32 v2, vcc, v3, v2, vcc
	global_load_ushort v1, v[1:2], off
	s_waitcnt vmcnt(0)
	ds_write_b16 v5, v1 offset:256
.LBB22_6:
	s_or_b64 exec, exec, s[16:17]
	v_lshlrev_b32_e32 v0, 2, v0
	v_lshl_add_u32 v1, s6, 9, v0
	v_mov_b32_e32 v0, v1
	buffer_store_dword v0, off, s[28:31], 0 offset:56 ; 4-byte Folded Spill
	s_nop 0
	buffer_store_dword v1, off, s[28:31], 0 offset:60 ; 4-byte Folded Spill
	v_cmp_gt_i32_e32 vcc, s0, v1
	s_and_saveexec_b64 s[4:5], vcc
	s_cbranch_execz .LBB22_20
; %bb.7:
	s_abs_i32 s4, s2
	v_cvt_f32_u32_e32 v0, s4
	s_mov_b32 s6, 0
	v_mov_b32_e32 v16, 0
	v_mov_b32_e32 v62, 0
	v_rcp_iflag_f32_e32 v0, v0
	v_mov_b32_e32 v38, 0
	s_cmp_ge_i32 s22, s23
	v_mov_b32_e32 v35, 0
	v_mul_f32_e32 v0, 0x4f7ffffe, v0
	v_cvt_u32_f32_e32 v0, v0
	s_waitcnt vmcnt(0) lgkmcnt(0)
	s_barrier
	v_readfirstlane_b32 s5, v0
	s_cbranch_scc1 .LBB22_12
; %bb.8:
	buffer_load_dword v1, off, s[28:31], 0 offset:56 ; 4-byte Folded Reload
	buffer_load_dword v2, off, s[28:31], 0 offset:60 ; 4-byte Folded Reload
	s_sub_i32 s17, 0, s4
	s_mul_i32 s17, s17, s5
	s_mul_hi_u32 s17, s5, s17
	s_ashr_i32 s16, s1, 31
	s_abs_i32 s1, s1
	s_add_i32 s5, s5, s17
	s_ashr_i32 s2, s2, 31
	s_mul_hi_u32 s5, s1, s5
	s_xor_b32 s2, s16, s2
	s_mul_i32 s16, s5, s4
	s_sub_i32 s1, s1, s16
	s_add_i32 s16, s5, 1
	s_sub_i32 s17, s1, s4
	s_cmp_ge_u32 s1, s4
	s_cselect_b32 s5, s16, s5
	s_cselect_b32 s1, s17, s1
	s_add_i32 s16, s5, 1
	s_cmp_ge_u32 s1, s4
	s_cselect_b32 s1, s16, s5
	s_xor_b32 s1, s1, s2
	s_sub_i32 s16, s1, s2
	v_cvt_f32_u32_e32 v0, s16
	s_bitcmp1_b32 s3, 0
	s_cselect_b64 s[2:3], -1, 0
	s_sub_i32 s1, 0, s16
	v_rcp_iflag_f32_e32 v0, v0
	s_xor_b64 s[2:3], s[2:3], -1
	v_mov_b32_e32 v5, s11
	v_mov_b32_e32 v4, s13
	v_mul_f32_e32 v0, 0x4f7ffffe, v0
	v_cvt_u32_f32_e32 v0, v0
	v_mov_b32_e32 v35, 0
	v_mov_b32_e32 v38, 0
	;; [unrolled: 1-line block ×3, first 2 shown]
	v_readfirstlane_b32 s4, v0
	s_mul_i32 s1, s1, s4
	s_mul_hi_u32 s1, s4, s1
	s_add_i32 s4, s4, s1
	s_mul_hi_u32 s1, s22, s4
	s_mul_i32 s4, s1, s16
	s_sub_i32 s4, s22, s4
	s_add_i32 s5, s1, 1
	s_sub_i32 s17, s4, s16
	s_cmp_ge_u32 s4, s16
	s_cselect_b32 s1, s5, s1
	s_cselect_b32 s4, s17, s4
	s_add_i32 s5, s1, 1
	s_cmp_ge_u32 s4, s16
	s_cselect_b32 s17, s5, s1
	s_mul_i32 s1, s17, s0
	s_ashr_i32 s4, s1, 31
	s_lshr_b32 s4, s4, 30
	v_mov_b32_e32 v16, 0
	s_waitcnt vmcnt(1)
	v_mov_b32_e32 v6, v1
	v_add_u32_e32 v0, s1, v6
	s_add_i32 s1, s1, s4
	s_waitcnt vmcnt(0)
	v_ashrrev_i32_e32 v2, 2, v6
	s_ashr_i32 s1, s1, 2
	buffer_store_dword v2, off, s[28:31], 0 offset:64 ; 4-byte Folded Spill
	v_add_u32_e32 v2, s1, v2
	v_ashrrev_i32_e32 v3, 31, v2
	v_lshlrev_b64 v[2:3], 2, v[2:3]
	v_ashrrev_i32_e32 v1, 31, v0
	v_lshlrev_b64 v[0:1], 1, v[0:1]
	v_add_co_u32_e32 v2, vcc, s10, v2
	v_addc_co_u32_e32 v3, vcc, v5, v3, vcc
	v_add_co_u32_e32 v0, vcc, s12, v0
	global_load_dword v2, v[2:3], off
	v_addc_co_u32_e32 v1, vcc, v4, v1, vcc
	global_load_dwordx2 v[55:56], v[0:1], off
	s_lshr_b32 s1, s22, 2
	v_cndmask_b32_e64 v3, 0, 1, s[2:3]
	s_mul_i32 s2, s0, s1
	v_mov_b32_e32 v0, v6
	s_ashr_i32 s3, s2, 31
	v_ashrrev_i32_e32 v7, 31, v6
	buffer_store_dword v0, off, s[28:31], 0 offset:56 ; 4-byte Folded Spill
	s_nop 0
	buffer_store_dword v1, off, s[28:31], 0 offset:60 ; 4-byte Folded Spill
	s_lshl_b64 s[2:3], s[2:3], 2
	v_lshlrev_b64 v[0:1], 2, v[6:7]
	s_add_u32 s18, s8, s2
	s_addc_u32 s2, s9, s3
	buffer_store_dword v3, off, s[28:31], 0 offset:52 ; 4-byte Folded Spill
	s_ashr_i32 s1, s0, 31
	v_mov_b32_e32 v3, s2
	v_add_co_u32_e32 v4, vcc, s18, v0
	s_add_i32 s8, s16, s22
	s_lshl_b64 s[2:3], s[0:1], 5
	s_lshl_b64 s[4:5], s[0:1], 2
	v_addc_co_u32_e32 v5, vcc, v3, v1, vcc
	s_waitcnt vmcnt(4)
	v_and_b32_e32 v1, 0xff, v2
	v_bfe_u32 v3, v2, 8, 8
	v_bfe_u32 v6, v2, 16, 8
	v_lshrrev_b32_e32 v2, 24, v2
	s_cmp_lg_u32 s22, s8
	s_cbranch_scc1 .LBB22_10
.LBB22_9:
	buffer_load_dword v0, off, s[28:31], 0 offset:64 ; 4-byte Folded Reload
	s_add_i32 s17, s17, 1
	s_mul_i32 s1, s17, s0
	s_ashr_i32 s9, s1, 31
	s_lshr_b32 s9, s9, 30
	s_add_i32 s9, s1, s9
	s_ashr_i32 s9, s9, 2
	s_waitcnt vmcnt(1)
	v_mov_b32_e32 v2, s11
	v_mov_b32_e32 v3, s13
	s_add_i32 s8, s8, s16
	s_waitcnt vmcnt(0)
	v_add_u32_e32 v0, s9, v0
	v_ashrrev_i32_e32 v1, 31, v0
	v_lshlrev_b64 v[0:1], 2, v[0:1]
	v_add_co_u32_e32 v0, vcc, s10, v0
	v_addc_co_u32_e32 v1, vcc, v2, v1, vcc
	global_load_dword v2, v[0:1], off
	s_nop 0
	buffer_load_dword v0, off, s[28:31], 0 offset:56 ; 4-byte Folded Reload
	buffer_load_dword v1, off, s[28:31], 0 offset:60 ; 4-byte Folded Reload
	s_waitcnt vmcnt(1)
	v_add_u32_e32 v0, s1, v0
	s_waitcnt vmcnt(0)
	v_ashrrev_i32_e32 v1, 31, v0
	v_lshlrev_b64 v[0:1], 1, v[0:1]
	v_bfe_u32 v6, v2, 16, 8
	v_add_co_u32_e32 v0, vcc, s12, v0
	v_addc_co_u32_e32 v1, vcc, v3, v1, vcc
	global_load_dwordx2 v[55:56], v[0:1], off
	v_and_b32_e32 v1, 0xff, v2
	v_bfe_u32 v3, v2, 8, 8
	v_lshrrev_b32_e32 v2, 24, v2
.LBB22_10:                              ; =>This Inner Loop Header: Depth=1
	buffer_load_dword v0, off, s[28:31], 0 offset:52 ; 4-byte Folded Reload
	v_mov_b32_e32 v63, s6
	s_waitcnt vmcnt(4)
	buffer_store_dword v1, off, s[28:31], 0 offset:36 ; 4-byte Folded Spill
	s_waitcnt vmcnt(4)
	buffer_store_dword v3, off, s[28:31], 0 offset:40 ; 4-byte Folded Spill
	;; [unrolled: 2-line block ×4, first 2 shown]
	buffer_store_dword v4, off, s[28:31], 0 ; 4-byte Folded Spill
	s_nop 0
	buffer_store_dword v5, off, s[28:31], 0 offset:4 ; 4-byte Folded Spill
	s_add_i32 s22, s22, 32
	s_waitcnt vmcnt(6)
	v_add_u32_e32 v49, v1, v0
	v_add_u32_e32 v32, v3, v0
	v_add_u32_e32 v47, v6, v0
	v_add_u32_e32 v29, v2, v0
	buffer_load_dword v0, off, s[28:31], 0  ; 4-byte Folded Reload
	buffer_load_dword v1, off, s[28:31], 0 offset:4 ; 4-byte Folded Reload
	v_mov_b32_e32 v2, s5
	s_waitcnt vmcnt(0)
	global_load_dwordx4 v[4:7], v[0:1], off
	s_nop 0
	buffer_load_dword v0, off, s[28:31], 0  ; 4-byte Folded Reload
	buffer_load_dword v1, off, s[28:31], 0 offset:4 ; 4-byte Folded Reload
	s_waitcnt vmcnt(1)
	v_add_co_u32_e32 v12, vcc, s4, v0
	buffer_store_dword v2, off, s[28:31], 0 offset:12 ; 4-byte Folded Spill
	buffer_load_dword v0, off, s[28:31], 0  ; 4-byte Folded Reload
	buffer_load_dword v1, off, s[28:31], 0 offset:4 ; 4-byte Folded Reload
	v_sub_u32_sdwa v8, v4, v49 dst_sel:DWORD dst_unused:UNUSED_PAD src0_sel:BYTE_0 src1_sel:DWORD
	v_cvt_f32_i32_e32 v8, v8
	v_cvt_f16_f32_e32 v59, v8
	v_sub_u32_sdwa v8, v4, v49 dst_sel:DWORD dst_unused:UNUSED_PAD src0_sel:BYTE_1 src1_sel:DWORD
	v_cvt_f32_i32_e32 v8, v8
	v_cvt_f16_f32_e32 v27, v8
	v_sub_u32_sdwa v8, v4, v49 dst_sel:DWORD dst_unused:UNUSED_PAD src0_sel:BYTE_2 src1_sel:DWORD
	v_sub_u32_sdwa v4, v4, v49 dst_sel:DWORD dst_unused:UNUSED_PAD src0_sel:BYTE_3 src1_sel:DWORD
	v_cvt_f32_i32_e32 v4, v4
	v_cvt_f32_i32_e32 v8, v8
	v_cvt_f16_f32_e32 v15, v4
	v_cvt_f16_f32_e32 v20, v8
	s_waitcnt vmcnt(0)
	v_addc_co_u32_e32 v13, vcc, v1, v2, vcc
	global_load_dwordx4 v[0:3], v[12:13], off
	v_add_co_u32_e32 v12, vcc, s4, v12
	s_waitcnt vmcnt(0)
	v_sub_u32_sdwa v4, v0, v49 dst_sel:DWORD dst_unused:UNUSED_PAD src0_sel:BYTE_0 src1_sel:DWORD
	v_cvt_f32_i32_e32 v4, v4
	v_cvt_f16_f32_e32 v14, v4
	v_sub_u32_sdwa v4, v0, v49 dst_sel:DWORD dst_unused:UNUSED_PAD src0_sel:BYTE_1 src1_sel:DWORD
	v_cvt_f32_i32_e32 v4, v4
	v_cvt_f16_f32_e32 v25, v4
	v_sub_u32_sdwa v4, v0, v49 dst_sel:DWORD dst_unused:UNUSED_PAD src0_sel:BYTE_2 src1_sel:DWORD
	v_sub_u32_sdwa v0, v0, v49 dst_sel:DWORD dst_unused:UNUSED_PAD src0_sel:BYTE_3 src1_sel:DWORD
	v_cvt_f32_i32_e32 v0, v0
	v_cvt_f32_i32_e32 v4, v4
	v_cvt_f16_f32_e32 v28, v0
	v_sub_u32_sdwa v0, v5, v32 dst_sel:DWORD dst_unused:UNUSED_PAD src0_sel:BYTE_0 src1_sel:DWORD
	v_cvt_f32_i32_e32 v0, v0
	v_cvt_f16_f32_e32 v26, v4
	v_cvt_f16_f32_e32 v60, v0
	v_sub_u32_sdwa v0, v5, v32 dst_sel:DWORD dst_unused:UNUSED_PAD src0_sel:BYTE_1 src1_sel:DWORD
	v_cvt_f32_i32_e32 v0, v0
	v_cvt_f16_f32_e32 v39, v0
	v_sub_u32_sdwa v0, v5, v32 dst_sel:DWORD dst_unused:UNUSED_PAD src0_sel:BYTE_2 src1_sel:DWORD
	v_cvt_f32_i32_e32 v0, v0
	v_cvt_f16_f32_e32 v42, v0
	v_sub_u32_sdwa v0, v5, v32 dst_sel:DWORD dst_unused:UNUSED_PAD src0_sel:BYTE_3 src1_sel:DWORD
	v_cvt_f32_i32_e32 v0, v0
	v_cvt_f16_f32_e32 v43, v0
	v_sub_u32_sdwa v0, v1, v32 dst_sel:DWORD dst_unused:UNUSED_PAD src0_sel:BYTE_0 src1_sel:DWORD
	v_cvt_f32_i32_e32 v0, v0
	v_cvt_f16_f32_e32 v40, v0
	v_sub_u32_sdwa v0, v1, v32 dst_sel:DWORD dst_unused:UNUSED_PAD src0_sel:BYTE_1 src1_sel:DWORD
	v_cvt_f32_i32_e32 v0, v0
	v_cvt_f16_f32_e32 v44, v0
	v_sub_u32_sdwa v0, v1, v32 dst_sel:DWORD dst_unused:UNUSED_PAD src0_sel:BYTE_2 src1_sel:DWORD
	v_cvt_f32_i32_e32 v0, v0
	v_cvt_f16_f32_e32 v31, v0
	v_sub_u32_sdwa v0, v1, v32 dst_sel:DWORD dst_unused:UNUSED_PAD src0_sel:BYTE_3 src1_sel:DWORD
	v_cvt_f32_i32_e32 v0, v0
	v_cvt_f16_f32_e32 v45, v0
	v_sub_u32_sdwa v0, v6, v47 dst_sel:DWORD dst_unused:UNUSED_PAD src0_sel:BYTE_0 src1_sel:DWORD
	v_cvt_f32_i32_e32 v0, v0
	;; [unrolled: 12-line block ×5, first 2 shown]
	v_cvt_f16_f32_e32 v37, v0
	v_sub_u32_sdwa v0, v3, v29 dst_sel:DWORD dst_unused:UNUSED_PAD src0_sel:BYTE_1 src1_sel:DWORD
	v_cvt_f32_i32_e32 v0, v0
	v_cvt_f16_f32_e32 v57, v0
	v_sub_u32_sdwa v0, v3, v29 dst_sel:DWORD dst_unused:UNUSED_PAD src0_sel:BYTE_2 src1_sel:DWORD
	v_cvt_f32_i32_e32 v0, v0
	v_cvt_f16_f32_e32 v58, v0
	v_sub_u32_sdwa v0, v3, v29 dst_sel:DWORD dst_unused:UNUSED_PAD src0_sel:BYTE_3 src1_sel:DWORD
	v_cvt_f32_i32_e32 v0, v0
	v_cvt_f16_f32_e32 v34, v0
	ds_read_b128 v[21:24], v63
	ds_read_b128 v[8:11], v63 offset:16
	ds_read_b128 v[4:7], v63 offset:32
	;; [unrolled: 1-line block ×3, first 2 shown]
	s_waitcnt lgkmcnt(3)
	v_fma_mix_f32 v17, v59, v21, 0 op_sel_hi:[1,1,0]
	v_fma_mix_f32 v17, v27, v21, v17 op_sel:[0,1,0] op_sel_hi:[1,1,0]
	v_fma_mix_f32 v17, v20, v22, v17 op_sel_hi:[1,1,0]
	v_fma_mix_f32 v17, v15, v22, v17 op_sel:[0,1,0] op_sel_hi:[1,1,0]
	;; [unrolled: 2-line block ×4, first 2 shown]
	v_fma_mixlo_f16 v17, v17, v55, 0 op_sel_hi:[0,1,0]
	v_add_f16_e32 v17, v16, v17
	buffer_store_dword v17, off, s[28:31], 0 offset:24 ; 4-byte Folded Spill
	v_fma_mix_f32 v17, v60, v21, 0 op_sel_hi:[1,1,0]
	v_fma_mix_f32 v17, v39, v21, v17 op_sel:[0,1,0] op_sel_hi:[1,1,0]
	v_fma_mix_f32 v17, v42, v22, v17 op_sel_hi:[1,1,0]
	v_fma_mix_f32 v17, v43, v22, v17 op_sel:[0,1,0] op_sel_hi:[1,1,0]
	;; [unrolled: 2-line block ×4, first 2 shown]
	v_fma_mixlo_f16 v17, v17, v55, 0 op_sel:[0,1,0] op_sel_hi:[0,1,0]
	v_add_f16_sdwa v16, v16, v17 dst_sel:DWORD dst_unused:UNUSED_PAD src0_sel:WORD_1 src1_sel:DWORD
	buffer_store_dword v16, off, s[28:31], 0 offset:28 ; 4-byte Folded Spill
	v_fma_mix_f32 v16, v61, v21, 0 op_sel_hi:[1,1,0]
	v_fma_mix_f32 v16, v48, v21, v16 op_sel:[0,1,0] op_sel_hi:[1,1,0]
	v_fma_mix_f32 v16, v30, v22, v16 op_sel_hi:[1,1,0]
	v_fma_mix_f32 v16, v46, v22, v16 op_sel:[0,1,0] op_sel_hi:[1,1,0]
	;; [unrolled: 2-line block ×4, first 2 shown]
	v_fma_mixlo_f16 v16, v16, v56, 0 op_sel_hi:[0,1,0]
	v_add_f16_e32 v16, v62, v16
	buffer_store_dword v16, off, s[28:31], 0 offset:32 ; 4-byte Folded Spill
	v_fma_mix_f32 v16, v33, v21, 0 op_sel_hi:[1,1,0]
	v_fma_mix_f32 v16, v41, v21, v16 op_sel:[0,1,0] op_sel_hi:[1,1,0]
	v_fma_mix_f32 v16, v36, v22, v16 op_sel_hi:[1,1,0]
	v_fma_mix_f32 v16, v50, v22, v16 op_sel:[0,1,0] op_sel_hi:[1,1,0]
	;; [unrolled: 2-line block ×4, first 2 shown]
	v_fma_mixlo_f16 v16, v16, v56, 0 op_sel:[0,1,0] op_sel_hi:[0,1,0]
	v_add_f16_sdwa v62, v62, v16 dst_sel:DWORD dst_unused:UNUSED_PAD src0_sel:WORD_1 src1_sel:DWORD
	ds_read_b128 v[16:19], v63 offset:256
	s_waitcnt lgkmcnt(0)
	v_fma_mix_f32 v21, v59, v16, 0 op_sel_hi:[1,1,0]
	v_fma_mix_f32 v21, v27, v16, v21 op_sel:[0,1,0] op_sel_hi:[1,1,0]
	v_fma_mix_f32 v21, v20, v17, v21 op_sel_hi:[1,1,0]
	v_fma_mix_f32 v15, v15, v17, v21 op_sel:[0,1,0] op_sel_hi:[1,1,0]
	;; [unrolled: 2-line block ×4, first 2 shown]
	v_fma_mixlo_f16 v14, v14, v55, 0 op_sel_hi:[0,1,0]
	v_add_f16_e32 v23, v38, v14
	v_fma_mix_f32 v14, v60, v16, 0 op_sel_hi:[1,1,0]
	v_fma_mix_f32 v14, v39, v16, v14 op_sel:[0,1,0] op_sel_hi:[1,1,0]
	v_fma_mix_f32 v14, v42, v17, v14 op_sel_hi:[1,1,0]
	v_fma_mix_f32 v14, v43, v17, v14 op_sel:[0,1,0] op_sel_hi:[1,1,0]
	;; [unrolled: 2-line block ×4, first 2 shown]
	v_fma_mixlo_f16 v14, v14, v55, 0 op_sel:[0,1,0] op_sel_hi:[0,1,0]
	v_add_f16_sdwa v14, v38, v14 dst_sel:DWORD dst_unused:UNUSED_PAD src0_sel:WORD_1 src1_sel:DWORD
	buffer_load_dword v38, off, s[28:31], 0 offset:12 ; 4-byte Folded Reload
	buffer_load_dword v20, off, s[28:31], 0 offset:24 ; 4-byte Folded Reload
	v_fma_mix_f32 v15, v61, v16, 0 op_sel_hi:[1,1,0]
	v_fma_mix_f32 v21, v33, v16, 0 op_sel_hi:[1,1,0]
	v_fma_mix_f32 v15, v48, v16, v15 op_sel:[0,1,0] op_sel_hi:[1,1,0]
	v_fma_mix_f32 v16, v41, v16, v21 op_sel:[0,1,0] op_sel_hi:[1,1,0]
	v_fma_mix_f32 v16, v36, v17, v16 op_sel_hi:[1,1,0]
	v_fma_mix_f32 v16, v50, v17, v16 op_sel:[0,1,0] op_sel_hi:[1,1,0]
	v_fma_mix_f32 v16, v37, v18, v16 op_sel_hi:[1,1,0]
	v_fma_mix_f32 v15, v30, v17, v15 op_sel_hi:[1,1,0]
	v_fma_mix_f32 v16, v57, v18, v16 op_sel:[0,1,0] op_sel_hi:[1,1,0]
	v_fma_mix_f32 v15, v46, v17, v15 op_sel:[0,1,0] op_sel_hi:[1,1,0]
	v_fma_mix_f32 v16, v58, v19, v16 op_sel_hi:[1,1,0]
	v_fma_mix_f32 v15, v51, v18, v15 op_sel_hi:[1,1,0]
	v_fma_mix_f32 v16, v34, v19, v16 op_sel:[0,1,0] op_sel_hi:[1,1,0]
	v_fma_mix_f32 v15, v52, v18, v15 op_sel:[0,1,0] op_sel_hi:[1,1,0]
	v_fma_mixlo_f16 v16, v16, v56, 0 op_sel:[0,1,0] op_sel_hi:[0,1,0]
	v_fma_mix_f32 v15, v53, v19, v15 op_sel_hi:[1,1,0]
	v_add_f16_sdwa v16, v35, v16 dst_sel:DWORD dst_unused:UNUSED_PAD src0_sel:WORD_1 src1_sel:DWORD
	v_fma_mix_f32 v15, v54, v19, v15 op_sel:[0,1,0] op_sel_hi:[1,1,0]
	buffer_store_dword v16, off, s[28:31], 0 offset:8 ; 4-byte Folded Spill
	v_fma_mixlo_f16 v15, v15, v56, 0 op_sel_hi:[0,1,0]
	buffer_store_dword v14, off, s[28:31], 0 offset:16 ; 4-byte Folded Spill
	v_add_f16_e32 v14, v35, v15
	buffer_store_dword v14, off, s[28:31], 0 offset:20 ; 4-byte Folded Spill
	v_mov_b32_e32 v31, v32
	v_mov_b32_e32 v41, v49
	v_mov_b32_e32 v25, v29
	v_mov_b32_e32 v33, v47
	v_mov_b32_e32 v48, s6
	s_waitcnt vmcnt(4)
	v_addc_co_u32_e32 v13, vcc, v13, v38, vcc
	global_load_dwordx4 v[16:19], v[12:13], off
	v_add_co_u32_e32 v12, vcc, s4, v12
	v_addc_co_u32_e32 v13, vcc, v13, v38, vcc
	global_load_dwordx4 v[34:37], v[12:13], off
	s_waitcnt vmcnt(1)
	v_sub_u32_sdwa v21, v16, v49 dst_sel:DWORD dst_unused:UNUSED_PAD src0_sel:BYTE_0 src1_sel:DWORD
	v_cvt_f32_i32_e32 v21, v21
	v_cvt_f16_f32_e32 v46, v21
	v_sub_u32_sdwa v21, v16, v49 dst_sel:DWORD dst_unused:UNUSED_PAD src0_sel:BYTE_1 src1_sel:DWORD
	v_cvt_f32_i32_e32 v21, v21
	v_cvt_f16_f32_e32 v14, v21
	v_sub_u32_sdwa v21, v16, v49 dst_sel:DWORD dst_unused:UNUSED_PAD src0_sel:BYTE_2 src1_sel:DWORD
	v_sub_u32_sdwa v16, v16, v49 dst_sel:DWORD dst_unused:UNUSED_PAD src0_sel:BYTE_3 src1_sel:DWORD
	v_cvt_f32_i32_e32 v16, v16
	v_cvt_f32_i32_e32 v21, v21
	v_cvt_f16_f32_e32 v28, v16
	s_waitcnt vmcnt(0)
	v_sub_u32_sdwa v16, v34, v49 dst_sel:DWORD dst_unused:UNUSED_PAD src0_sel:BYTE_0 src1_sel:DWORD
	v_cvt_f32_i32_e32 v16, v16
	v_cvt_f16_f32_e32 v26, v21
	v_cvt_f16_f32_e32 v42, v16
	v_sub_u32_sdwa v16, v34, v49 dst_sel:DWORD dst_unused:UNUSED_PAD src0_sel:BYTE_1 src1_sel:DWORD
	v_cvt_f32_i32_e32 v16, v16
	v_cvt_f16_f32_e32 v43, v16
	v_sub_u32_sdwa v16, v34, v49 dst_sel:DWORD dst_unused:UNUSED_PAD src0_sel:BYTE_2 src1_sel:DWORD
	v_cvt_f32_i32_e32 v16, v16
	v_cvt_f16_f32_e32 v44, v16
	v_sub_u32_sdwa v16, v34, v49 dst_sel:DWORD dst_unused:UNUSED_PAD src0_sel:BYTE_3 src1_sel:DWORD
	v_cvt_f32_i32_e32 v16, v16
	v_cvt_f16_f32_e32 v34, v16
	v_sub_u32_sdwa v16, v17, v32 dst_sel:DWORD dst_unused:UNUSED_PAD src0_sel:BYTE_0 src1_sel:DWORD
	v_cvt_f32_i32_e32 v16, v16
	v_cvt_f16_f32_e32 v39, v16
	v_sub_u32_sdwa v16, v17, v32 dst_sel:DWORD dst_unused:UNUSED_PAD src0_sel:BYTE_1 src1_sel:DWORD
	v_cvt_f32_i32_e32 v16, v16
	v_cvt_f16_f32_e32 v60, v16
	v_sub_u32_sdwa v16, v17, v32 dst_sel:DWORD dst_unused:UNUSED_PAD src0_sel:BYTE_2 src1_sel:DWORD
	v_cvt_f32_i32_e32 v16, v16
	v_cvt_f16_f32_e32 v45, v16
	v_sub_u32_sdwa v16, v17, v32 dst_sel:DWORD dst_unused:UNUSED_PAD src0_sel:BYTE_3 src1_sel:DWORD
	v_cvt_f32_i32_e32 v16, v16
	v_sub_u32_sdwa v17, v19, v29 dst_sel:DWORD dst_unused:UNUSED_PAD src0_sel:BYTE_3 src1_sel:DWORD
	v_cvt_f32_i32_e32 v17, v17
	v_cvt_f16_f32_e32 v61, v16
	v_sub_u32_sdwa v16, v35, v32 dst_sel:DWORD dst_unused:UNUSED_PAD src0_sel:BYTE_0 src1_sel:DWORD
	v_cvt_f32_i32_e32 v16, v16
	v_cvt_f16_f32_e32 v50, v16
	v_sub_u32_sdwa v16, v35, v32 dst_sel:DWORD dst_unused:UNUSED_PAD src0_sel:BYTE_1 src1_sel:DWORD
	v_cvt_f32_i32_e32 v16, v16
	v_cvt_f16_f32_e32 v30, v16
	v_sub_u32_sdwa v16, v35, v32 dst_sel:DWORD dst_unused:UNUSED_PAD src0_sel:BYTE_2 src1_sel:DWORD
	v_cvt_f32_i32_e32 v16, v16
	v_cvt_f16_f32_e32 v40, v16
	v_sub_u32_sdwa v16, v35, v32 dst_sel:DWORD dst_unused:UNUSED_PAD src0_sel:BYTE_3 src1_sel:DWORD
	v_cvt_f32_i32_e32 v16, v16
	v_cvt_f16_f32_e32 v51, v16
	v_sub_u32_sdwa v16, v18, v47 dst_sel:DWORD dst_unused:UNUSED_PAD src0_sel:BYTE_0 src1_sel:DWORD
	v_cvt_f32_i32_e32 v16, v16
	v_cvt_f16_f32_e32 v32, v16
	v_sub_u32_sdwa v16, v18, v47 dst_sel:DWORD dst_unused:UNUSED_PAD src0_sel:BYTE_1 src1_sel:DWORD
	v_cvt_f32_i32_e32 v16, v16
	v_cvt_f16_f32_e32 v49, v16
	v_sub_u32_sdwa v16, v18, v47 dst_sel:DWORD dst_unused:UNUSED_PAD src0_sel:BYTE_2 src1_sel:DWORD
	v_cvt_f32_i32_e32 v16, v16
	v_cvt_f16_f32_e32 v57, v16
	v_sub_u32_sdwa v16, v18, v47 dst_sel:DWORD dst_unused:UNUSED_PAD src0_sel:BYTE_3 src1_sel:DWORD
	v_cvt_f32_i32_e32 v16, v16
	v_cvt_f16_f32_e32 v18, v17
	v_sub_u32_sdwa v17, v37, v29 dst_sel:DWORD dst_unused:UNUSED_PAD src0_sel:BYTE_0 src1_sel:DWORD
	v_cvt_f32_i32_e32 v17, v17
	v_cvt_f16_f32_e32 v58, v16
	v_sub_u32_sdwa v16, v36, v47 dst_sel:DWORD dst_unused:UNUSED_PAD src0_sel:BYTE_0 src1_sel:DWORD
	v_cvt_f32_i32_e32 v16, v16
	v_cvt_f16_f32_e32 v59, v16
	v_sub_u32_sdwa v16, v36, v47 dst_sel:DWORD dst_unused:UNUSED_PAD src0_sel:BYTE_1 src1_sel:DWORD
	v_cvt_f32_i32_e32 v16, v16
	v_cvt_f16_f32_e32 v21, v16
	v_sub_u32_sdwa v16, v36, v47 dst_sel:DWORD dst_unused:UNUSED_PAD src0_sel:BYTE_2 src1_sel:DWORD
	v_cvt_f32_i32_e32 v16, v16
	v_cvt_f16_f32_e32 v35, v16
	v_sub_u32_sdwa v16, v36, v47 dst_sel:DWORD dst_unused:UNUSED_PAD src0_sel:BYTE_3 src1_sel:DWORD
	v_cvt_f32_i32_e32 v16, v16
	v_cvt_f16_f32_e32 v36, v16
	v_sub_u32_sdwa v16, v19, v29 dst_sel:DWORD dst_unused:UNUSED_PAD src0_sel:BYTE_0 src1_sel:DWORD
	v_cvt_f32_i32_e32 v16, v16
	v_cvt_f16_f32_e32 v63, v16
	v_sub_u32_sdwa v16, v19, v29 dst_sel:DWORD dst_unused:UNUSED_PAD src0_sel:BYTE_1 src1_sel:DWORD
	v_cvt_f32_i32_e32 v16, v16
	v_cvt_f16_f32_e32 v24, v16
	v_sub_u32_sdwa v16, v19, v29 dst_sel:DWORD dst_unused:UNUSED_PAD src0_sel:BYTE_2 src1_sel:DWORD
	v_cvt_f16_f32_e32 v19, v17
	v_sub_u32_sdwa v17, v37, v29 dst_sel:DWORD dst_unused:UNUSED_PAD src0_sel:BYTE_1 src1_sel:DWORD
	v_cvt_f32_i32_e32 v17, v17
	v_cvt_f32_i32_e32 v16, v16
	v_cvt_f16_f32_e32 v27, v17
	v_sub_u32_sdwa v17, v37, v29 dst_sel:DWORD dst_unused:UNUSED_PAD src0_sel:BYTE_2 src1_sel:DWORD
	v_cvt_f32_i32_e32 v17, v17
	v_cvt_f16_f32_e32 v16, v16
	v_cvt_f16_f32_e32 v15, v17
	v_sub_u32_sdwa v17, v37, v29 dst_sel:DWORD dst_unused:UNUSED_PAD src0_sel:BYTE_3 src1_sel:DWORD
	v_fma_mix_f32 v29, v46, v8, 0 op_sel_hi:[1,1,0]
	v_fma_mix_f32 v29, v14, v8, v29 op_sel:[0,1,0] op_sel_hi:[1,1,0]
	v_fma_mix_f32 v29, v26, v9, v29 op_sel_hi:[1,1,0]
	v_fma_mix_f32 v29, v28, v9, v29 op_sel:[0,1,0] op_sel_hi:[1,1,0]
	;; [unrolled: 2-line block ×4, first 2 shown]
	v_fma_mixlo_f16 v29, v29, v55, 0 op_sel_hi:[0,1,0]
	v_add_f16_e32 v47, v20, v29
	buffer_load_dword v29, off, s[28:31], 0 offset:28 ; 4-byte Folded Reload
	v_fma_mix_f32 v20, v39, v8, 0 op_sel_hi:[1,1,0]
	v_fma_mix_f32 v20, v60, v8, v20 op_sel:[0,1,0] op_sel_hi:[1,1,0]
	v_fma_mix_f32 v20, v45, v9, v20 op_sel_hi:[1,1,0]
	v_fma_mix_f32 v20, v61, v9, v20 op_sel:[0,1,0] op_sel_hi:[1,1,0]
	;; [unrolled: 2-line block ×4, first 2 shown]
	v_fma_mixlo_f16 v20, v20, v55, 0 op_sel:[0,1,0] op_sel_hi:[0,1,0]
	v_cvt_f32_i32_e32 v17, v17
	v_cvt_f16_f32_e32 v17, v17
	s_waitcnt vmcnt(0)
	v_add_f16_e32 v37, v29, v20
	buffer_load_dword v29, off, s[28:31], 0 offset:32 ; 4-byte Folded Reload
	v_fma_mix_f32 v20, v32, v8, 0 op_sel_hi:[1,1,0]
	v_fma_mix_f32 v20, v49, v8, v20 op_sel:[0,1,0] op_sel_hi:[1,1,0]
	v_fma_mix_f32 v20, v57, v9, v20 op_sel_hi:[1,1,0]
	v_fma_mix_f32 v20, v58, v9, v20 op_sel:[0,1,0] op_sel_hi:[1,1,0]
	;; [unrolled: 2-line block ×4, first 2 shown]
	v_fma_mixlo_f16 v20, v20, v56, 0 op_sel_hi:[0,1,0]
	s_waitcnt vmcnt(0)
	v_add_f16_e32 v20, v29, v20
	buffer_store_dword v20, off, s[28:31], 0 offset:24 ; 4-byte Folded Spill
	v_fma_mix_f32 v20, v63, v8, 0 op_sel_hi:[1,1,0]
	v_fma_mix_f32 v8, v24, v8, v20 op_sel:[0,1,0] op_sel_hi:[1,1,0]
	v_fma_mix_f32 v8, v16, v9, v8 op_sel_hi:[1,1,0]
	v_fma_mix_f32 v8, v18, v9, v8 op_sel:[0,1,0] op_sel_hi:[1,1,0]
	;; [unrolled: 2-line block ×4, first 2 shown]
	v_fma_mixlo_f16 v8, v8, v56, 0 op_sel:[0,1,0] op_sel_hi:[0,1,0]
	v_add_f16_e32 v20, v62, v8
	ds_read_b128 v[8:11], v48 offset:272
	s_waitcnt lgkmcnt(0)
	v_fma_mix_f32 v29, v46, v8, 0 op_sel_hi:[1,1,0]
	v_fma_mix_f32 v29, v14, v8, v29 op_sel:[0,1,0] op_sel_hi:[1,1,0]
	buffer_load_dword v14, off, s[28:31], 0 offset:16 ; 4-byte Folded Reload
	v_fma_mix_f32 v29, v26, v9, v29 op_sel_hi:[1,1,0]
	v_fma_mix_f32 v29, v28, v9, v29 op_sel:[0,1,0] op_sel_hi:[1,1,0]
	v_fma_mix_f32 v29, v42, v10, v29 op_sel_hi:[1,1,0]
	v_fma_mix_f32 v29, v43, v10, v29 op_sel:[0,1,0] op_sel_hi:[1,1,0]
	;; [unrolled: 2-line block ×3, first 2 shown]
	v_fma_mixlo_f16 v29, v29, v55, 0 op_sel_hi:[0,1,0]
	v_add_f16_e32 v46, v23, v29
	v_fma_mix_f32 v23, v39, v8, 0 op_sel_hi:[1,1,0]
	v_fma_mix_f32 v23, v60, v8, v23 op_sel:[0,1,0] op_sel_hi:[1,1,0]
	v_fma_mix_f32 v23, v45, v9, v23 op_sel_hi:[1,1,0]
	v_fma_mix_f32 v23, v61, v9, v23 op_sel:[0,1,0] op_sel_hi:[1,1,0]
	;; [unrolled: 2-line block ×4, first 2 shown]
	v_fma_mixlo_f16 v23, v23, v55, 0 op_sel:[0,1,0] op_sel_hi:[0,1,0]
	buffer_load_dword v34, off, s[28:31], 0 offset:24 ; 4-byte Folded Reload
	s_waitcnt vmcnt(1)
	v_add_f16_e32 v26, v14, v23
	v_fma_mix_f32 v14, v32, v8, 0 op_sel_hi:[1,1,0]
	v_fma_mix_f32 v14, v49, v8, v14 op_sel:[0,1,0] op_sel_hi:[1,1,0]
	v_fma_mix_f32 v14, v57, v9, v14 op_sel_hi:[1,1,0]
	v_fma_mix_f32 v14, v58, v9, v14 op_sel:[0,1,0] op_sel_hi:[1,1,0]
	;; [unrolled: 2-line block ×3, first 2 shown]
	buffer_load_dword v21, off, s[28:31], 0 offset:20 ; 4-byte Folded Reload
	v_fma_mix_f32 v14, v35, v11, v14 op_sel_hi:[1,1,0]
	v_fma_mix_f32 v14, v36, v11, v14 op_sel:[0,1,0] op_sel_hi:[1,1,0]
	v_fma_mixlo_f16 v14, v14, v56, 0 op_sel_hi:[0,1,0]
	s_waitcnt vmcnt(0)
	v_add_f16_e32 v30, v21, v14
	v_fma_mix_f32 v14, v63, v8, 0 op_sel_hi:[1,1,0]
	v_fma_mix_f32 v8, v24, v8, v14 op_sel:[0,1,0] op_sel_hi:[1,1,0]
	v_fma_mix_f32 v8, v16, v9, v8 op_sel_hi:[1,1,0]
	v_fma_mix_f32 v8, v18, v9, v8 op_sel:[0,1,0] op_sel_hi:[1,1,0]
	buffer_load_dword v9, off, s[28:31], 0 offset:8 ; 4-byte Folded Reload
	v_fma_mix_f32 v8, v19, v10, v8 op_sel_hi:[1,1,0]
	v_fma_mix_f32 v8, v27, v10, v8 op_sel:[0,1,0] op_sel_hi:[1,1,0]
	v_fma_mix_f32 v8, v15, v11, v8 op_sel_hi:[1,1,0]
	v_fma_mix_f32 v8, v17, v11, v8 op_sel:[0,1,0] op_sel_hi:[1,1,0]
	v_fma_mixlo_f16 v8, v8, v56, 0 op_sel:[0,1,0] op_sel_hi:[0,1,0]
	s_waitcnt vmcnt(0)
	v_add_f16_e32 v44, v9, v8
	v_add_co_u32_e32 v8, vcc, s4, v12
	v_addc_co_u32_e32 v9, vcc, v13, v38, vcc
	v_add_co_u32_e32 v22, vcc, s4, v8
	v_addc_co_u32_e32 v23, vcc, v9, v38, vcc
	global_load_dwordx4 v[12:15], v[8:9], off
	s_waitcnt vmcnt(0)
	v_sub_u32_sdwa v18, v12, v41 dst_sel:DWORD dst_unused:UNUSED_PAD src0_sel:BYTE_1 src1_sel:DWORD
	global_load_dwordx4 v[8:11], v[22:23], off
	v_cvt_f32_i32_e32 v18, v18
	v_sub_u32_sdwa v17, v12, v41 dst_sel:DWORD dst_unused:UNUSED_PAD src0_sel:BYTE_0 src1_sel:DWORD
	v_cvt_f32_i32_e32 v17, v17
	v_cvt_f16_f32_e32 v24, v18
	v_sub_u32_sdwa v18, v12, v41 dst_sel:DWORD dst_unused:UNUSED_PAD src0_sel:BYTE_2 src1_sel:DWORD
	v_sub_u32_sdwa v12, v12, v41 dst_sel:DWORD dst_unused:UNUSED_PAD src0_sel:BYTE_3 src1_sel:DWORD
	v_cvt_f32_i32_e32 v12, v12
	v_cvt_f16_f32_e32 v17, v17
	v_cvt_f32_i32_e32 v18, v18
	v_cvt_f16_f32_e32 v16, v12
	v_cvt_f16_f32_e32 v18, v18
	s_waitcnt vmcnt(0)
	v_sub_u32_sdwa v21, v8, v41 dst_sel:DWORD dst_unused:UNUSED_PAD src0_sel:BYTE_1 src1_sel:DWORD
	v_cvt_f32_i32_e32 v21, v21
	v_sub_u32_sdwa v19, v8, v41 dst_sel:DWORD dst_unused:UNUSED_PAD src0_sel:BYTE_0 src1_sel:DWORD
	v_cvt_f32_i32_e32 v19, v19
	v_cvt_f16_f32_e32 v27, v21
	v_sub_u32_sdwa v21, v8, v41 dst_sel:DWORD dst_unused:UNUSED_PAD src0_sel:BYTE_2 src1_sel:DWORD
	v_cvt_f32_i32_e32 v21, v21
	v_sub_u32_sdwa v8, v8, v41 dst_sel:DWORD dst_unused:UNUSED_PAD src0_sel:BYTE_3 src1_sel:DWORD
	v_cvt_f32_i32_e32 v8, v8
	v_cvt_f16_f32_e32 v19, v19
	v_cvt_f16_f32_e32 v28, v21
	v_sub_u32_sdwa v21, v13, v31 dst_sel:DWORD dst_unused:UNUSED_PAD src0_sel:BYTE_0 src1_sel:DWORD
	v_cvt_f32_i32_e32 v21, v21
	v_cvt_f16_f32_e32 v12, v8
	v_cvt_f16_f32_e32 v39, v21
	v_sub_u32_sdwa v21, v13, v31 dst_sel:DWORD dst_unused:UNUSED_PAD src0_sel:BYTE_1 src1_sel:DWORD
	v_cvt_f32_i32_e32 v21, v21
	v_fma_mix_f32 v29, v39, v4, 0 op_sel_hi:[1,1,0]
	v_cvt_f16_f32_e32 v43, v21
	v_sub_u32_sdwa v21, v13, v31 dst_sel:DWORD dst_unused:UNUSED_PAD src0_sel:BYTE_2 src1_sel:DWORD
	v_cvt_f32_i32_e32 v21, v21
	v_sub_u32_sdwa v13, v13, v31 dst_sel:DWORD dst_unused:UNUSED_PAD src0_sel:BYTE_3 src1_sel:DWORD
	v_cvt_f32_i32_e32 v13, v13
	v_fma_mix_f32 v29, v43, v4, v29 op_sel:[0,1,0] op_sel_hi:[1,1,0]
	v_cvt_f16_f32_e32 v42, v21
	v_sub_u32_sdwa v21, v9, v31 dst_sel:DWORD dst_unused:UNUSED_PAD src0_sel:BYTE_0 src1_sel:DWORD
	v_cvt_f32_i32_e32 v21, v21
	v_cvt_f16_f32_e32 v13, v13
	v_fma_mix_f32 v29, v42, v5, v29 op_sel_hi:[1,1,0]
	v_cvt_f16_f32_e32 v40, v21
	v_sub_u32_sdwa v21, v9, v31 dst_sel:DWORD dst_unused:UNUSED_PAD src0_sel:BYTE_1 src1_sel:DWORD
	v_cvt_f32_i32_e32 v21, v21
	v_fma_mix_f32 v29, v13, v5, v29 op_sel:[0,1,0] op_sel_hi:[1,1,0]
	v_fma_mix_f32 v29, v40, v6, v29 op_sel_hi:[1,1,0]
	v_cvt_f16_f32_e32 v62, v21
	v_sub_u32_sdwa v21, v9, v31 dst_sel:DWORD dst_unused:UNUSED_PAD src0_sel:BYTE_2 src1_sel:DWORD
	v_cvt_f32_i32_e32 v21, v21
	v_sub_u32_sdwa v9, v9, v31 dst_sel:DWORD dst_unused:UNUSED_PAD src0_sel:BYTE_3 src1_sel:DWORD
	v_cvt_f32_i32_e32 v9, v9
	v_fma_mix_f32 v29, v62, v6, v29 op_sel:[0,1,0] op_sel_hi:[1,1,0]
	v_cvt_f16_f32_e32 v32, v21
	v_sub_u32_sdwa v21, v14, v33 dst_sel:DWORD dst_unused:UNUSED_PAD src0_sel:BYTE_0 src1_sel:DWORD
	v_cvt_f32_i32_e32 v21, v21
	v_cvt_f16_f32_e32 v9, v9
	v_fma_mix_f32 v29, v32, v7, v29 op_sel_hi:[1,1,0]
	v_cvt_f16_f32_e32 v45, v21
	v_sub_u32_sdwa v21, v14, v33 dst_sel:DWORD dst_unused:UNUSED_PAD src0_sel:BYTE_1 src1_sel:DWORD
	v_cvt_f32_i32_e32 v21, v21
	v_fma_mix_f32 v29, v9, v7, v29 op_sel:[0,1,0] op_sel_hi:[1,1,0]
	v_fma_mixlo_f16 v29, v29, v55, 0 op_sel:[0,1,0] op_sel_hi:[0,1,0]
	v_add_f16_e32 v63, v37, v29
	v_cvt_f16_f32_e32 v8, v21
	v_sub_u32_sdwa v21, v14, v33 dst_sel:DWORD dst_unused:UNUSED_PAD src0_sel:BYTE_2 src1_sel:DWORD
	v_cvt_f32_i32_e32 v21, v21
	v_sub_u32_sdwa v14, v14, v33 dst_sel:DWORD dst_unused:UNUSED_PAD src0_sel:BYTE_3 src1_sel:DWORD
	v_cvt_f32_i32_e32 v14, v14
	v_fma_mix_f32 v29, v45, v4, 0 op_sel_hi:[1,1,0]
	v_cvt_f16_f32_e32 v61, v21
	v_sub_u32_sdwa v21, v10, v33 dst_sel:DWORD dst_unused:UNUSED_PAD src0_sel:BYTE_0 src1_sel:DWORD
	v_cvt_f32_i32_e32 v21, v21
	v_cvt_f16_f32_e32 v14, v14
	v_fma_mix_f32 v29, v8, v4, v29 op_sel:[0,1,0] op_sel_hi:[1,1,0]
	v_fma_mix_f32 v29, v61, v5, v29 op_sel_hi:[1,1,0]
	v_cvt_f16_f32_e32 v51, v21
	v_sub_u32_sdwa v21, v10, v33 dst_sel:DWORD dst_unused:UNUSED_PAD src0_sel:BYTE_1 src1_sel:DWORD
	v_cvt_f32_i32_e32 v21, v21
	v_fma_mix_f32 v29, v14, v5, v29 op_sel:[0,1,0] op_sel_hi:[1,1,0]
	v_fma_mix_f32 v29, v51, v6, v29 op_sel_hi:[1,1,0]
	v_cvt_f16_f32_e32 v52, v21
	v_sub_u32_sdwa v21, v10, v33 dst_sel:DWORD dst_unused:UNUSED_PAD src0_sel:BYTE_2 src1_sel:DWORD
	v_cvt_f32_i32_e32 v21, v21
	v_sub_u32_sdwa v10, v10, v33 dst_sel:DWORD dst_unused:UNUSED_PAD src0_sel:BYTE_3 src1_sel:DWORD
	v_cvt_f32_i32_e32 v10, v10
	v_fma_mix_f32 v29, v52, v6, v29 op_sel:[0,1,0] op_sel_hi:[1,1,0]
	v_cvt_f16_f32_e32 v53, v21
	v_sub_u32_sdwa v21, v15, v25 dst_sel:DWORD dst_unused:UNUSED_PAD src0_sel:BYTE_0 src1_sel:DWORD
	v_cvt_f32_i32_e32 v21, v21
	v_cvt_f16_f32_e32 v10, v10
	v_fma_mix_f32 v29, v53, v7, v29 op_sel_hi:[1,1,0]
	v_cvt_f16_f32_e32 v54, v21
	v_sub_u32_sdwa v21, v15, v25 dst_sel:DWORD dst_unused:UNUSED_PAD src0_sel:BYTE_1 src1_sel:DWORD
	v_cvt_f32_i32_e32 v21, v21
	v_fma_mix_f32 v29, v10, v7, v29 op_sel:[0,1,0] op_sel_hi:[1,1,0]
	v_fma_mixlo_f16 v29, v29, v56, 0 op_sel_hi:[0,1,0]
	v_add_f16_e32 v60, v34, v29
	v_cvt_f16_f32_e32 v49, v21
	v_sub_u32_sdwa v21, v15, v25 dst_sel:DWORD dst_unused:UNUSED_PAD src0_sel:BYTE_2 src1_sel:DWORD
	v_cvt_f32_i32_e32 v21, v21
	v_sub_u32_sdwa v15, v15, v25 dst_sel:DWORD dst_unused:UNUSED_PAD src0_sel:BYTE_3 src1_sel:DWORD
	v_cvt_f32_i32_e32 v15, v15
	v_fma_mix_f32 v29, v54, v4, 0 op_sel_hi:[1,1,0]
	v_cvt_f16_f32_e32 v50, v21
	v_sub_u32_sdwa v21, v11, v25 dst_sel:DWORD dst_unused:UNUSED_PAD src0_sel:BYTE_0 src1_sel:DWORD
	v_cvt_f32_i32_e32 v21, v21
	v_cvt_f16_f32_e32 v15, v15
	v_cvt_f16_f32_e32 v57, v21
	v_sub_u32_sdwa v21, v11, v25 dst_sel:DWORD dst_unused:UNUSED_PAD src0_sel:BYTE_1 src1_sel:DWORD
	v_cvt_f32_i32_e32 v21, v21
	v_cvt_f16_f32_e32 v58, v21
	v_sub_u32_sdwa v21, v11, v25 dst_sel:DWORD dst_unused:UNUSED_PAD src0_sel:BYTE_2 src1_sel:DWORD
	v_cvt_f32_i32_e32 v21, v21
	v_sub_u32_sdwa v11, v11, v25 dst_sel:DWORD dst_unused:UNUSED_PAD src0_sel:BYTE_3 src1_sel:DWORD
	v_cvt_f32_i32_e32 v11, v11
	v_cvt_f16_f32_e32 v59, v21
	v_fma_mix_f32 v21, v17, v4, 0 op_sel_hi:[1,1,0]
	v_fma_mix_f32 v21, v24, v4, v21 op_sel:[0,1,0] op_sel_hi:[1,1,0]
	v_fma_mix_f32 v4, v49, v4, v29 op_sel:[0,1,0] op_sel_hi:[1,1,0]
	v_fma_mix_f32 v4, v50, v5, v4 op_sel_hi:[1,1,0]
	v_cvt_f16_f32_e32 v11, v11
	v_fma_mix_f32 v4, v15, v5, v4 op_sel:[0,1,0] op_sel_hi:[1,1,0]
	v_mov_b32_e32 v29, s6
	v_fma_mix_f32 v4, v57, v6, v4 op_sel_hi:[1,1,0]
	ds_read_b128 v[34:37], v29 offset:288
	v_fma_mix_f32 v4, v58, v6, v4 op_sel:[0,1,0] op_sel_hi:[1,1,0]
	v_fma_mix_f32 v4, v59, v7, v4 op_sel_hi:[1,1,0]
	v_fma_mix_f32 v4, v11, v7, v4 op_sel:[0,1,0] op_sel_hi:[1,1,0]
	v_fma_mixlo_f16 v4, v4, v56, 0 op_sel:[0,1,0] op_sel_hi:[0,1,0]
	v_add_f16_e32 v20, v20, v4
	s_waitcnt lgkmcnt(0)
	v_fma_mix_f32 v4, v17, v34, 0 op_sel_hi:[1,1,0]
	v_fma_mix_f32 v4, v24, v34, v4 op_sel:[0,1,0] op_sel_hi:[1,1,0]
	v_fma_mix_f32 v4, v18, v35, v4 op_sel_hi:[1,1,0]
	v_fma_mix_f32 v4, v16, v35, v4 op_sel:[0,1,0] op_sel_hi:[1,1,0]
	;; [unrolled: 2-line block ×3, first 2 shown]
	v_fma_mix_f32 v21, v18, v5, v21 op_sel_hi:[1,1,0]
	v_fma_mix_f32 v4, v28, v37, v4 op_sel_hi:[1,1,0]
	v_fma_mix_f32 v21, v16, v5, v21 op_sel:[0,1,0] op_sel_hi:[1,1,0]
	v_fma_mix_f32 v4, v12, v37, v4 op_sel:[0,1,0] op_sel_hi:[1,1,0]
	v_fma_mix_f32 v21, v19, v6, v21 op_sel_hi:[1,1,0]
	v_fma_mixlo_f16 v4, v4, v55, 0 op_sel_hi:[0,1,0]
	v_fma_mix_f32 v21, v27, v6, v21 op_sel:[0,1,0] op_sel_hi:[1,1,0]
	v_add_f16_e32 v6, v46, v4
	v_fma_mix_f32 v4, v39, v34, 0 op_sel_hi:[1,1,0]
	v_fma_mix_f32 v4, v43, v34, v4 op_sel:[0,1,0] op_sel_hi:[1,1,0]
	v_fma_mix_f32 v4, v42, v35, v4 op_sel_hi:[1,1,0]
	v_fma_mix_f32 v4, v13, v35, v4 op_sel:[0,1,0] op_sel_hi:[1,1,0]
	;; [unrolled: 2-line block ×4, first 2 shown]
	v_fma_mix_f32 v21, v28, v7, v21 op_sel_hi:[1,1,0]
	v_fma_mixlo_f16 v4, v4, v55, 0 op_sel:[0,1,0] op_sel_hi:[0,1,0]
	v_fma_mix_f32 v21, v12, v7, v21 op_sel:[0,1,0] op_sel_hi:[1,1,0]
	v_add_f16_e32 v7, v26, v4
	v_fma_mix_f32 v4, v45, v34, 0 op_sel_hi:[1,1,0]
	v_fma_mix_f32 v4, v8, v34, v4 op_sel:[0,1,0] op_sel_hi:[1,1,0]
	v_fma_mix_f32 v5, v54, v34, 0 op_sel_hi:[1,1,0]
	v_fma_mix_f32 v4, v61, v35, v4 op_sel_hi:[1,1,0]
	v_fma_mix_f32 v5, v49, v34, v5 op_sel:[0,1,0] op_sel_hi:[1,1,0]
	v_add_co_u32_e32 v8, vcc, s4, v22
	v_fma_mix_f32 v4, v14, v35, v4 op_sel:[0,1,0] op_sel_hi:[1,1,0]
	v_fma_mix_f32 v5, v50, v35, v5 op_sel_hi:[1,1,0]
	v_addc_co_u32_e32 v9, vcc, v23, v38, vcc
	v_fma_mix_f32 v4, v51, v36, v4 op_sel_hi:[1,1,0]
	v_fma_mix_f32 v5, v15, v35, v5 op_sel:[0,1,0] op_sel_hi:[1,1,0]
	global_load_dwordx4 v[13:16], v[8:9], off
	v_add_co_u32_e32 v8, vcc, s4, v8
	v_fma_mix_f32 v4, v52, v36, v4 op_sel:[0,1,0] op_sel_hi:[1,1,0]
	v_addc_co_u32_e32 v9, vcc, v9, v38, vcc
	v_fma_mix_f32 v4, v53, v37, v4 op_sel_hi:[1,1,0]
	global_load_dwordx4 v[51:54], v[8:9], off
	v_fma_mix_f32 v5, v57, v36, v5 op_sel_hi:[1,1,0]
	v_fma_mix_f32 v5, v58, v36, v5 op_sel:[0,1,0] op_sel_hi:[1,1,0]
	v_fma_mix_f32 v5, v59, v37, v5 op_sel_hi:[1,1,0]
	v_fma_mix_f32 v4, v10, v37, v4 op_sel:[0,1,0] op_sel_hi:[1,1,0]
	v_fma_mix_f32 v5, v11, v37, v5 op_sel:[0,1,0] op_sel_hi:[1,1,0]
	v_fma_mixlo_f16 v4, v4, v56, 0 op_sel_hi:[0,1,0]
	v_add_f16_e32 v4, v30, v4
	v_fma_mixlo_f16 v21, v21, v55, 0 op_sel_hi:[0,1,0]
	v_add_f16_e32 v21, v47, v21
	v_fma_mixlo_f16 v5, v5, v56, 0 op_sel:[0,1,0] op_sel_hi:[0,1,0]
	v_add_f16_e32 v5, v44, v5
	s_add_i32 s6, s6, 64
	s_cmp_ge_i32 s22, s23
	s_waitcnt vmcnt(1)
	v_sub_u32_sdwa v8, v13, v41 dst_sel:DWORD dst_unused:UNUSED_PAD src0_sel:BYTE_0 src1_sel:DWORD
	v_sub_u32_sdwa v9, v13, v41 dst_sel:DWORD dst_unused:UNUSED_PAD src0_sel:BYTE_1 src1_sel:DWORD
	v_sub_u32_sdwa v10, v13, v41 dst_sel:DWORD dst_unused:UNUSED_PAD src0_sel:BYTE_2 src1_sel:DWORD
	v_sub_u32_sdwa v11, v13, v41 dst_sel:DWORD dst_unused:UNUSED_PAD src0_sel:BYTE_3 src1_sel:DWORD
	v_cvt_f32_i32_e32 v8, v8
	v_cvt_f32_i32_e32 v9, v9
	;; [unrolled: 1-line block ×3, first 2 shown]
	s_waitcnt vmcnt(0)
	v_sub_u32_sdwa v17, v51, v41 dst_sel:DWORD dst_unused:UNUSED_PAD src0_sel:BYTE_2 src1_sel:DWORD
	v_cvt_f32_i32_e32 v17, v17
	v_sub_u32_sdwa v12, v51, v41 dst_sel:DWORD dst_unused:UNUSED_PAD src0_sel:BYTE_0 src1_sel:DWORD
	v_sub_u32_sdwa v13, v51, v41 dst_sel:DWORD dst_unused:UNUSED_PAD src0_sel:BYTE_1 src1_sel:DWORD
	v_cvt_f32_i32_e32 v11, v11
	v_cvt_f16_f32_e32 v22, v17
	v_sub_u32_sdwa v17, v51, v41 dst_sel:DWORD dst_unused:UNUSED_PAD src0_sel:BYTE_3 src1_sel:DWORD
	v_cvt_f32_i32_e32 v17, v17
	v_cvt_f16_f32_e32 v8, v8
	v_cvt_f32_i32_e32 v12, v12
	v_cvt_f16_f32_e32 v9, v9
	v_cvt_f16_f32_e32 v23, v17
	v_sub_u32_sdwa v17, v14, v31 dst_sel:DWORD dst_unused:UNUSED_PAD src0_sel:BYTE_0 src1_sel:DWORD
	v_cvt_f32_i32_e32 v17, v17
	v_cvt_f32_i32_e32 v13, v13
	v_cvt_f16_f32_e32 v10, v10
	v_cvt_f16_f32_e32 v11, v11
	;; [unrolled: 1-line block ×3, first 2 shown]
	v_sub_u32_sdwa v17, v14, v31 dst_sel:DWORD dst_unused:UNUSED_PAD src0_sel:BYTE_1 src1_sel:DWORD
	v_cvt_f32_i32_e32 v17, v17
	v_cvt_f16_f32_e32 v12, v12
	v_cvt_f16_f32_e32 v13, v13
	;; [unrolled: 1-line block ×3, first 2 shown]
	v_sub_u32_sdwa v17, v14, v31 dst_sel:DWORD dst_unused:UNUSED_PAD src0_sel:BYTE_2 src1_sel:DWORD
	v_sub_u32_sdwa v14, v14, v31 dst_sel:DWORD dst_unused:UNUSED_PAD src0_sel:BYTE_3 src1_sel:DWORD
	v_cvt_f32_i32_e32 v14, v14
	v_cvt_f32_i32_e32 v17, v17
	v_cvt_f16_f32_e32 v36, v14
	v_sub_u32_sdwa v14, v52, v31 dst_sel:DWORD dst_unused:UNUSED_PAD src0_sel:BYTE_0 src1_sel:DWORD
	v_cvt_f32_i32_e32 v14, v14
	v_cvt_f16_f32_e32 v35, v17
	v_cvt_f16_f32_e32 v37, v14
	v_sub_u32_sdwa v14, v52, v31 dst_sel:DWORD dst_unused:UNUSED_PAD src0_sel:BYTE_1 src1_sel:DWORD
	v_cvt_f32_i32_e32 v14, v14
	v_cvt_f16_f32_e32 v38, v14
	v_sub_u32_sdwa v14, v52, v31 dst_sel:DWORD dst_unused:UNUSED_PAD src0_sel:BYTE_2 src1_sel:DWORD
	v_cvt_f32_i32_e32 v14, v14
	v_cvt_f16_f32_e32 v17, v14
	v_sub_u32_sdwa v14, v52, v31 dst_sel:DWORD dst_unused:UNUSED_PAD src0_sel:BYTE_3 src1_sel:DWORD
	v_cvt_f32_i32_e32 v14, v14
	v_cvt_f16_f32_e32 v18, v14
	v_sub_u32_sdwa v14, v15, v33 dst_sel:DWORD dst_unused:UNUSED_PAD src0_sel:BYTE_0 src1_sel:DWORD
	v_cvt_f32_i32_e32 v14, v14
	v_cvt_f16_f32_e32 v28, v14
	v_sub_u32_sdwa v14, v15, v33 dst_sel:DWORD dst_unused:UNUSED_PAD src0_sel:BYTE_1 src1_sel:DWORD
	v_cvt_f32_i32_e32 v14, v14
	v_cvt_f16_f32_e32 v19, v14
	v_sub_u32_sdwa v14, v15, v33 dst_sel:DWORD dst_unused:UNUSED_PAD src0_sel:BYTE_2 src1_sel:DWORD
	v_cvt_f32_i32_e32 v14, v14
	v_cvt_f16_f32_e32 v24, v14
	v_sub_u32_sdwa v14, v15, v33 dst_sel:DWORD dst_unused:UNUSED_PAD src0_sel:BYTE_3 src1_sel:DWORD
	v_cvt_f32_i32_e32 v14, v14
	v_fma_mix_f32 v15, v41, v0, 0 op_sel_hi:[1,1,0]
	v_fma_mix_f32 v15, v34, v0, v15 op_sel:[0,1,0] op_sel_hi:[1,1,0]
	v_fma_mix_f32 v15, v35, v1, v15 op_sel_hi:[1,1,0]
	v_cvt_f16_f32_e32 v40, v14
	v_sub_u32_sdwa v14, v53, v33 dst_sel:DWORD dst_unused:UNUSED_PAD src0_sel:BYTE_0 src1_sel:DWORD
	v_cvt_f32_i32_e32 v14, v14
	v_fma_mix_f32 v15, v36, v1, v15 op_sel:[0,1,0] op_sel_hi:[1,1,0]
	v_fma_mix_f32 v15, v37, v2, v15 op_sel_hi:[1,1,0]
	v_fma_mix_f32 v15, v38, v2, v15 op_sel:[0,1,0] op_sel_hi:[1,1,0]
	v_cvt_f16_f32_e32 v26, v14
	v_sub_u32_sdwa v14, v53, v33 dst_sel:DWORD dst_unused:UNUSED_PAD src0_sel:BYTE_1 src1_sel:DWORD
	v_cvt_f32_i32_e32 v14, v14
	v_fma_mix_f32 v15, v17, v3, v15 op_sel_hi:[1,1,0]
	v_fma_mix_f32 v15, v18, v3, v15 op_sel:[0,1,0] op_sel_hi:[1,1,0]
	v_fma_mixlo_f16 v15, v15, v55, 0 op_sel:[0,1,0] op_sel_hi:[0,1,0]
	v_cvt_f16_f32_e32 v27, v14
	v_sub_u32_sdwa v14, v53, v33 dst_sel:DWORD dst_unused:UNUSED_PAD src0_sel:BYTE_2 src1_sel:DWORD
	v_cvt_f32_i32_e32 v14, v14
	v_add_f16_e32 v15, v63, v15
	v_cvt_f16_f32_e32 v31, v14
	v_sub_u32_sdwa v14, v53, v33 dst_sel:DWORD dst_unused:UNUSED_PAD src0_sel:BYTE_3 src1_sel:DWORD
	v_cvt_f32_i32_e32 v14, v14
	v_cvt_f16_f32_e32 v39, v14
	v_sub_u32_sdwa v14, v16, v25 dst_sel:DWORD dst_unused:UNUSED_PAD src0_sel:BYTE_0 src1_sel:DWORD
	v_cvt_f32_i32_e32 v14, v14
	v_cvt_f16_f32_e32 v32, v14
	v_sub_u32_sdwa v14, v16, v25 dst_sel:DWORD dst_unused:UNUSED_PAD src0_sel:BYTE_1 src1_sel:DWORD
	v_cvt_f32_i32_e32 v14, v14
	v_cvt_f16_f32_e32 v33, v14
	v_sub_u32_sdwa v14, v16, v25 dst_sel:DWORD dst_unused:UNUSED_PAD src0_sel:BYTE_2 src1_sel:DWORD
	v_cvt_f32_i32_e32 v14, v14
	v_cvt_f16_f32_e32 v42, v14
	v_sub_u32_sdwa v14, v16, v25 dst_sel:DWORD dst_unused:UNUSED_PAD src0_sel:BYTE_3 src1_sel:DWORD
	v_cvt_f32_i32_e32 v14, v14
	v_cvt_f16_f32_e32 v43, v14
	v_sub_u32_sdwa v14, v54, v25 dst_sel:DWORD dst_unused:UNUSED_PAD src0_sel:BYTE_0 src1_sel:DWORD
	v_cvt_f32_i32_e32 v14, v14
	v_cvt_f16_f32_e32 v51, v14
	v_sub_u32_sdwa v14, v54, v25 dst_sel:DWORD dst_unused:UNUSED_PAD src0_sel:BYTE_1 src1_sel:DWORD
	v_cvt_f32_i32_e32 v14, v14
	v_cvt_f16_f32_e32 v52, v14
	v_sub_u32_sdwa v14, v54, v25 dst_sel:DWORD dst_unused:UNUSED_PAD src0_sel:BYTE_2 src1_sel:DWORD
	v_cvt_f32_i32_e32 v14, v14
	v_cvt_f16_f32_e32 v53, v14
	v_sub_u32_sdwa v14, v54, v25 dst_sel:DWORD dst_unused:UNUSED_PAD src0_sel:BYTE_3 src1_sel:DWORD
	v_cvt_f32_i32_e32 v14, v14
	v_cvt_f16_f32_e32 v30, v14
	v_fma_mix_f32 v14, v8, v0, 0 op_sel_hi:[1,1,0]
	v_fma_mix_f32 v14, v9, v0, v14 op_sel:[0,1,0] op_sel_hi:[1,1,0]
	v_fma_mix_f32 v14, v10, v1, v14 op_sel_hi:[1,1,0]
	v_fma_mix_f32 v14, v11, v1, v14 op_sel:[0,1,0] op_sel_hi:[1,1,0]
	;; [unrolled: 2-line block ×4, first 2 shown]
	v_fma_mixlo_f16 v14, v14, v55, 0 op_sel_hi:[0,1,0]
	v_add_f16_e32 v14, v21, v14
	v_pack_b32_f16 v16, v14, v15
	v_fma_mix_f32 v14, v28, v0, 0 op_sel_hi:[1,1,0]
	v_fma_mix_f32 v15, v32, v0, 0 op_sel_hi:[1,1,0]
	v_fma_mix_f32 v14, v19, v0, v14 op_sel:[0,1,0] op_sel_hi:[1,1,0]
	v_fma_mix_f32 v0, v33, v0, v15 op_sel:[0,1,0] op_sel_hi:[1,1,0]
	v_fma_mix_f32 v14, v24, v1, v14 op_sel_hi:[1,1,0]
	v_fma_mix_f32 v0, v42, v1, v0 op_sel_hi:[1,1,0]
	v_fma_mix_f32 v14, v40, v1, v14 op_sel:[0,1,0] op_sel_hi:[1,1,0]
	v_fma_mix_f32 v0, v43, v1, v0 op_sel:[0,1,0] op_sel_hi:[1,1,0]
	;; [unrolled: 4-line block ×4, first 2 shown]
	v_fma_mixlo_f16 v14, v14, v56, 0 op_sel_hi:[0,1,0]
	v_fma_mixlo_f16 v0, v0, v56, 0 op_sel:[0,1,0] op_sel_hi:[0,1,0]
	v_add_f16_e32 v14, v60, v14
	v_add_f16_e32 v0, v20, v0
	v_pack_b32_f16 v62, v14, v0
	ds_read_b128 v[0:3], v29 offset:304
	s_waitcnt lgkmcnt(0)
	v_fma_mix_f32 v8, v8, v0, 0 op_sel_hi:[1,1,0]
	v_fma_mix_f32 v8, v9, v0, v8 op_sel:[0,1,0] op_sel_hi:[1,1,0]
	v_fma_mix_f32 v8, v10, v1, v8 op_sel_hi:[1,1,0]
	v_fma_mix_f32 v8, v11, v1, v8 op_sel:[0,1,0] op_sel_hi:[1,1,0]
	v_fma_mix_f32 v8, v12, v2, v8 op_sel_hi:[1,1,0]
	v_fma_mix_f32 v8, v13, v2, v8 op_sel:[0,1,0] op_sel_hi:[1,1,0]
	v_fma_mix_f32 v8, v22, v3, v8 op_sel_hi:[1,1,0]
	v_fma_mix_f32 v8, v23, v3, v8 op_sel:[0,1,0] op_sel_hi:[1,1,0]
	v_fma_mixlo_f16 v8, v8, v55, 0 op_sel_hi:[0,1,0]
	v_add_f16_e32 v6, v6, v8
	v_fma_mix_f32 v8, v41, v0, 0 op_sel_hi:[1,1,0]
	v_fma_mix_f32 v8, v34, v0, v8 op_sel:[0,1,0] op_sel_hi:[1,1,0]
	v_fma_mix_f32 v8, v35, v1, v8 op_sel_hi:[1,1,0]
	v_fma_mix_f32 v8, v36, v1, v8 op_sel:[0,1,0] op_sel_hi:[1,1,0]
	;; [unrolled: 2-line block ×4, first 2 shown]
	v_fma_mixlo_f16 v8, v8, v55, 0 op_sel:[0,1,0] op_sel_hi:[0,1,0]
	v_add_f16_e32 v7, v7, v8
	v_pack_b32_f16 v38, v6, v7
	v_fma_mix_f32 v6, v28, v0, 0 op_sel_hi:[1,1,0]
	v_fma_mix_f32 v6, v19, v0, v6 op_sel:[0,1,0] op_sel_hi:[1,1,0]
	v_fma_mix_f32 v6, v24, v1, v6 op_sel_hi:[1,1,0]
	v_fma_mix_f32 v6, v40, v1, v6 op_sel:[0,1,0] op_sel_hi:[1,1,0]
	v_fma_mix_f32 v6, v26, v2, v6 op_sel_hi:[1,1,0]
	v_fma_mix_f32 v6, v27, v2, v6 op_sel:[0,1,0] op_sel_hi:[1,1,0]
	v_fma_mix_f32 v6, v31, v3, v6 op_sel_hi:[1,1,0]
	v_fma_mix_f32 v6, v39, v3, v6 op_sel:[0,1,0] op_sel_hi:[1,1,0]
	v_fma_mixlo_f16 v6, v6, v56, 0 op_sel_hi:[0,1,0]
	v_add_f16_e32 v4, v4, v6
	v_fma_mix_f32 v6, v32, v0, 0 op_sel_hi:[1,1,0]
	v_fma_mix_f32 v0, v33, v0, v6 op_sel:[0,1,0] op_sel_hi:[1,1,0]
	v_fma_mix_f32 v0, v42, v1, v0 op_sel_hi:[1,1,0]
	v_fma_mix_f32 v0, v43, v1, v0 op_sel:[0,1,0] op_sel_hi:[1,1,0]
	v_fma_mix_f32 v0, v51, v2, v0 op_sel_hi:[1,1,0]
	v_fma_mix_f32 v0, v52, v2, v0 op_sel:[0,1,0] op_sel_hi:[1,1,0]
	v_fma_mix_f32 v0, v53, v3, v0 op_sel_hi:[1,1,0]
	v_fma_mix_f32 v0, v30, v3, v0 op_sel:[0,1,0] op_sel_hi:[1,1,0]
	v_fma_mixlo_f16 v0, v0, v56, 0 op_sel:[0,1,0] op_sel_hi:[0,1,0]
	v_add_f16_e32 v0, v5, v0
	v_pack_b32_f16 v35, v4, v0
	buffer_load_dword v4, off, s[28:31], 0  ; 4-byte Folded Reload
	buffer_load_dword v5, off, s[28:31], 0 offset:4 ; 4-byte Folded Reload
	v_mov_b32_e32 v0, s3
	s_waitcnt vmcnt(1)
	v_add_co_u32_e32 v4, vcc, s2, v4
	s_waitcnt vmcnt(0)
	v_addc_co_u32_e32 v5, vcc, v5, v0, vcc
	s_cbranch_scc1 .LBB22_12
; %bb.11:                               ;   in Loop: Header=BB22_10 Depth=1
	buffer_load_dword v1, off, s[28:31], 0 offset:36 ; 4-byte Folded Reload
	buffer_load_dword v3, off, s[28:31], 0 offset:40 ; 4-byte Folded Reload
	;; [unrolled: 1-line block ×4, first 2 shown]
	s_cmp_lg_u32 s22, s8
	s_cbranch_scc0 .LBB22_9
	s_branch .LBB22_10
.LBB22_12:
	buffer_load_dword v0, off, s[28:31], 0 offset:56 ; 4-byte Folded Reload
	buffer_load_dword v1, off, s[28:31], 0 offset:60 ; 4-byte Folded Reload
	s_mul_i32 s7, s7, s0
	v_mov_b32_e32 v3, s15
	s_mov_b64 s[2:3], 0
	s_waitcnt vmcnt(1)
	v_add_u32_e32 v0, s7, v0
	s_waitcnt vmcnt(0)
	v_ashrrev_i32_e32 v1, 31, v0
	v_lshlrev_b64 v[1:2], 1, v[0:1]
	v_add_co_u32_e32 v1, vcc, s14, v1
	v_addc_co_u32_e32 v2, vcc, v3, v2, vcc
	global_load_dword v4, v[1:2], off
.LBB22_13:                              ; =>This Inner Loop Header: Depth=1
	s_waitcnt vmcnt(0)
	v_pk_add_f16 v3, v16, v4
	global_atomic_cmpswap v3, v[1:2], v[3:4], off glc
	s_waitcnt vmcnt(0)
	v_cmp_eq_u32_e32 vcc, v4, v3
	s_or_b64 s[2:3], vcc, s[2:3]
	v_mov_b32_e32 v4, v3
	s_andn2_b64 exec, exec, s[2:3]
	s_cbranch_execnz .LBB22_13
; %bb.14:
	s_or_b64 exec, exec, s[2:3]
	global_load_dword v4, v[1:2], off offset:4
	s_mov_b64 s[2:3], 0
.LBB22_15:                              ; =>This Inner Loop Header: Depth=1
	s_waitcnt vmcnt(0)
	v_pk_add_f16 v3, v62, v4
	global_atomic_cmpswap v3, v[1:2], v[3:4], off offset:4 glc
	s_waitcnt vmcnt(0)
	v_cmp_eq_u32_e32 vcc, v4, v3
	s_or_b64 s[2:3], vcc, s[2:3]
	v_mov_b32_e32 v4, v3
	s_andn2_b64 exec, exec, s[2:3]
	s_cbranch_execnz .LBB22_15
; %bb.16:
	s_or_b64 exec, exec, s[2:3]
	v_add_u32_e32 v0, s0, v0
	v_ashrrev_i32_e32 v1, 31, v0
	v_lshlrev_b64 v[0:1], 1, v[0:1]
	v_mov_b32_e32 v2, s15
	v_add_co_u32_e32 v0, vcc, s14, v0
	v_addc_co_u32_e32 v1, vcc, v2, v1, vcc
	global_load_dword v3, v[0:1], off
	s_mov_b64 s[0:1], 0
.LBB22_17:                              ; =>This Inner Loop Header: Depth=1
	s_waitcnt vmcnt(0)
	v_pk_add_f16 v2, v38, v3
	global_atomic_cmpswap v2, v[0:1], v[2:3], off glc
	s_waitcnt vmcnt(0)
	v_cmp_eq_u32_e32 vcc, v3, v2
	s_or_b64 s[0:1], vcc, s[0:1]
	v_mov_b32_e32 v3, v2
	s_andn2_b64 exec, exec, s[0:1]
	s_cbranch_execnz .LBB22_17
; %bb.18:
	s_or_b64 exec, exec, s[0:1]
	global_load_dword v3, v[0:1], off offset:4
	s_mov_b64 s[0:1], 0
.LBB22_19:                              ; =>This Inner Loop Header: Depth=1
	s_waitcnt vmcnt(0)
	v_pk_add_f16 v2, v35, v3
	global_atomic_cmpswap v2, v[0:1], v[2:3], off offset:4 glc
	s_waitcnt vmcnt(0)
	v_cmp_eq_u32_e32 vcc, v3, v2
	s_or_b64 s[0:1], vcc, s[0:1]
	v_mov_b32_e32 v3, v2
	s_andn2_b64 exec, exec, s[0:1]
	s_cbranch_execnz .LBB22_19
.LBB22_20:
	s_endpgm
	.section	.rodata,"a",@progbits
	.p2align	6, 0x0
	.amdhsa_kernel _ZN4vllm4gptq33gemm_half_q_half_gptq_8bit_kernelILb1ELi2EEEvPK6__halfPKjS6_S4_PS2_iiiibPKi
		.amdhsa_group_segment_fixed_size 512
		.amdhsa_private_segment_fixed_size 72
		.amdhsa_kernarg_size 72
		.amdhsa_user_sgpr_count 6
		.amdhsa_user_sgpr_private_segment_buffer 1
		.amdhsa_user_sgpr_dispatch_ptr 0
		.amdhsa_user_sgpr_queue_ptr 0
		.amdhsa_user_sgpr_kernarg_segment_ptr 1
		.amdhsa_user_sgpr_dispatch_id 0
		.amdhsa_user_sgpr_flat_scratch_init 0
		.amdhsa_user_sgpr_private_segment_size 0
		.amdhsa_uses_dynamic_stack 0
		.amdhsa_system_sgpr_private_segment_wavefront_offset 1
		.amdhsa_system_sgpr_workgroup_id_x 1
		.amdhsa_system_sgpr_workgroup_id_y 1
		.amdhsa_system_sgpr_workgroup_id_z 1
		.amdhsa_system_sgpr_workgroup_info 0
		.amdhsa_system_vgpr_workitem_id 0
		.amdhsa_next_free_vgpr 64
		.amdhsa_next_free_sgpr 32
		.amdhsa_reserve_vcc 1
		.amdhsa_reserve_flat_scratch 0
		.amdhsa_float_round_mode_32 0
		.amdhsa_float_round_mode_16_64 0
		.amdhsa_float_denorm_mode_32 3
		.amdhsa_float_denorm_mode_16_64 3
		.amdhsa_dx10_clamp 1
		.amdhsa_ieee_mode 1
		.amdhsa_fp16_overflow 0
		.amdhsa_exception_fp_ieee_invalid_op 0
		.amdhsa_exception_fp_denorm_src 0
		.amdhsa_exception_fp_ieee_div_zero 0
		.amdhsa_exception_fp_ieee_overflow 0
		.amdhsa_exception_fp_ieee_underflow 0
		.amdhsa_exception_fp_ieee_inexact 0
		.amdhsa_exception_int_div_zero 0
	.end_amdhsa_kernel
	.section	.text._ZN4vllm4gptq33gemm_half_q_half_gptq_8bit_kernelILb1ELi2EEEvPK6__halfPKjS6_S4_PS2_iiiibPKi,"axG",@progbits,_ZN4vllm4gptq33gemm_half_q_half_gptq_8bit_kernelILb1ELi2EEEvPK6__halfPKjS6_S4_PS2_iiiibPKi,comdat
.Lfunc_end22:
	.size	_ZN4vllm4gptq33gemm_half_q_half_gptq_8bit_kernelILb1ELi2EEEvPK6__halfPKjS6_S4_PS2_iiiibPKi, .Lfunc_end22-_ZN4vllm4gptq33gemm_half_q_half_gptq_8bit_kernelILb1ELi2EEEvPK6__halfPKjS6_S4_PS2_iiiibPKi
                                        ; -- End function
	.set _ZN4vllm4gptq33gemm_half_q_half_gptq_8bit_kernelILb1ELi2EEEvPK6__halfPKjS6_S4_PS2_iiiibPKi.num_vgpr, 64
	.set _ZN4vllm4gptq33gemm_half_q_half_gptq_8bit_kernelILb1ELi2EEEvPK6__halfPKjS6_S4_PS2_iiiibPKi.num_agpr, 0
	.set _ZN4vllm4gptq33gemm_half_q_half_gptq_8bit_kernelILb1ELi2EEEvPK6__halfPKjS6_S4_PS2_iiiibPKi.numbered_sgpr, 32
	.set _ZN4vllm4gptq33gemm_half_q_half_gptq_8bit_kernelILb1ELi2EEEvPK6__halfPKjS6_S4_PS2_iiiibPKi.num_named_barrier, 0
	.set _ZN4vllm4gptq33gemm_half_q_half_gptq_8bit_kernelILb1ELi2EEEvPK6__halfPKjS6_S4_PS2_iiiibPKi.private_seg_size, 72
	.set _ZN4vllm4gptq33gemm_half_q_half_gptq_8bit_kernelILb1ELi2EEEvPK6__halfPKjS6_S4_PS2_iiiibPKi.uses_vcc, 1
	.set _ZN4vllm4gptq33gemm_half_q_half_gptq_8bit_kernelILb1ELi2EEEvPK6__halfPKjS6_S4_PS2_iiiibPKi.uses_flat_scratch, 0
	.set _ZN4vllm4gptq33gemm_half_q_half_gptq_8bit_kernelILb1ELi2EEEvPK6__halfPKjS6_S4_PS2_iiiibPKi.has_dyn_sized_stack, 0
	.set _ZN4vllm4gptq33gemm_half_q_half_gptq_8bit_kernelILb1ELi2EEEvPK6__halfPKjS6_S4_PS2_iiiibPKi.has_recursion, 0
	.set _ZN4vllm4gptq33gemm_half_q_half_gptq_8bit_kernelILb1ELi2EEEvPK6__halfPKjS6_S4_PS2_iiiibPKi.has_indirect_call, 0
	.section	.AMDGPU.csdata,"",@progbits
; Kernel info:
; codeLenInByte = 6608
; TotalNumSgprs: 36
; NumVgprs: 64
; ScratchSize: 72
; MemoryBound: 0
; FloatMode: 240
; IeeeMode: 1
; LDSByteSize: 512 bytes/workgroup (compile time only)
; SGPRBlocks: 4
; VGPRBlocks: 15
; NumSGPRsForWavesPerEU: 36
; NumVGPRsForWavesPerEU: 64
; Occupancy: 4
; WaveLimiterHint : 0
; COMPUTE_PGM_RSRC2:SCRATCH_EN: 1
; COMPUTE_PGM_RSRC2:USER_SGPR: 6
; COMPUTE_PGM_RSRC2:TRAP_HANDLER: 0
; COMPUTE_PGM_RSRC2:TGID_X_EN: 1
; COMPUTE_PGM_RSRC2:TGID_Y_EN: 1
; COMPUTE_PGM_RSRC2:TGID_Z_EN: 1
; COMPUTE_PGM_RSRC2:TIDIG_COMP_CNT: 0
	.section	.text._ZN4vllm4gptq33gemm_half_q_half_gptq_2bit_kernelILb1ELi3EEEvPK6__halfPKjS6_S4_PS2_iiiibPKi,"axG",@progbits,_ZN4vllm4gptq33gemm_half_q_half_gptq_2bit_kernelILb1ELi3EEEvPK6__halfPKjS6_S4_PS2_iiiibPKi,comdat
	.protected	_ZN4vllm4gptq33gemm_half_q_half_gptq_2bit_kernelILb1ELi3EEEvPK6__halfPKjS6_S4_PS2_iiiibPKi ; -- Begin function _ZN4vllm4gptq33gemm_half_q_half_gptq_2bit_kernelILb1ELi3EEEvPK6__halfPKjS6_S4_PS2_iiiibPKi
	.globl	_ZN4vllm4gptq33gemm_half_q_half_gptq_2bit_kernelILb1ELi3EEEvPK6__halfPKjS6_S4_PS2_iiiibPKi
	.p2align	8
	.type	_ZN4vllm4gptq33gemm_half_q_half_gptq_2bit_kernelILb1ELi3EEEvPK6__halfPKjS6_S4_PS2_iiiibPKi,@function
_ZN4vllm4gptq33gemm_half_q_half_gptq_2bit_kernelILb1ELi3EEEvPK6__halfPKjS6_S4_PS2_iiiibPKi: ; @_ZN4vllm4gptq33gemm_half_q_half_gptq_2bit_kernelILb1ELi3EEEvPK6__halfPKjS6_S4_PS2_iiiibPKi
; %bb.0:
	s_mov_b64 s[30:31], s[2:3]
	s_load_dwordx4 s[16:19], s[4:5], 0x2c
	s_mov_b64 s[28:29], s[0:1]
	s_add_u32 s28, s28, s9
	s_addc_u32 s29, s29, 0
	s_lshl_b32 s24, s8, 7
	s_add_i32 s0, s24, 0x80
	v_cvt_f64_u32_e32 v[1:2], s0
	s_waitcnt lgkmcnt(0)
	v_cvt_f64_i32_e32 v[3:4], s17
	s_load_dwordx8 s[8:15], s[4:5], 0x8
	s_mul_i32 s7, s7, 3
	v_min_f64 v[1:2], v[1:2], v[3:4]
	v_cvt_i32_f64_e32 v2, v[1:2]
	v_add_u32_e32 v1, s24, v0
	v_readfirstlane_b32 s25, v2
	v_cmp_lt_u32_e32 vcc, v1, v2
	s_and_saveexec_b64 s[2:3], vcc
	s_cbranch_execz .LBB23_8
; %bb.1:
	s_load_dwordx2 s[0:1], s[4:5], 0x40
	s_load_dwordx2 s[20:21], s[4:5], 0x0
	v_mov_b32_e32 v2, 0
	v_lshlrev_b64 v[3:4], 2, v[1:2]
	s_waitcnt lgkmcnt(0)
	v_mov_b32_e32 v5, s1
	v_add_co_u32_e32 v3, vcc, s0, v3
	s_cmp_lg_u64 s[0:1], 0
	v_addc_co_u32_e32 v4, vcc, v5, v4, vcc
	v_mov_b32_e32 v6, v2
	s_cselect_b64 s[4:5], -1, 0
	s_cmp_eq_u64 s[0:1], 0
	v_mov_b32_e32 v5, v1
	s_cbranch_scc1 .LBB23_3
; %bb.2:
	global_load_dword v5, v[3:4], off
	s_waitcnt vmcnt(0)
	v_ashrrev_i32_e32 v6, 31, v5
.LBB23_3:
	s_mul_i32 s22, s7, s17
	s_ashr_i32 s23, s22, 31
	s_lshl_b64 s[0:1], s[22:23], 1
	s_add_u32 s0, s20, s0
	v_lshlrev_b64 v[5:6], 1, v[5:6]
	s_addc_u32 s1, s21, s1
	v_mov_b32_e32 v7, s1
	v_add_co_u32_e32 v5, vcc, s0, v5
	v_addc_co_u32_e32 v6, vcc, v7, v6, vcc
	global_load_ushort v5, v[5:6], off
	v_lshlrev_b32_e32 v7, 1, v0
	v_cndmask_b32_e64 v6, 0, 1, s[4:5]
	v_cmp_ne_u32_e64 s[0:1], 1, v6
	s_andn2_b64 vcc, exec, s[4:5]
	s_waitcnt vmcnt(0)
	ds_write_b16 v7, v5
	v_mov_b32_e32 v6, v2
	v_mov_b32_e32 v5, v1
	s_cbranch_vccnz .LBB23_5
; %bb.4:
	global_load_dword v5, v[3:4], off
	s_waitcnt vmcnt(0)
	v_ashrrev_i32_e32 v6, 31, v5
.LBB23_5:
	s_add_i32 s4, s22, s17
	s_ashr_i32 s5, s4, 31
	s_lshl_b64 s[22:23], s[4:5], 1
	s_add_u32 s5, s20, s22
	v_lshlrev_b64 v[5:6], 1, v[5:6]
	s_addc_u32 s22, s21, s23
	v_mov_b32_e32 v8, s22
	v_add_co_u32_e32 v5, vcc, s5, v5
	v_addc_co_u32_e32 v6, vcc, v8, v6, vcc
	global_load_ushort v5, v[5:6], off
	s_and_b64 vcc, exec, s[0:1]
	s_waitcnt vmcnt(0)
	ds_write_b16 v7, v5 offset:256
	s_cbranch_vccnz .LBB23_7
; %bb.6:
	global_load_dword v1, v[3:4], off
	s_waitcnt vmcnt(0)
	v_ashrrev_i32_e32 v2, 31, v1
.LBB23_7:
	s_add_i32 s0, s4, s17
	s_ashr_i32 s1, s0, 31
	s_lshl_b64 s[0:1], s[0:1], 1
	s_add_u32 s0, s20, s0
	v_lshlrev_b64 v[1:2], 1, v[1:2]
	s_addc_u32 s1, s21, s1
	v_mov_b32_e32 v3, s1
	v_add_co_u32_e32 v1, vcc, s0, v1
	v_addc_co_u32_e32 v2, vcc, v3, v2, vcc
	global_load_ushort v1, v[1:2], off
	s_waitcnt vmcnt(0)
	ds_write_b16 v7, v1 offset:512
.LBB23_8:
	s_or_b64 exec, exec, s[2:3]
	v_lshlrev_b32_e32 v1, 2, v0
	v_lshl_add_u32 v2, s6, 9, v1
	v_mov_b32_e32 v1, v2
	buffer_store_dword v1, off, s[28:31], 0 ; 4-byte Folded Spill
	s_nop 0
	buffer_store_dword v2, off, s[28:31], 0 offset:4 ; 4-byte Folded Spill
	v_cmp_gt_i32_e32 vcc, s16, v2
	s_and_saveexec_b64 s[0:1], vcc
	s_cbranch_execz .LBB23_26
; %bb.9:
	s_abs_i32 s0, s18
	v_cvt_f32_u32_e32 v1, s0
	s_mov_b32 s2, 0
	v_mov_b32_e32 v5, 0
	v_mov_b32_e32 v17, 0
	v_rcp_iflag_f32_e32 v1, v1
	v_mov_b32_e32 v15, 0
	v_mov_b32_e32 v14, 0
	s_cmp_ge_i32 s24, s25
	v_mul_f32_e32 v1, 0x4f7ffffe, v1
	v_cvt_u32_f32_e32 v1, v1
	v_mov_b32_e32 v13, 0
	v_mov_b32_e32 v12, 0
	s_waitcnt lgkmcnt(0)
	v_readfirstlane_b32 s1, v1
	s_waitcnt vmcnt(0)
	s_barrier
	s_cbranch_scc1 .LBB23_14
; %bb.10:
	buffer_load_dword v2, off, s[28:31], 0  ; 4-byte Folded Reload
	buffer_load_dword v3, off, s[28:31], 0 offset:4 ; 4-byte Folded Reload
	s_sub_i32 s6, 0, s0
	s_mul_i32 s6, s6, s1
	s_mul_hi_u32 s6, s1, s6
	s_abs_i32 s5, s17
	s_add_i32 s1, s1, s6
	s_ashr_i32 s3, s17, 31
	s_ashr_i32 s4, s18, 31
	s_mul_hi_u32 s1, s5, s1
	s_xor_b32 s3, s3, s4
	s_mul_i32 s4, s1, s0
	s_sub_i32 s4, s5, s4
	s_add_i32 s5, s1, 1
	s_sub_i32 s6, s4, s0
	s_cmp_ge_u32 s4, s0
	s_cselect_b32 s1, s5, s1
	s_cselect_b32 s4, s6, s4
	s_add_i32 s5, s1, 1
	s_cmp_ge_u32 s4, s0
	s_cselect_b32 s0, s5, s1
	s_xor_b32 s0, s0, s3
	s_sub_i32 s3, s0, s3
	v_cvt_f32_u32_e32 v1, s3
	s_bitcmp1_b32 s19, 0
	s_cselect_b64 s[0:1], -1, 0
	s_sub_i32 s4, 0, s3
	v_rcp_iflag_f32_e32 v1, v1
	s_xor_b64 s[0:1], s[0:1], -1
	v_cndmask_b32_e64 v20, 0, 1, s[0:1]
	v_mov_b32_e32 v12, 0
	v_mul_f32_e32 v1, 0x4f7ffffe, v1
	v_cvt_u32_f32_e32 v1, v1
	s_movk_i32 s18, 0x2c00
	s_movk_i32 s19, 0x2400
	s_mov_b32 s20, 0x7060302
	v_readfirstlane_b32 s5, v1
	s_mul_i32 s4, s4, s5
	s_mul_hi_u32 s4, s5, s4
	s_add_i32 s5, s5, s4
	s_mul_hi_u32 s4, s24, s5
	s_mul_i32 s5, s4, s3
	s_sub_i32 s5, s24, s5
	s_add_i32 s6, s4, 1
	s_sub_i32 s17, s5, s3
	s_cmp_ge_u32 s5, s3
	s_cselect_b32 s4, s6, s4
	s_cselect_b32 s5, s17, s5
	s_add_i32 s6, s4, 1
	s_cmp_ge_u32 s5, s3
	s_cselect_b32 s4, s6, s4
	s_mul_i32 s5, s4, s16
	s_ashr_i32 s6, s5, 31
	s_lshr_b32 s6, s6, 28
	s_lshr_b32 s0, s24, 4
	s_mul_i32 s0, s16, s0
	s_ashr_i32 s1, s0, 31
	s_add_i32 s21, s3, s24
	s_ashr_i32 s17, s16, 31
	s_lshl_b64 s[0:1], s[0:1], 2
	v_mov_b32_e32 v18, 0xe400e400
	v_mov_b32_e32 v13, 0
	;; [unrolled: 1-line block ×5, first 2 shown]
	s_waitcnt vmcnt(1)
	v_mov_b32_e32 v4, v2
	v_ashrrev_i32_e32 v5, 31, v4
	v_lshrrev_b32_e32 v2, 28, v5
	v_add_u32_e32 v2, v4, v2
	v_add_u32_e32 v1, s5, v4
	s_add_i32 s5, s5, s6
	s_waitcnt vmcnt(0)
	v_ashrrev_i32_e32 v3, 4, v2
	s_ashr_i32 s5, s5, 4
	v_add_u32_e32 v6, s5, v3
	v_ashrrev_i32_e32 v7, 31, v6
	v_lshlrev_b64 v[6:7], 2, v[6:7]
	v_ashrrev_i32_e32 v2, 31, v1
	v_lshlrev_b64 v[1:2], 1, v[1:2]
	buffer_store_dword v3, off, s[28:31], 0 offset:8 ; 4-byte Folded Spill
	v_mov_b32_e32 v3, s11
	v_add_co_u32_e32 v6, vcc, s10, v6
	v_addc_co_u32_e32 v7, vcc, v3, v7, vcc
	global_load_dword v3, v[6:7], off
	v_mov_b32_e32 v6, s13
	v_add_co_u32_e32 v1, vcc, s12, v1
	v_addc_co_u32_e32 v2, vcc, v6, v2, vcc
	global_load_dwordx2 v[6:7], v[1:2], off
	v_lshlrev_b32_e32 v2, 3, v0
	v_mov_b32_e32 v0, v4
	buffer_store_dword v0, off, s[28:31], 0 ; 4-byte Folded Spill
	s_nop 0
	buffer_store_dword v1, off, s[28:31], 0 offset:4 ; 4-byte Folded Spill
	v_lshlrev_b64 v[0:1], 2, v[4:5]
	s_add_u32 s8, s8, s0
	s_addc_u32 s9, s9, s1
	v_mov_b32_e32 v5, s9
	v_add_co_u32_e32 v0, vcc, s8, v0
	v_addc_co_u32_e32 v1, vcc, v5, v1, vcc
	v_and_b32_e32 v10, 24, v2
	v_add_co_u32_e32 v8, vcc, 8, v0
	s_mov_b32 s5, 0x10001
	s_movk_i32 s6, 0x3400
	s_lshl_b64 s[0:1], s[16:17], 2
	v_addc_co_u32_e32 v9, vcc, 0, v1, vcc
	v_mov_b32_e32 v5, 0
	buffer_store_dword v10, off, s[28:31], 0 offset:12 ; 4-byte Folded Spill
	s_waitcnt vmcnt(4)
	v_lshrrev_b32_e32 v0, v2, v3
	v_bfe_u32 v21, v3, v10, 2
	v_bfe_u32 v22, v0, 6, 2
	;; [unrolled: 1-line block ×4, first 2 shown]
	s_branch .LBB23_12
.LBB23_11:                              ;   in Loop: Header=BB23_12 Depth=1
	global_load_dwordx4 v[0:3], v[8:9], off offset:-8
	v_add_u32_e32 v11, v23, v20
	v_add_u32_e32 v10, v22, v20
	;; [unrolled: 1-line block ×4, first 2 shown]
	v_cvt_f32_u32_e32 v30, v11
	v_mad_u32_u24 v39, v11, s5, v18
	v_cvt_f32_u32_e32 v11, v10
	v_cvt_f32_u32_e32 v27, v26
	;; [unrolled: 1-line block ×3, first 2 shown]
	v_mov_b32_e32 v29, s2
	v_cvt_f16_f32_e32 v37, v11
	v_cvt_f16_f32_e32 v34, v27
	;; [unrolled: 1-line block ×4, first 2 shown]
	v_mad_u32_u24 v45, v26, s5, v18
	v_mad_u32_u24 v44, v25, s5, v18
	ds_read2_b32 v[25:26], v29 offset1:1
	v_mad_u32_u24 v38, v10, s5, v18
	v_sub_f16_e32 v27, 0xdc00, v34
	v_sub_f16_e32 v28, 0xdc00, v35
	;; [unrolled: 1-line block ×3, first 2 shown]
	v_mul_u32_u24_e32 v46, 0x10001, v27
	v_mul_u32_u24_e32 v47, 0x10001, v28
	v_mul_u32_u24_e32 v57, 0x10001, v30
	s_add_i32 s2, s2, 32
	s_add_i32 s24, s24, 16
	v_add_co_u32_e32 v8, vcc, s0, v8
	s_cmp_ge_i32 s24, s25
	s_waitcnt vmcnt(0)
	v_and_b32_e32 v31, 0x30003, v0
	v_and_b32_e32 v32, 0xc000c, v0
	v_and_b32_e32 v40, 0x300030, v0
	v_and_b32_e32 v41, 0xc000c0, v0
	v_lshrrev_b32_e32 v11, 8, v0
	v_and_b32_e32 v33, 0x30003, v1
	v_and_b32_e32 v42, 0xc000c, v1
	v_and_b32_e32 v60, 0x300030, v1
	v_and_b32_e32 v61, 0xc000c0, v1
	v_lshrrev_b32_e32 v10, 8, v1
	;; [unrolled: 5-line block ×4, first 2 shown]
	v_sub_f16_e32 v3, 0xdc00, v37
	v_mul_u32_u24_e32 v56, 0x10001, v3
	v_or_b32_e32 v3, 0x64006400, v31
	v_or_b32_e32 v27, 0x64006400, v32
	;; [unrolled: 1-line block ×7, first 2 shown]
	v_pk_add_f16 v2, v45, v3
	v_or_b32_e32 v48, 0x64006400, v49
	v_pk_fma_f16 v3, v27, s6, v46 op_sel_hi:[1,0,1]
	v_pk_add_f16 v32, v44, v28
	v_pk_fma_f16 v33, v30, s6, v47 op_sel_hi:[1,0,1]
	v_pk_add_f16 v30, v39, v31
	;; [unrolled: 2-line block ×3, first 2 shown]
	s_waitcnt lgkmcnt(0)
	v_pk_fma_f16 v42, v2, v25, 0
	v_pk_fma_f16 v28, v48, s6, v56 op_sel_hi:[1,0,1]
	v_pk_fma_f16 v43, v32, v25, 0
	v_pk_fma_f16 v59, v3, v26, v42
	v_pk_fma_f16 v42, v30, v25, 0
	v_pk_fma_f16 v25, v27, v25, 0
	v_pk_fma_f16 v48, v33, v26, v43
	v_pk_fma_f16 v49, v31, v26, v42
	v_pk_fma_f16 v58, v28, v26, v25
	v_sub_f16_e32 v25, 0xd400, v34
	v_sub_f16_e32 v26, 0xcc00, v34
	v_mul_u32_u24_e32 v55, 0x10001, v25
	v_mul_u32_u24_e32 v54, 0x10001, v26
	v_or_b32_e32 v25, 0x64006400, v40
	v_or_b32_e32 v26, 0x64006400, v41
	v_pk_fma_f16 v40, v25, s18, v55 op_sel_hi:[1,0,1]
	v_pk_fma_f16 v41, v26, s19, v54 op_sel_hi:[1,0,1]
	v_or_b32_e32 v25, 0x64006400, v60
	v_or_b32_e32 v26, 0x64006400, v61
	ds_read2_b32 v[60:61], v29 offset0:2 offset1:3
	v_sub_f16_e32 v34, 0xd400, v35
	v_sub_f16_e32 v35, 0xcc00, v35
	;; [unrolled: 1-line block ×4, first 2 shown]
	v_mul_u32_u24_e32 v53, 0x10001, v34
	v_sub_f16_e32 v43, 0xd400, v37
	v_sub_f16_e32 v37, 0xcc00, v37
	v_mul_u32_u24_e32 v52, 0x10001, v35
	v_mul_u32_u24_e32 v50, 0x10001, v42
	v_mul_u32_u24_e32 v51, 0x10001, v36
	v_pk_fma_f16 v36, v25, s18, v53 op_sel_hi:[1,0,1]
	v_or_b32_e32 v25, 0x64006400, v62
	v_mul_u32_u24_e32 v42, 0x10001, v43
	v_mul_u32_u24_e32 v43, 0x10001, v37
	v_pk_fma_f16 v37, v26, s19, v52 op_sel_hi:[1,0,1]
	v_or_b32_e32 v26, 0x64006400, v63
	v_pk_fma_f16 v34, v25, s18, v50 op_sel_hi:[1,0,1]
	v_or_b32_e32 v16, 0x64006400, v16
	;; [unrolled: 2-line block ×3, first 2 shown]
	v_pk_fma_f16 v25, v16, s18, v42 op_sel_hi:[1,0,1]
	s_waitcnt lgkmcnt(0)
	v_pk_fma_f16 v16, v36, v60, v48
	v_pk_fma_f16 v48, v34, v60, v49
	v_pk_fma_f16 v26, v4, s19, v43 op_sel_hi:[1,0,1]
	v_pk_fma_f16 v4, v40, v60, v59
	v_pk_fma_f16 v62, v35, v61, v48
	v_pk_fma_f16 v48, v25, v60, v58
	v_pk_fma_f16 v4, v41, v61, v4
	v_pk_fma_f16 v16, v37, v61, v16
	v_pk_fma_f16 v61, v26, v61, v48
	v_and_b32_e32 v48, 0x30003, v11
	v_or_b32_e32 v48, 0x64006400, v48
	v_pk_add_f16 v48, v45, v48
	v_and_b32_e32 v45, 0xc000c, v11
	v_or_b32_e32 v45, 0x64006400, v45
	v_pk_fma_f16 v49, v45, s6, v46 op_sel_hi:[1,0,1]
	v_and_b32_e32 v45, 0x30003, v10
	v_or_b32_e32 v45, 0x64006400, v45
	v_pk_add_f16 v46, v44, v45
	v_and_b32_e32 v44, 0xc000c, v10
	v_or_b32_e32 v44, 0x64006400, v44
	v_pk_fma_f16 v47, v44, s6, v47 op_sel_hi:[1,0,1]
	;; [unrolled: 6-line block ×4, first 2 shown]
	ds_read2_b32 v[56:57], v29 offset0:4 offset1:5
	s_waitcnt lgkmcnt(0)
	v_pk_fma_f16 v4, v48, v56, v4
	v_pk_fma_f16 v58, v49, v57, v4
	;; [unrolled: 1-line block ×8, first 2 shown]
	v_and_b32_e32 v4, 0x300030, v11
	v_or_b32_e32 v4, 0x64006400, v4
	v_pk_fma_f16 v56, v4, s18, v55 op_sel_hi:[1,0,1]
	v_and_b32_e32 v4, 0xc000c0, v11
	v_or_b32_e32 v4, 0x64006400, v4
	v_pk_fma_f16 v57, v4, s19, v54 op_sel_hi:[1,0,1]
	;; [unrolled: 3-line block ×4, first 2 shown]
	v_and_b32_e32 v4, 0x300030, v1
	v_and_b32_e32 v1, 0xc000c0, v1
	v_or_b32_e32 v1, 0x64006400, v1
	v_pk_fma_f16 v51, v1, s19, v51 op_sel_hi:[1,0,1]
	v_and_b32_e32 v1, 0x300030, v0
	v_and_b32_e32 v0, 0xc000c0, v0
	v_or_b32_e32 v1, 0x64006400, v1
	v_or_b32_e32 v0, 0x64006400, v0
	v_pk_fma_f16 v42, v1, s18, v42 op_sel_hi:[1,0,1]
	v_pk_fma_f16 v43, v0, s19, v43 op_sel_hi:[1,0,1]
	ds_read2_b32 v[0:1], v29 offset0:6 offset1:7
	v_or_b32_e32 v4, 0x64006400, v4
	v_pk_fma_f16 v50, v4, s18, v50 op_sel_hi:[1,0,1]
	s_waitcnt lgkmcnt(0)
	v_pk_fma_f16 v4, v56, v0, v58
	v_pk_fma_f16 v62, v57, v1, v4
	;; [unrolled: 1-line block ×8, first 2 shown]
	ds_read2_b32 v[0:1], v29 offset0:64 offset1:65
	ds_read2_b32 v[60:61], v29 offset0:128 offset1:129
	s_waitcnt lgkmcnt(1)
	v_pk_fma_f16 v4, v2, v0, 0
	v_pk_fma_f16 v10, v32, v0, 0
	v_pk_fma_f16 v11, v30, v0, 0
	v_pk_fma_f16 v0, v27, v0, 0
	v_pk_fma_f16 v4, v3, v1, v4
	v_pk_fma_f16 v10, v33, v1, v10
	v_pk_fma_f16 v11, v31, v1, v11
	v_pk_fma_f16 v16, v28, v1, v0
	ds_read2_b32 v[0:1], v29 offset0:66 offset1:67
	s_waitcnt lgkmcnt(0)
	v_pk_fma_f16 v4, v40, v0, v4
	v_pk_fma_f16 v10, v36, v0, v10
	v_pk_fma_f16 v11, v34, v0, v11
	v_pk_fma_f16 v0, v25, v0, v16
	v_pk_fma_f16 v4, v41, v1, v4
	v_pk_fma_f16 v10, v37, v1, v10
	v_pk_fma_f16 v11, v35, v1, v11
	v_pk_fma_f16 v16, v26, v1, v0
	;; [unrolled: 10-line block ×3, first 2 shown]
	ds_read2_b32 v[0:1], v29 offset0:70 offset1:71
	s_waitcnt lgkmcnt(0)
	v_pk_fma_f16 v10, v54, v0, v10
	v_pk_fma_f16 v19, v55, v1, v10
	;; [unrolled: 1-line block ×6, first 2 shown]
	ds_read2_b32 v[10:11], v29 offset0:130 offset1:131
	v_pk_fma_f16 v59, v43, v1, v0
	v_pk_fma_f16 v0, v2, v60, 0
	;; [unrolled: 1-line block ×3, first 2 shown]
	ds_read2_b32 v[2:3], v29 offset0:132 offset1:133
	s_waitcnt lgkmcnt(1)
	v_pk_fma_f16 v0, v40, v10, v0
	v_pk_fma_f16 v0, v41, v11, v0
	;; [unrolled: 1-line block ×3, first 2 shown]
	s_waitcnt lgkmcnt(0)
	v_pk_fma_f16 v0, v48, v2, v0
	v_pk_fma_f16 v16, v49, v3, v0
	ds_read2_b32 v[0:1], v29 offset0:134 offset1:135
	v_pk_fma_f16 v29, v32, v60, 0
	v_pk_fma_f16 v29, v33, v61, v29
	;; [unrolled: 1-line block ×5, first 2 shown]
	v_pack_b32_f16 v32, v62, v63
	v_perm_b32 v33, v63, v62, s20
	v_pk_fma_f16 v29, v47, v3, v29
	v_pk_add_f16 v32, v32, v33
	s_waitcnt lgkmcnt(0)
	v_pk_fma_f16 v16, v56, v0, v16
	v_pk_fma_f16 v29, v54, v0, v29
	;; [unrolled: 1-line block ×3, first 2 shown]
	v_pack_b32_f16 v32, v4, v19
	v_perm_b32 v4, v19, v4, s20
	v_pk_fma_f16 v16, v57, v1, v16
	v_pk_fma_f16 v29, v55, v1, v29
	v_pk_add_f16 v4, v32, v4
	v_pk_fma_f16 v15, v4, v6, v15
	v_pack_b32_f16 v4, v16, v29
	v_perm_b32 v16, v29, v16, s20
	v_pk_add_f16 v4, v4, v16
	v_pk_fma_f16 v13, v4, v6, v13
	v_pk_fma_f16 v4, v30, v60, 0
	;; [unrolled: 1-line block ×17, first 2 shown]
	v_pack_b32_f16 v1, v52, v53
	v_perm_b32 v2, v53, v52, s20
	v_pk_add_f16 v1, v1, v2
	v_pk_fma_f16 v17, v1, v7, v17
	v_pack_b32_f16 v1, v58, v59
	v_perm_b32 v2, v59, v58, s20
	v_pk_add_f16 v1, v1, v2
	v_pk_fma_f16 v14, v1, v7, v14
	v_pack_b32_f16 v1, v29, v0
	v_perm_b32 v0, v0, v29, s20
	v_pk_add_f16 v0, v1, v0
	v_pk_fma_f16 v12, v0, v7, v12
	v_mov_b32_e32 v0, s1
	v_addc_co_u32_e32 v9, vcc, v9, v0, vcc
	s_cbranch_scc1 .LBB23_14
.LBB23_12:                              ; =>This Inner Loop Header: Depth=1
	s_cmp_lg_u32 s24, s21
	s_cbranch_scc1 .LBB23_11
; %bb.13:                               ;   in Loop: Header=BB23_12 Depth=1
	buffer_load_dword v0, off, s[28:31], 0 offset:8 ; 4-byte Folded Reload
	s_add_i32 s4, s4, 1
	s_mul_i32 s8, s4, s16
	s_ashr_i32 s9, s8, 31
	s_lshr_b32 s9, s9, 28
	s_add_i32 s9, s8, s9
	s_ashr_i32 s9, s9, 4
	v_mov_b32_e32 v2, s11
	v_mov_b32_e32 v3, s13
	s_add_i32 s21, s21, s3
	s_waitcnt vmcnt(0)
	v_add_u32_e32 v0, s9, v0
	v_ashrrev_i32_e32 v1, 31, v0
	v_lshlrev_b64 v[0:1], 2, v[0:1]
	v_add_co_u32_e32 v0, vcc, s10, v0
	v_addc_co_u32_e32 v1, vcc, v2, v1, vcc
	global_load_dword v2, v[0:1], off
	s_nop 0
	buffer_load_dword v0, off, s[28:31], 0  ; 4-byte Folded Reload
	buffer_load_dword v1, off, s[28:31], 0 offset:4 ; 4-byte Folded Reload
	s_waitcnt vmcnt(1)
	v_add_u32_e32 v0, s8, v0
	s_waitcnt vmcnt(0)
	v_ashrrev_i32_e32 v1, 31, v0
	v_lshlrev_b64 v[0:1], 1, v[0:1]
	v_add_co_u32_e32 v0, vcc, s12, v0
	v_addc_co_u32_e32 v1, vcc, v3, v1, vcc
	global_load_dwordx2 v[6:7], v[0:1], off
	s_nop 0
	buffer_load_dword v1, off, s[28:31], 0 offset:12 ; 4-byte Folded Reload
	s_waitcnt vmcnt(0)
	v_lshrrev_b32_e32 v0, v1, v2
	v_bfe_u32 v21, v2, v1, 2
	v_bfe_u32 v24, v0, 2, 2
	;; [unrolled: 1-line block ×4, first 2 shown]
	s_branch .LBB23_11
.LBB23_14:
	buffer_load_dword v0, off, s[28:31], 0  ; 4-byte Folded Reload
	buffer_load_dword v1, off, s[28:31], 0 offset:4 ; 4-byte Folded Reload
	s_mul_i32 s7, s7, s16
	v_mov_b32_e32 v3, s15
	s_mov_b64 s[0:1], 0
	s_waitcnt vmcnt(1)
	v_add_u32_e32 v0, s7, v0
	s_waitcnt vmcnt(0)
	v_ashrrev_i32_e32 v1, 31, v0
	v_lshlrev_b64 v[1:2], 1, v[0:1]
	v_add_co_u32_e32 v1, vcc, s14, v1
	v_addc_co_u32_e32 v2, vcc, v3, v2, vcc
	global_load_dword v4, v[1:2], off
.LBB23_15:                              ; =>This Inner Loop Header: Depth=1
	s_waitcnt vmcnt(0)
	v_pk_add_f16 v3, v5, v4
	global_atomic_cmpswap v3, v[1:2], v[3:4], off glc
	s_waitcnt vmcnt(0)
	v_cmp_eq_u32_e32 vcc, v4, v3
	s_or_b64 s[0:1], vcc, s[0:1]
	v_mov_b32_e32 v4, v3
	s_andn2_b64 exec, exec, s[0:1]
	s_cbranch_execnz .LBB23_15
; %bb.16:
	s_or_b64 exec, exec, s[0:1]
	global_load_dword v4, v[1:2], off offset:4
	s_mov_b64 s[0:1], 0
.LBB23_17:                              ; =>This Inner Loop Header: Depth=1
	s_waitcnt vmcnt(0)
	v_pk_add_f16 v3, v17, v4
	global_atomic_cmpswap v3, v[1:2], v[3:4], off offset:4 glc
	s_waitcnt vmcnt(0)
	v_cmp_eq_u32_e32 vcc, v4, v3
	s_or_b64 s[0:1], vcc, s[0:1]
	v_mov_b32_e32 v4, v3
	s_andn2_b64 exec, exec, s[0:1]
	s_cbranch_execnz .LBB23_17
; %bb.18:
	s_or_b64 exec, exec, s[0:1]
	v_add_u32_e32 v0, s16, v0
	v_ashrrev_i32_e32 v1, 31, v0
	v_lshlrev_b64 v[1:2], 1, v[0:1]
	v_mov_b32_e32 v3, s15
	v_add_co_u32_e32 v1, vcc, s14, v1
	v_addc_co_u32_e32 v2, vcc, v3, v2, vcc
	global_load_dword v4, v[1:2], off
	s_mov_b64 s[0:1], 0
.LBB23_19:                              ; =>This Inner Loop Header: Depth=1
	s_waitcnt vmcnt(0)
	v_pk_add_f16 v3, v15, v4
	global_atomic_cmpswap v3, v[1:2], v[3:4], off glc
	s_waitcnt vmcnt(0)
	v_cmp_eq_u32_e32 vcc, v4, v3
	s_or_b64 s[0:1], vcc, s[0:1]
	v_mov_b32_e32 v4, v3
	s_andn2_b64 exec, exec, s[0:1]
	s_cbranch_execnz .LBB23_19
; %bb.20:
	s_or_b64 exec, exec, s[0:1]
	global_load_dword v4, v[1:2], off offset:4
	s_mov_b64 s[0:1], 0
.LBB23_21:                              ; =>This Inner Loop Header: Depth=1
	s_waitcnt vmcnt(0)
	v_pk_add_f16 v3, v14, v4
	global_atomic_cmpswap v3, v[1:2], v[3:4], off offset:4 glc
	s_waitcnt vmcnt(0)
	v_cmp_eq_u32_e32 vcc, v4, v3
	s_or_b64 s[0:1], vcc, s[0:1]
	v_mov_b32_e32 v4, v3
	s_andn2_b64 exec, exec, s[0:1]
	s_cbranch_execnz .LBB23_21
; %bb.22:
	s_or_b64 exec, exec, s[0:1]
	v_add_u32_e32 v0, s16, v0
	v_ashrrev_i32_e32 v1, 31, v0
	v_lshlrev_b64 v[0:1], 1, v[0:1]
	v_mov_b32_e32 v2, s15
	v_add_co_u32_e32 v0, vcc, s14, v0
	v_addc_co_u32_e32 v1, vcc, v2, v1, vcc
	global_load_dword v3, v[0:1], off
	s_mov_b64 s[0:1], 0
.LBB23_23:                              ; =>This Inner Loop Header: Depth=1
	s_waitcnt vmcnt(0)
	v_pk_add_f16 v2, v13, v3
	global_atomic_cmpswap v2, v[0:1], v[2:3], off glc
	s_waitcnt vmcnt(0)
	v_cmp_eq_u32_e32 vcc, v3, v2
	s_or_b64 s[0:1], vcc, s[0:1]
	v_mov_b32_e32 v3, v2
	s_andn2_b64 exec, exec, s[0:1]
	s_cbranch_execnz .LBB23_23
; %bb.24:
	s_or_b64 exec, exec, s[0:1]
	global_load_dword v3, v[0:1], off offset:4
	s_mov_b64 s[0:1], 0
.LBB23_25:                              ; =>This Inner Loop Header: Depth=1
	s_waitcnt vmcnt(0)
	v_pk_add_f16 v2, v12, v3
	global_atomic_cmpswap v2, v[0:1], v[2:3], off offset:4 glc
	s_waitcnt vmcnt(0)
	v_cmp_eq_u32_e32 vcc, v3, v2
	s_or_b64 s[0:1], vcc, s[0:1]
	v_mov_b32_e32 v3, v2
	s_andn2_b64 exec, exec, s[0:1]
	s_cbranch_execnz .LBB23_25
.LBB23_26:
	s_endpgm
	.section	.rodata,"a",@progbits
	.p2align	6, 0x0
	.amdhsa_kernel _ZN4vllm4gptq33gemm_half_q_half_gptq_2bit_kernelILb1ELi3EEEvPK6__halfPKjS6_S4_PS2_iiiibPKi
		.amdhsa_group_segment_fixed_size 768
		.amdhsa_private_segment_fixed_size 20
		.amdhsa_kernarg_size 72
		.amdhsa_user_sgpr_count 6
		.amdhsa_user_sgpr_private_segment_buffer 1
		.amdhsa_user_sgpr_dispatch_ptr 0
		.amdhsa_user_sgpr_queue_ptr 0
		.amdhsa_user_sgpr_kernarg_segment_ptr 1
		.amdhsa_user_sgpr_dispatch_id 0
		.amdhsa_user_sgpr_flat_scratch_init 0
		.amdhsa_user_sgpr_private_segment_size 0
		.amdhsa_uses_dynamic_stack 0
		.amdhsa_system_sgpr_private_segment_wavefront_offset 1
		.amdhsa_system_sgpr_workgroup_id_x 1
		.amdhsa_system_sgpr_workgroup_id_y 1
		.amdhsa_system_sgpr_workgroup_id_z 1
		.amdhsa_system_sgpr_workgroup_info 0
		.amdhsa_system_vgpr_workitem_id 0
		.amdhsa_next_free_vgpr 64
		.amdhsa_next_free_sgpr 32
		.amdhsa_reserve_vcc 1
		.amdhsa_reserve_flat_scratch 0
		.amdhsa_float_round_mode_32 0
		.amdhsa_float_round_mode_16_64 0
		.amdhsa_float_denorm_mode_32 3
		.amdhsa_float_denorm_mode_16_64 3
		.amdhsa_dx10_clamp 1
		.amdhsa_ieee_mode 1
		.amdhsa_fp16_overflow 0
		.amdhsa_exception_fp_ieee_invalid_op 0
		.amdhsa_exception_fp_denorm_src 0
		.amdhsa_exception_fp_ieee_div_zero 0
		.amdhsa_exception_fp_ieee_overflow 0
		.amdhsa_exception_fp_ieee_underflow 0
		.amdhsa_exception_fp_ieee_inexact 0
		.amdhsa_exception_int_div_zero 0
	.end_amdhsa_kernel
	.section	.text._ZN4vllm4gptq33gemm_half_q_half_gptq_2bit_kernelILb1ELi3EEEvPK6__halfPKjS6_S4_PS2_iiiibPKi,"axG",@progbits,_ZN4vllm4gptq33gemm_half_q_half_gptq_2bit_kernelILb1ELi3EEEvPK6__halfPKjS6_S4_PS2_iiiibPKi,comdat
.Lfunc_end23:
	.size	_ZN4vllm4gptq33gemm_half_q_half_gptq_2bit_kernelILb1ELi3EEEvPK6__halfPKjS6_S4_PS2_iiiibPKi, .Lfunc_end23-_ZN4vllm4gptq33gemm_half_q_half_gptq_2bit_kernelILb1ELi3EEEvPK6__halfPKjS6_S4_PS2_iiiibPKi
                                        ; -- End function
	.set _ZN4vllm4gptq33gemm_half_q_half_gptq_2bit_kernelILb1ELi3EEEvPK6__halfPKjS6_S4_PS2_iiiibPKi.num_vgpr, 64
	.set _ZN4vllm4gptq33gemm_half_q_half_gptq_2bit_kernelILb1ELi3EEEvPK6__halfPKjS6_S4_PS2_iiiibPKi.num_agpr, 0
	.set _ZN4vllm4gptq33gemm_half_q_half_gptq_2bit_kernelILb1ELi3EEEvPK6__halfPKjS6_S4_PS2_iiiibPKi.numbered_sgpr, 32
	.set _ZN4vllm4gptq33gemm_half_q_half_gptq_2bit_kernelILb1ELi3EEEvPK6__halfPKjS6_S4_PS2_iiiibPKi.num_named_barrier, 0
	.set _ZN4vllm4gptq33gemm_half_q_half_gptq_2bit_kernelILb1ELi3EEEvPK6__halfPKjS6_S4_PS2_iiiibPKi.private_seg_size, 20
	.set _ZN4vllm4gptq33gemm_half_q_half_gptq_2bit_kernelILb1ELi3EEEvPK6__halfPKjS6_S4_PS2_iiiibPKi.uses_vcc, 1
	.set _ZN4vllm4gptq33gemm_half_q_half_gptq_2bit_kernelILb1ELi3EEEvPK6__halfPKjS6_S4_PS2_iiiibPKi.uses_flat_scratch, 0
	.set _ZN4vllm4gptq33gemm_half_q_half_gptq_2bit_kernelILb1ELi3EEEvPK6__halfPKjS6_S4_PS2_iiiibPKi.has_dyn_sized_stack, 0
	.set _ZN4vllm4gptq33gemm_half_q_half_gptq_2bit_kernelILb1ELi3EEEvPK6__halfPKjS6_S4_PS2_iiiibPKi.has_recursion, 0
	.set _ZN4vllm4gptq33gemm_half_q_half_gptq_2bit_kernelILb1ELi3EEEvPK6__halfPKjS6_S4_PS2_iiiibPKi.has_indirect_call, 0
	.section	.AMDGPU.csdata,"",@progbits
; Kernel info:
; codeLenInByte = 3976
; TotalNumSgprs: 36
; NumVgprs: 64
; ScratchSize: 20
; MemoryBound: 0
; FloatMode: 240
; IeeeMode: 1
; LDSByteSize: 768 bytes/workgroup (compile time only)
; SGPRBlocks: 4
; VGPRBlocks: 15
; NumSGPRsForWavesPerEU: 36
; NumVGPRsForWavesPerEU: 64
; Occupancy: 4
; WaveLimiterHint : 0
; COMPUTE_PGM_RSRC2:SCRATCH_EN: 1
; COMPUTE_PGM_RSRC2:USER_SGPR: 6
; COMPUTE_PGM_RSRC2:TRAP_HANDLER: 0
; COMPUTE_PGM_RSRC2:TGID_X_EN: 1
; COMPUTE_PGM_RSRC2:TGID_Y_EN: 1
; COMPUTE_PGM_RSRC2:TGID_Z_EN: 1
; COMPUTE_PGM_RSRC2:TIDIG_COMP_CNT: 0
	.section	.text._ZN4vllm4gptq33gemm_half_q_half_gptq_3bit_kernelILb1ELi3EEEvPK6__halfPKjS6_S4_PS2_iiiibPKi,"axG",@progbits,_ZN4vllm4gptq33gemm_half_q_half_gptq_3bit_kernelILb1ELi3EEEvPK6__halfPKjS6_S4_PS2_iiiibPKi,comdat
	.protected	_ZN4vllm4gptq33gemm_half_q_half_gptq_3bit_kernelILb1ELi3EEEvPK6__halfPKjS6_S4_PS2_iiiibPKi ; -- Begin function _ZN4vllm4gptq33gemm_half_q_half_gptq_3bit_kernelILb1ELi3EEEvPK6__halfPKjS6_S4_PS2_iiiibPKi
	.globl	_ZN4vllm4gptq33gemm_half_q_half_gptq_3bit_kernelILb1ELi3EEEvPK6__halfPKjS6_S4_PS2_iiiibPKi
	.p2align	8
	.type	_ZN4vllm4gptq33gemm_half_q_half_gptq_3bit_kernelILb1ELi3EEEvPK6__halfPKjS6_S4_PS2_iiiibPKi,@function
_ZN4vllm4gptq33gemm_half_q_half_gptq_3bit_kernelILb1ELi3EEEvPK6__halfPKjS6_S4_PS2_iiiibPKi: ; @_ZN4vllm4gptq33gemm_half_q_half_gptq_3bit_kernelILb1ELi3EEEvPK6__halfPKjS6_S4_PS2_iiiibPKi
; %bb.0:
	s_mov_b64 s[42:43], s[2:3]
	s_load_dwordx4 s[16:19], s[4:5], 0x2c
	s_mov_b64 s[40:41], s[0:1]
	s_add_u32 s40, s40, s9
	s_addc_u32 s41, s41, 0
	s_lshl_b32 s25, s8, 7
	s_add_i32 s0, s25, 0x80
	v_cvt_f64_u32_e32 v[1:2], s0
	s_waitcnt lgkmcnt(0)
	v_cvt_f64_i32_e32 v[3:4], s17
	s_load_dwordx8 s[8:15], s[4:5], 0x8
	s_mul_i32 s24, s7, 3
	v_min_f64 v[1:2], v[1:2], v[3:4]
	v_cvt_i32_f64_e32 v2, v[1:2]
	v_add_u32_e32 v1, s25, v0
	v_readfirstlane_b32 s26, v2
	v_cmp_lt_u32_e32 vcc, v1, v2
	s_and_saveexec_b64 s[2:3], vcc
	s_cbranch_execz .LBB24_8
; %bb.1:
	s_load_dwordx2 s[0:1], s[4:5], 0x40
	s_load_dwordx2 s[20:21], s[4:5], 0x0
	v_mov_b32_e32 v2, 0
	v_lshlrev_b64 v[3:4], 2, v[1:2]
	s_waitcnt lgkmcnt(0)
	v_mov_b32_e32 v5, s1
	v_add_co_u32_e32 v3, vcc, s0, v3
	s_cmp_lg_u64 s[0:1], 0
	v_addc_co_u32_e32 v4, vcc, v5, v4, vcc
	v_mov_b32_e32 v6, v2
	s_cselect_b64 s[4:5], -1, 0
	s_cmp_eq_u64 s[0:1], 0
	v_mov_b32_e32 v5, v1
	s_cbranch_scc1 .LBB24_3
; %bb.2:
	global_load_dword v5, v[3:4], off
	s_waitcnt vmcnt(0)
	v_ashrrev_i32_e32 v6, 31, v5
.LBB24_3:
	s_mul_i32 s22, s24, s17
	s_ashr_i32 s23, s22, 31
	s_lshl_b64 s[0:1], s[22:23], 1
	s_add_u32 s0, s20, s0
	v_lshlrev_b64 v[5:6], 1, v[5:6]
	s_addc_u32 s1, s21, s1
	v_mov_b32_e32 v7, s1
	v_add_co_u32_e32 v5, vcc, s0, v5
	v_addc_co_u32_e32 v6, vcc, v7, v6, vcc
	global_load_ushort v5, v[5:6], off
	v_lshlrev_b32_e32 v7, 1, v0
	v_cndmask_b32_e64 v6, 0, 1, s[4:5]
	v_cmp_ne_u32_e64 s[0:1], 1, v6
	s_andn2_b64 vcc, exec, s[4:5]
	s_waitcnt vmcnt(0)
	ds_write_b16 v7, v5
	v_mov_b32_e32 v6, v2
	v_mov_b32_e32 v5, v1
	s_cbranch_vccnz .LBB24_5
; %bb.4:
	global_load_dword v5, v[3:4], off
	s_waitcnt vmcnt(0)
	v_ashrrev_i32_e32 v6, 31, v5
.LBB24_5:
	s_add_i32 s4, s22, s17
	s_ashr_i32 s5, s4, 31
	s_lshl_b64 s[22:23], s[4:5], 1
	s_add_u32 s5, s20, s22
	v_lshlrev_b64 v[5:6], 1, v[5:6]
	s_addc_u32 s7, s21, s23
	v_mov_b32_e32 v8, s7
	v_add_co_u32_e32 v5, vcc, s5, v5
	v_addc_co_u32_e32 v6, vcc, v8, v6, vcc
	global_load_ushort v5, v[5:6], off
	s_and_b64 vcc, exec, s[0:1]
	s_waitcnt vmcnt(0)
	ds_write_b16 v7, v5 offset:256
	s_cbranch_vccnz .LBB24_7
; %bb.6:
	global_load_dword v1, v[3:4], off
	s_waitcnt vmcnt(0)
	v_ashrrev_i32_e32 v2, 31, v1
.LBB24_7:
	s_add_i32 s0, s4, s17
	s_ashr_i32 s1, s0, 31
	s_lshl_b64 s[0:1], s[0:1], 1
	s_add_u32 s0, s20, s0
	v_lshlrev_b64 v[1:2], 1, v[1:2]
	s_addc_u32 s1, s21, s1
	v_mov_b32_e32 v3, s1
	v_add_co_u32_e32 v1, vcc, s0, v1
	v_addc_co_u32_e32 v2, vcc, v3, v2, vcc
	global_load_ushort v1, v[1:2], off
	s_waitcnt vmcnt(0)
	ds_write_b16 v7, v1 offset:512
.LBB24_8:
	s_or_b64 exec, exec, s[2:3]
	v_lshlrev_b32_e32 v0, 2, v0
	v_lshl_add_u32 v2, s6, 9, v0
	v_mov_b32_e32 v1, v2
	buffer_store_dword v1, off, s[40:43], 0 offset:288 ; 4-byte Folded Spill
	s_nop 0
	buffer_store_dword v2, off, s[40:43], 0 offset:292 ; 4-byte Folded Spill
	v_cmp_gt_i32_e32 vcc, s16, v2
	s_and_saveexec_b64 s[0:1], vcc
	s_cbranch_execz .LBB24_58
; %bb.9:
	s_abs_i32 s0, s18
	v_cvt_f32_u32_e32 v1, s0
	s_sub_i32 s3, 0, s0
	s_abs_i32 s2, s17
	s_xor_b32 s1, s17, s18
	v_rcp_iflag_f32_e32 v1, v1
	s_ashr_i32 s1, s1, 31
	v_and_b32_e32 v0, 28, v0
	v_cmp_lt_u32_e32 vcc, 4, v0
	v_mul_f32_e32 v1, 0x4f7ffffe, v1
	v_cvt_u32_f32_e32 v1, v1
	s_waitcnt vmcnt(0) lgkmcnt(0)
	s_barrier
	v_readfirstlane_b32 s4, v1
	s_mul_i32 s3, s3, s4
	s_mul_hi_u32 s3, s4, s3
	s_add_i32 s4, s4, s3
	s_mul_hi_u32 s3, s2, s4
	s_mul_i32 s4, s3, s0
	s_sub_i32 s2, s2, s4
	s_add_i32 s5, s3, 1
	s_sub_i32 s4, s2, s0
	s_cmp_ge_u32 s2, s0
	s_cselect_b32 s3, s5, s3
	s_cselect_b32 s2, s4, s2
	s_add_i32 s4, s3, 1
	s_cmp_ge_u32 s2, s0
	s_cselect_b32 s0, s4, s3
	s_xor_b32 s0, s0, s1
	s_sub_i32 s27, s0, s1
	v_cvt_f32_u32_e32 v1, s27
	s_sub_i32 s0, 0, s27
                                        ; implicit-def: $vgpr3
	v_rcp_iflag_f32_e32 v1, v1
	v_mul_f32_e32 v1, 0x4f7ffffe, v1
	v_cvt_u32_f32_e32 v1, v1
	v_readfirstlane_b32 s1, v1
	s_mul_i32 s0, s0, s1
	s_mul_hi_u32 s0, s1, s0
	s_add_i32 s1, s1, s0
	s_mul_hi_u32 s0, s25, s1
	s_mul_i32 s1, s0, s27
	s_sub_i32 s1, s25, s1
	s_add_i32 s2, s0, 1
	s_sub_i32 s3, s1, s27
	s_cmp_ge_u32 s1, s27
	s_cselect_b32 s0, s2, s0
	s_cselect_b32 s1, s3, s1
	s_add_i32 s2, s0, 1
	s_cmp_ge_u32 s1, s27
	s_cselect_b32 s28, s2, s0
                                        ; implicit-def: $vgpr1
	s_and_saveexec_b64 s[0:1], vcc
	s_xor_b64 s[2:3], exec, s[0:1]
	s_cbranch_execz .LBB24_23
; %bb.10:
	v_cmp_ne_u32_e64 s[0:1], 8, v0
                                        ; implicit-def: $vgpr3
                                        ; implicit-def: $vgpr1
	s_and_saveexec_b64 s[4:5], s[0:1]
	s_xor_b64 s[4:5], exec, s[4:5]
	s_cbranch_execz .LBB24_20
; %bb.11:
	v_cmp_lt_u32_e64 s[0:1], 16, v0
                                        ; implicit-def: $vgpr3
                                        ; implicit-def: $vgpr1
	s_and_saveexec_b64 s[6:7], s[0:1]
	s_xor_b64 s[6:7], exec, s[6:7]
	s_cbranch_execz .LBB24_17
; %bb.12:
	buffer_load_dword v1, off, s[40:43], 0 offset:288 ; 4-byte Folded Reload
	buffer_load_dword v2, off, s[40:43], 0 offset:292 ; 4-byte Folded Reload
	s_mul_i32 s17, s28, s16
	s_ashr_i32 s0, s17, 31
	s_lshr_b32 s0, s0, 27
	s_add_i32 s0, s17, s0
	s_ashr_i32 s0, s0, 5
	v_mov_b32_e32 v3, s11
	s_waitcnt vmcnt(1)
	v_lshl_add_u32 v1, v1, 1, v1
	s_waitcnt vmcnt(0)
	v_ashrrev_i32_e32 v2, 31, v1
	v_lshrrev_b32_e32 v2, 27, v2
	v_add_u32_e32 v1, v1, v2
	v_ashrrev_i32_e32 v1, 5, v1
	v_mad_u64_u32 v[1:2], s[0:1], s0, 3, v[1:2]
	v_ashrrev_i32_e32 v2, 31, v1
	v_lshlrev_b64 v[1:2], 2, v[1:2]
	v_add_co_u32_e64 v1, s[0:1], s10, v1
	v_addc_co_u32_e64 v2, s[0:1], v3, v2, s[0:1]
	global_load_dword v4, v[1:2], off
	v_cmp_ne_u32_e64 s[0:1], 20, v0
                                        ; implicit-def: $vgpr3
	s_and_saveexec_b64 s[20:21], s[0:1]
	s_xor_b64 s[0:1], exec, s[20:21]
	s_cbranch_execz .LBB24_14
; %bb.13:
	v_not_b32_e32 v1, 63
	v_mad_u32_u24 v1, v0, 3, v1
	s_waitcnt vmcnt(0)
	v_lshrrev_b32_e32 v3, v1, v4
                                        ; implicit-def: $vgpr1_vgpr2
                                        ; implicit-def: $vgpr4
.LBB24_14:
	s_andn2_saveexec_b64 s[0:1], s[0:1]
	s_cbranch_execz .LBB24_16
; %bb.15:
	global_load_dword v1, v[1:2], off offset:4
	s_waitcnt vmcnt(0)
	v_alignbit_b32 v1, v1, v4, 28
	v_and_b32_e32 v3, 0xfff, v1
.LBB24_16:
	s_or_b64 exec, exec, s[0:1]
	v_mov_b32_e32 v1, s17
.LBB24_17:
	s_andn2_saveexec_b64 s[6:7], s[6:7]
	s_cbranch_execz .LBB24_19
; %bb.18:
	buffer_load_dword v1, off, s[40:43], 0 offset:288 ; 4-byte Folded Reload
	buffer_load_dword v2, off, s[40:43], 0 offset:292 ; 4-byte Folded Reload
	s_mul_i32 s17, s28, s16
	s_ashr_i32 s0, s17, 31
	s_lshr_b32 s0, s0, 27
	s_add_i32 s0, s17, s0
	s_ashr_i32 s0, s0, 5
	v_mov_b32_e32 v3, s11
	s_waitcnt vmcnt(1)
	v_lshl_add_u32 v1, v1, 1, v1
	s_waitcnt vmcnt(0)
	v_ashrrev_i32_e32 v2, 31, v1
	v_lshrrev_b32_e32 v2, 27, v2
	v_add_u32_e32 v1, v1, v2
	v_ashrrev_i32_e32 v1, 5, v1
	v_mad_u64_u32 v[1:2], s[0:1], s0, 3, v[1:2]
	v_ashrrev_i32_e32 v2, 31, v1
	v_lshlrev_b64 v[1:2], 2, v[1:2]
	v_add_co_u32_e64 v1, s[0:1], s10, v1
	v_addc_co_u32_e64 v2, s[0:1], v3, v2, s[0:1]
	global_load_dword v1, v[1:2], off
	v_not_b32_e32 v2, 31
	v_mad_u32_u24 v2, v0, 3, v2
	s_waitcnt vmcnt(0)
	v_lshrrev_b32_e32 v3, v2, v1
	v_mov_b32_e32 v1, s17
.LBB24_19:
	s_or_b64 exec, exec, s[6:7]
.LBB24_20:
	s_andn2_saveexec_b64 s[4:5], s[4:5]
	s_cbranch_execz .LBB24_22
; %bb.21:
	buffer_load_dword v1, off, s[40:43], 0 offset:288 ; 4-byte Folded Reload
	buffer_load_dword v2, off, s[40:43], 0 offset:292 ; 4-byte Folded Reload
	s_mul_i32 s6, s28, s16
	s_ashr_i32 s0, s6, 31
	s_lshr_b32 s0, s0, 27
	s_add_i32 s0, s6, s0
	s_ashr_i32 s0, s0, 5
	v_mov_b32_e32 v3, s11
	s_waitcnt vmcnt(1)
	v_lshl_add_u32 v1, v1, 1, v1
	s_waitcnt vmcnt(0)
	v_ashrrev_i32_e32 v2, 31, v1
	v_lshrrev_b32_e32 v2, 27, v2
	v_add_u32_e32 v1, v1, v2
	v_ashrrev_i32_e32 v1, 5, v1
	v_mad_u64_u32 v[1:2], s[0:1], s0, 3, v[1:2]
	v_ashrrev_i32_e32 v2, 31, v1
	v_lshlrev_b64 v[1:2], 2, v[1:2]
	v_add_co_u32_e64 v1, s[0:1], s10, v1
	v_addc_co_u32_e64 v2, s[0:1], v3, v2, s[0:1]
	global_load_dwordx2 v[1:2], v[1:2], off
	s_mov_b32 s0, 0x2010007
	s_waitcnt vmcnt(0)
	v_perm_b32 v1, v1, v2, s0
	v_and_b32_e32 v3, 0xfff, v1
	v_mov_b32_e32 v1, s6
.LBB24_22:
	s_or_b64 exec, exec, s[4:5]
.LBB24_23:
	s_or_saveexec_b64 s[2:3], s[2:3]
	buffer_load_dword v4, off, s[40:43], 0 offset:288 ; 4-byte Folded Reload
	buffer_load_dword v5, off, s[40:43], 0 offset:292 ; 4-byte Folded Reload
	s_waitcnt vmcnt(0)
	v_mul_u32_u24_e32 v5, 3, v0
	buffer_store_dword v5, off, s[40:43], 0 offset:304 ; 4-byte Folded Spill
	v_lshl_add_u32 v2, v4, 1, v4
	v_ashrrev_i32_e32 v4, 31, v2
	s_xor_b64 exec, exec, s[2:3]
	s_cbranch_execz .LBB24_25
; %bb.24:
	s_mul_i32 s4, s28, s16
	s_ashr_i32 s0, s4, 31
	s_lshr_b32 s0, s0, 27
	v_lshrrev_b32_e32 v1, 27, v4
	s_add_i32 s0, s4, s0
	v_add_u32_e32 v1, v2, v1
	s_ashr_i32 s0, s0, 5
	v_ashrrev_i32_e32 v1, 5, v1
	v_mad_u64_u32 v[5:6], s[0:1], s0, 3, v[1:2]
	v_mov_b32_e32 v1, s11
	v_mul_u32_u24_e32 v3, 3, v0
	v_ashrrev_i32_e32 v6, 31, v5
	v_lshlrev_b64 v[5:6], 2, v[5:6]
	v_add_co_u32_e64 v5, s[0:1], s10, v5
	v_addc_co_u32_e64 v6, s[0:1], v1, v6, s[0:1]
	global_load_dword v1, v[5:6], off
	s_waitcnt vmcnt(0)
	v_lshrrev_b32_e32 v3, v3, v1
	v_mov_b32_e32 v1, s4
.LBB24_25:
	s_or_b64 exec, exec, s[2:3]
	s_mov_b32 s29, 0
	v_mov_b32_e32 v35, 0
	s_cmp_ge_i32 s25, s26
	v_mov_b32_e32 v9, 0
	v_mov_b32_e32 v32, 0
	;; [unrolled: 1-line block ×5, first 2 shown]
	s_cbranch_scc1 .LBB24_46
; %bb.26:
	buffer_load_dword v5, off, s[40:43], 0 offset:288 ; 4-byte Folded Reload
	buffer_load_dword v6, off, s[40:43], 0 offset:292 ; 4-byte Folded Reload
	s_add_i32 s30, s27, s25
	v_cmp_lt_u32_e64 s[2:3], 16, v0
	v_cmp_ne_u32_e64 s[4:5], 20, v0
	s_mul_hi_i32 s31, s16, 12
	s_mul_i32 s33, s16, 12
	s_mov_b32 s34, 0x10001
	s_mov_b32 s35, 0x64006400
	s_movk_i32 s36, 0x3000
	s_movk_i32 s37, 0x2400
	s_mov_b32 s38, 0x7060302
	v_mov_b32_e32 v15, 0
	v_mov_b32_e32 v32, 0
	;; [unrolled: 1-line block ×4, first 2 shown]
	s_waitcnt vmcnt(1)
	v_mov_b32_e32 v7, v5
	v_add_u32_e32 v5, v1, v7
	s_waitcnt vmcnt(0)
	v_ashrrev_i32_e32 v6, 31, v5
	v_lshlrev_b64 v[5:6], 1, v[5:6]
	v_mov_b32_e32 v1, s13
	v_add_co_u32_e64 v5, s[0:1], s12, v5
	v_addc_co_u32_e64 v6, s[0:1], v1, v6, s[0:1]
	global_load_dwordx2 v[5:6], v[5:6], off
	s_lshr_b32 s0, s25, 5
	s_mul_i32 s0, s0, s16
	s_mul_i32 s6, s0, 3
	s_ashr_i32 s7, s6, 31
	s_bitcmp1_b32 s19, 0
	s_cselect_b64 s[0:1], -1, 0
	s_xor_b64 s[0:1], s[0:1], -1
	v_cndmask_b32_e64 v1, 0, 1, s[0:1]
	v_cmp_ne_u32_e64 s[0:1], 8, v0
	v_ashrrev_i32_e32 v8, 31, v7
	s_ashr_i32 s17, s16, 31
	s_lshl_b64 s[6:7], s[6:7], 2
	s_add_u32 s6, s8, s6
	s_addc_u32 s7, s9, s7
	s_lshl_b64 s[8:9], s[16:17], 2
	s_mov_b32 s17, 0x2010007
	s_waitcnt vmcnt(0)
	buffer_store_dword v5, off, s[40:43], 0 offset:260 ; 4-byte Folded Spill
	s_nop 0
	buffer_store_dword v6, off, s[40:43], 0 offset:264 ; 4-byte Folded Spill
	buffer_store_dword v1, off, s[40:43], 0 offset:284 ; 4-byte Folded Spill
	v_bfe_u32 v1, v3, 9, 3
	buffer_store_dword v1, off, s[40:43], 0 offset:268 ; 4-byte Folded Spill
	v_bfe_u32 v1, v3, 6, 3
	;; [unrolled: 2-line block ×3, first 2 shown]
	buffer_store_dword v1, off, s[40:43], 0 offset:276 ; 4-byte Folded Spill
	v_and_b32_e32 v1, 7, v3
	buffer_store_dword v1, off, s[40:43], 0 offset:280 ; 4-byte Folded Spill
	v_lshrrev_b32_e32 v1, 27, v4
	v_add_u32_e32 v1, v2, v1
	v_ashrrev_i32_e32 v1, 5, v1
	buffer_store_dword v1, off, s[40:43], 0 offset:296 ; 4-byte Folded Spill
	s_nop 0
	buffer_store_dword v2, off, s[40:43], 0 offset:300 ; 4-byte Folded Spill
	v_not_b32_e32 v1, 63
	v_mad_u32_u24 v1, v0, 3, v1
	buffer_store_dword v1, off, s[40:43], 0 offset:312 ; 4-byte Folded Spill
	v_not_b32_e32 v1, 31
	v_mad_u32_u24 v0, v0, 3, v1
	buffer_store_dword v0, off, s[40:43], 0 offset:308 ; 4-byte Folded Spill
	v_mov_b32_e32 v0, v7
	buffer_store_dword v0, off, s[40:43], 0 offset:288 ; 4-byte Folded Spill
	s_nop 0
	buffer_store_dword v1, off, s[40:43], 0 offset:292 ; 4-byte Folded Spill
	v_lshlrev_b64 v[0:1], 2, v[7:8]
	v_mov_b32_e32 v2, s7
	v_add_co_u32_e64 v10, s[6:7], s6, v0
	v_addc_co_u32_e64 v11, s[6:7], v2, v1, s[6:7]
	v_mov_b32_e32 v7, 0
	v_mov_b32_e32 v8, 0
	s_branch .LBB24_29
.LBB24_27:                              ;   in Loop: Header=BB24_29 Depth=1
	s_or_b64 exec, exec, s[6:7]
	buffer_load_dword v1, off, s[40:43], 0 offset:288 ; 4-byte Folded Reload
	buffer_load_dword v2, off, s[40:43], 0 offset:292 ; 4-byte Folded Reload
	v_mov_b32_e32 v3, s13
	s_add_i32 s30, s30, s27
	s_waitcnt vmcnt(1)
	v_add_u32_e32 v1, s39, v1
	s_waitcnt vmcnt(0)
	v_ashrrev_i32_e32 v2, 31, v1
	v_lshlrev_b64 v[1:2], 1, v[1:2]
	v_add_co_u32_e64 v1, s[6:7], s12, v1
	v_addc_co_u32_e64 v2, s[6:7], v3, v2, s[6:7]
	global_load_dwordx2 v[1:2], v[1:2], off
	s_waitcnt vmcnt(0)
	buffer_store_dword v1, off, s[40:43], 0 offset:260 ; 4-byte Folded Spill
	s_nop 0
	buffer_store_dword v2, off, s[40:43], 0 offset:264 ; 4-byte Folded Spill
	v_and_b32_e32 v1, 7, v0
	buffer_store_dword v1, off, s[40:43], 0 offset:280 ; 4-byte Folded Spill
	v_bfe_u32 v1, v0, 3, 3
	buffer_store_dword v1, off, s[40:43], 0 offset:276 ; 4-byte Folded Spill
	v_bfe_u32 v1, v0, 6, 3
	v_bfe_u32 v0, v0, 9, 3
	buffer_store_dword v1, off, s[40:43], 0 offset:272 ; 4-byte Folded Spill
	buffer_store_dword v0, off, s[40:43], 0 offset:268 ; 4-byte Folded Spill
.LBB24_28:                              ;   in Loop: Header=BB24_29 Depth=1
	buffer_store_dword v35, off, s[40:43], 0 offset:52 ; 4-byte Folded Spill
	buffer_store_dword v9, off, s[40:43], 0 offset:48 ; 4-byte Folded Spill
	;; [unrolled: 1-line block ×6, first 2 shown]
	buffer_store_dword v10, off, s[40:43], 0 ; 4-byte Folded Spill
	s_nop 0
	buffer_store_dword v11, off, s[40:43], 0 offset:4 ; 4-byte Folded Spill
	buffer_load_dword v0, off, s[40:43], 0  ; 4-byte Folded Reload
	buffer_load_dword v1, off, s[40:43], 0 offset:4 ; 4-byte Folded Reload
	v_mov_b32_e32 v2, s9
	v_mov_b32_e32 v51, s29
	s_add_i32 s29, s29, 64
	s_add_i32 s25, s25, 32
	s_cmp_ge_i32 s25, s26
	s_waitcnt vmcnt(0)
	global_load_dwordx4 v[11:14], v[0:1], off
	s_nop 0
	buffer_load_dword v0, off, s[40:43], 0  ; 4-byte Folded Reload
	buffer_load_dword v1, off, s[40:43], 0 offset:4 ; 4-byte Folded Reload
	buffer_load_dword v3, off, s[40:43], 0  ; 4-byte Folded Reload
	buffer_load_dword v4, off, s[40:43], 0 offset:4 ; 4-byte Folded Reload
	s_waitcnt vmcnt(3)
	v_add_co_u32_e64 v0, s[6:7], s8, v0
	s_waitcnt vmcnt(0)
	v_addc_co_u32_e64 v1, s[6:7], v4, v2, s[6:7]
	global_load_dwordx4 v[16:19], v[0:1], off
	v_add_co_u32_e64 v7, s[6:7], s8, v0
	v_lshrrev_b32_e32 v0, 15, v11
	buffer_store_dword v0, off, s[40:43], 0 offset:68 ; 4-byte Folded Spill
	v_lshrrev_b32_e32 v0, 15, v12
	buffer_store_dword v0, off, s[40:43], 0 offset:64 ; 4-byte Folded Spill
	;; [unrolled: 2-line block ×4, first 2 shown]
	v_addc_co_u32_e64 v8, s[6:7], v1, v2, s[6:7]
	v_and_b32_e32 v9, 0x70007, v11
	v_and_b32_e32 v10, 0x380038, v11
	v_lshrrev_b32_e32 v6, 6, v11
	v_and_b32_e32 v39, 0x70007, v14
	v_and_b32_e32 v46, 0x380038, v14
	v_lshrrev_b32_e32 v1, 6, v14
	;; [unrolled: 3-line block ×4, first 2 shown]
	v_or_b32_e32 v9, 0x64006400, v9
	v_or_b32_e32 v15, 0x64006400, v15
	;; [unrolled: 1-line block ×3, first 2 shown]
	s_waitcnt vmcnt(4)
	v_lshrrev_b32_e32 v0, 14, v16
	buffer_store_dword v0, off, s[40:43], 0 offset:84 ; 4-byte Folded Spill
	v_lshrrev_b32_e32 v0, 14, v17
	buffer_store_dword v0, off, s[40:43], 0 offset:80 ; 4-byte Folded Spill
	;; [unrolled: 2-line block ×3, first 2 shown]
	v_and_b32_e32 v0, 0x380038, v19
	v_and_b32_e32 v42, 0x70007, v16
	;; [unrolled: 1-line block ×3, first 2 shown]
	v_lshrrev_b32_e32 v40, 6, v16
	v_and_b32_e32 v58, 0x70007, v17
	v_and_b32_e32 v26, 0x380038, v17
	v_lshrrev_b32_e32 v54, 6, v17
	v_and_b32_e32 v36, 0x70007, v18
	v_and_b32_e32 v41, 0x380038, v18
	v_lshrrev_b32_e32 v53, 6, v18
	v_and_b32_e32 v3, 0x70007, v19
	buffer_store_dword v0, off, s[40:43], 0 offset:24 ; 4-byte Folded Spill
	v_lshrrev_b32_e32 v60, 6, v19
	v_lshrrev_b32_e32 v0, 14, v19
	global_load_dwordx4 v[16:19], v[7:8], off
	s_waitcnt vmcnt(0)
	v_and_b32_e32 v50, 0x70007, v16
	buffer_store_dword v0, off, s[40:43], 0 offset:72 ; 4-byte Folded Spill
	v_lshrrev_b32_e32 v0, 13, v16
	buffer_store_dword v0, off, s[40:43], 0 offset:232 ; 4-byte Folded Spill
	v_lshrrev_b32_e32 v0, 13, v17
	buffer_store_dword v0, off, s[40:43], 0 offset:160 ; 4-byte Folded Spill
	v_lshrrev_b32_e32 v0, 13, v18
	buffer_store_dword v0, off, s[40:43], 0 offset:92 ; 4-byte Folded Spill
	v_and_b32_e32 v52, 0x380038, v16
	v_lshrrev_b32_e32 v30, 6, v16
	buffer_load_dword v16, off, s[40:43], 0 offset:284 ; 4-byte Folded Reload
	buffer_load_dword v0, off, s[40:43], 0 offset:280 ; 4-byte Folded Reload
	v_and_b32_e32 v4, 0x70007, v17
	v_and_b32_e32 v44, 0x380038, v17
	v_lshrrev_b32_e32 v22, 6, v17
	v_mov_b32_e32 v17, 0xe400e400
	v_and_b32_e32 v11, 0x70007, v19
	v_and_b32_e32 v43, 0x380038, v19
	v_lshrrev_b32_e32 v34, 6, v19
	v_lshrrev_b32_e32 v14, 13, v19
	v_and_b32_e32 v48, 0x70007, v18
	v_and_b32_e32 v13, 0x380038, v18
	v_lshrrev_b32_e32 v21, 6, v18
	v_or_b32_e32 v13, 0x64006400, v13
	v_or_b32_e32 v11, 0x64006400, v11
	v_and_b32_e32 v14, 0x40004, v14
	ds_read2_b32 v[61:62], v51 offset0:2 offset1:3
	s_waitcnt vmcnt(0)
	v_add_u32_e32 v0, v0, v16
	v_cvt_f32_u32_e32 v7, v0
	v_mad_u32_u24 v20, v0, s34, v17
	buffer_load_dword v0, off, s[40:43], 0 offset:276 ; 4-byte Folded Reload
	v_cvt_f16_f32_e32 v25, v7
	s_waitcnt vmcnt(0)
	v_add_u32_e32 v0, v0, v16
	v_cvt_f32_u32_e32 v8, v0
	v_mad_u32_u24 v19, v0, s34, v17
	buffer_load_dword v0, off, s[40:43], 0 offset:272 ; 4-byte Folded Reload
	v_cvt_f16_f32_e32 v24, v8
	;; [unrolled: 6-line block ×3, first 2 shown]
	s_waitcnt vmcnt(0)
	v_add_u32_e32 v0, v0, v16
	v_cvt_f32_u32_e32 v16, v0
	v_mad_u32_u24 v17, v0, s34, v17
	v_sub_f16_e32 v0, 0xd800, v25
	v_mul_u32_u24_e32 v59, 0x10001, v0
	v_cvt_f16_f32_e32 v7, v16
	v_sub_f16_e32 v0, 0xd800, v24
	v_mul_u32_u24_e32 v56, 0x10001, v0
	v_sub_f16_e32 v0, 0xd800, v8
	v_sub_f16_e32 v12, 0xd800, v7
	v_mul_u32_u24_e32 v0, 0x10001, v0
	v_mul_u32_u24_e32 v38, 0x10001, v12
	v_pk_add_f16 v12, v20, v9
	v_or_b32_e32 v9, 0x64006400, v32
	v_pk_fma_f16 v28, v15, s36, v56 op_sel_hi:[1,0,1]
	v_or_b32_e32 v15, 0x64006400, v37
	v_pk_add_f16 v27, v19, v9
	v_or_b32_e32 v9, 0x64006400, v35
	v_pk_fma_f16 v37, v15, s36, v0 op_sel_hi:[1,0,1]
	v_or_b32_e32 v15, 0x64006400, v46
	v_pk_add_f16 v33, v18, v9
	v_or_b32_e32 v9, 0x64006400, v39
	v_pk_fma_f16 v39, v15, s36, v38 op_sel_hi:[1,0,1]
	ds_read2_b32 v[15:16], v51 offset1:1
	v_pk_add_f16 v29, v17, v9
	v_and_b32_e32 v46, 0x380038, v2
	buffer_store_dword v37, off, s[40:43], 0 offset:20 ; 4-byte Folded Spill
	buffer_store_dword v39, off, s[40:43], 0 offset:12 ; 4-byte Folded Spill
	s_waitcnt lgkmcnt(0)
	v_pk_fma_f16 v9, v12, v15, 0
	v_pk_fma_f16 v32, v27, v15, 0
	;; [unrolled: 1-line block ×6, first 2 shown]
	v_and_b32_e32 v39, 0x70007, v2
	v_or_b32_e32 v46, 0x64006400, v46
	v_pk_fma_f16 v10, v10, s36, v59 op_sel_hi:[1,0,1]
	v_and_b32_e32 v15, 0x70007, v6
	v_or_b32_e32 v39, 0x64006400, v39
	v_pk_fma_f16 v55, v46, s36, v56 op_sel_hi:[1,0,1]
	v_and_b32_e32 v46, 0x380038, v5
	v_pk_fma_f16 v9, v10, v16, v9
	v_pk_fma_f16 v32, v28, v16, v32
	v_or_b32_e32 v15, 0x64006400, v15
	v_and_b32_e32 v16, 0x380038, v6
	v_pk_add_f16 v49, v19, v39
	v_and_b32_e32 v39, 0x70007, v5
	v_or_b32_e32 v46, 0x64006400, v46
	buffer_store_dword v12, off, s[40:43], 0 offset:88 ; 4-byte Folded Spill
	v_or_b32_e32 v16, 0x64006400, v16
	v_pk_add_f16 v15, v20, v15
	v_or_b32_e32 v39, 0x64006400, v39
	v_pk_fma_f16 v12, v46, s36, v0 op_sel_hi:[1,0,1]
	v_and_b32_e32 v46, 0x380038, v1
	buffer_store_dword v29, off, s[40:43], 0 offset:8 ; 4-byte Folded Spill
	v_pk_fma_f16 v16, v16, s36, v59 op_sel_hi:[1,0,1]
	v_pk_add_f16 v29, v18, v39
	v_and_b32_e32 v39, 0x70007, v1
	v_or_b32_e32 v46, 0x64006400, v46
	v_pk_fma_f16 v9, v15, v61, v9
	buffer_store_dword v33, off, s[40:43], 0 offset:16 ; 4-byte Folded Spill
	v_or_b32_e32 v39, 0x64006400, v39
	v_pk_fma_f16 v33, v46, s36, v38 op_sel_hi:[1,0,1]
	v_pk_fma_f16 v46, v16, v62, v9
	v_pk_fma_f16 v9, v49, v61, v32
	buffer_store_dword v10, off, s[40:43], 0 offset:136 ; 4-byte Folded Spill
	v_pk_add_f16 v10, v17, v39
	v_pk_fma_f16 v32, v55, v62, v9
	v_pk_fma_f16 v9, v29, v61, v35
	v_pk_fma_f16 v63, v12, v62, v9
	v_pk_fma_f16 v9, v10, v61, v37
	v_pk_fma_f16 v37, v33, v62, v9
	v_sub_f16_e32 v9, 0xcc00, v25
	v_and_b32_e32 v6, 0x1c001c0, v6
	buffer_store_dword v49, off, s[40:43], 0 offset:112 ; 4-byte Folded Spill
	v_mul_u32_u24_e32 v49, 0x10001, v9
	v_sub_f16_e32 v7, 0xcc00, v7
	v_or_b32_e32 v6, 0x64006400, v6
	buffer_store_dword v15, off, s[40:43], 0 offset:120 ; 4-byte Folded Spill
	v_sub_f16_e32 v9, 0xcc00, v24
	v_mul_u32_u24_e32 v24, 0x10001, v7
	v_or_b32_e32 v7, 0x64006400, v42
	v_pk_fma_f16 v15, v6, s37, v49 op_sel_hi:[1,0,1]
	v_or_b32_e32 v6, 0x64006400, v58
	buffer_store_dword v16, off, s[40:43], 0 offset:124 ; 4-byte Folded Spill
	buffer_store_dword v12, off, s[40:43], 0 offset:104 ; 4-byte Folded Spill
	v_pk_add_f16 v16, v20, v7
	v_and_b32_e32 v2, 0x1c001c0, v2
	v_pk_add_f16 v12, v19, v6
	ds_read2_b32 v[6:7], v51 offset0:4 offset1:5
	ds_read2_b32 v[61:62], v51 offset0:6 offset1:7
	v_mul_u32_u24_e32 v57, 0x10001, v9
	v_or_b32_e32 v2, 0x64006400, v2
	buffer_store_dword v10, off, s[40:43], 0 offset:96 ; 4-byte Folded Spill
	v_sub_f16_e32 v8, 0xcc00, v8
	v_pk_fma_f16 v10, v2, s37, v57 op_sel_hi:[1,0,1]
	v_and_b32_e32 v2, 0x1c001c0, v5
	v_and_b32_e32 v1, 0x1c001c0, v1
	v_mul_u32_u24_e32 v25, 0x10001, v8
	v_or_b32_e32 v2, 0x64006400, v2
	v_or_b32_e32 v1, 0x64006400, v1
	;; [unrolled: 1-line block ×3, first 2 shown]
	v_pk_fma_f16 v58, v2, s37, v25 op_sel_hi:[1,0,1]
	v_or_b32_e32 v2, 0x64006400, v3
	v_pk_fma_f16 v8, v1, s37, v24 op_sel_hi:[1,0,1]
	buffer_store_dword v27, off, s[40:43], 0 offset:128 ; 4-byte Folded Spill
	v_pk_add_f16 v27, v18, v5
	v_pk_add_f16 v3, v17, v2
	s_waitcnt lgkmcnt(1)
	v_pk_fma_f16 v1, v15, v6, v46
	v_pk_fma_f16 v2, v10, v6, v32
	;; [unrolled: 1-line block ×4, first 2 shown]
	buffer_store_dword v3, off, s[40:43], 0 offset:140 ; 4-byte Folded Spill
	v_pk_fma_f16 v6, v3, v7, v6
	v_or_b32_e32 v3, 0x64006400, v41
	v_pk_fma_f16 v47, v3, s36, v0 op_sel_hi:[1,0,1]
	buffer_load_dword v3, off, s[40:43], 0 offset:24 ; 4-byte Folded Reload
	v_pk_fma_f16 v1, v16, v7, v1
	buffer_store_dword v27, off, s[40:43], 0 offset:144 ; 4-byte Folded Spill
	v_pk_fma_f16 v2, v12, v7, v2
	v_pk_fma_f16 v5, v27, v7, v5
	v_mov_b32_e32 v27, v8
	v_or_b32_e32 v7, 0x64006400, v23
	v_and_b32_e32 v8, 0x70007, v40
	buffer_store_dword v12, off, s[40:43], 0 offset:152 ; 4-byte Folded Spill
	v_or_b32_e32 v8, 0x64006400, v8
	v_pk_fma_f16 v12, v7, s36, v59 op_sel_hi:[1,0,1]
	v_or_b32_e32 v23, 0x64006400, v26
	v_pk_add_f16 v45, v20, v8
	v_pk_fma_f16 v9, v23, s36, v56 op_sel_hi:[1,0,1]
	s_waitcnt lgkmcnt(0)
	v_pk_fma_f16 v1, v12, v61, v1
	v_pk_fma_f16 v46, v45, v62, v1
	;; [unrolled: 1-line block ×3, first 2 shown]
	v_and_b32_e32 v2, 0x1c001c0, v40
	v_or_b32_e32 v2, 0x64006400, v2
	buffer_store_dword v10, off, s[40:43], 0 offset:148 ; 4-byte Folded Spill
	v_pk_fma_f16 v10, v2, s37, v49 op_sel_hi:[1,0,1]
	v_and_b32_e32 v2, 0x1c001c0, v54
	v_or_b32_e32 v2, 0x64006400, v2
	v_and_b32_e32 v26, 0x70007, v54
	v_and_b32_e32 v23, 0x70007, v53
	v_mov_b32_e32 v41, v9
	v_pk_fma_f16 v9, v2, s37, v57 op_sel_hi:[1,0,1]
	v_or_b32_e32 v26, 0x64006400, v26
	v_or_b32_e32 v23, 0x64006400, v23
	buffer_store_dword v9, off, s[40:43], 0 offset:192 ; 4-byte Folded Spill
	buffer_store_dword v55, off, s[40:43], 0 offset:116 ; 4-byte Folded Spill
	v_pk_add_f16 v42, v19, v26
	v_pk_add_f16 v8, v18, v23
	v_and_b32_e32 v23, 0x70007, v60
	buffer_load_dword v55, off, s[40:43], 0 offset:128 ; 4-byte Folded Reload
	buffer_load_dword v32, off, s[40:43], 0 offset:192 ; 4-byte Folded Reload
	v_or_b32_e32 v23, 0x64006400, v23
	buffer_store_dword v33, off, s[40:43], 0 offset:100 ; 4-byte Folded Spill
	v_pk_fma_f16 v33, v42, v62, v1
	v_pk_fma_f16 v1, v47, v61, v5
	v_mov_b32_e32 v36, v16
	v_pk_add_f16 v16, v17, v23
	v_pk_fma_f16 v5, v8, v62, v1
	buffer_store_dword v8, off, s[40:43], 0 offset:164 ; 4-byte Folded Spill
	v_and_b32_e32 v2, 0x1c001c0, v53
	v_or_b32_e32 v2, 0x64006400, v2
	v_pk_fma_f16 v7, v2, s37, v25 op_sel_hi:[1,0,1]
	v_and_b32_e32 v2, 0x1c001c0, v60
	v_or_b32_e32 v2, 0x64006400, v2
	buffer_store_dword v28, off, s[40:43], 0 offset:132 ; 4-byte Folded Spill
	buffer_store_dword v29, off, s[40:43], 0 offset:108 ; 4-byte Folded Spill
	v_pk_fma_f16 v28, v2, s37, v24 op_sel_hi:[1,0,1]
	buffer_store_dword v7, off, s[40:43], 0 offset:184 ; 4-byte Folded Spill
	v_pk_add_f16 v31, v17, v11
	buffer_store_dword v10, off, s[40:43], 0 offset:196 ; 4-byte Folded Spill
	buffer_store_dword v16, off, s[40:43], 0 offset:28 ; 4-byte Folded Spill
	;; [unrolled: 1-line block ×4, first 2 shown]
	buffer_load_dword v35, off, s[40:43], 0 offset:148 ; 4-byte Folded Reload
	buffer_load_dword v39, off, s[40:43], 0 offset:152 ; 4-byte Folded Reload
	s_waitcnt vmcnt(18)
	v_or_b32_e32 v3, 0x64006400, v3
	v_pk_fma_f16 v3, v3, s36, v38 op_sel_hi:[1,0,1]
	v_pk_fma_f16 v1, v3, v61, v6
	v_pk_fma_f16 v61, v16, v62, v1
	v_and_b32_e32 v1, 0x380038, v40
	v_or_b32_e32 v1, 0x64006400, v1
	v_pk_fma_f16 v23, v1, s36, v59 op_sel_hi:[1,0,1]
	v_and_b32_e32 v1, 0x380038, v54
	v_or_b32_e32 v1, 0x64006400, v1
	v_pk_fma_f16 v8, v1, s36, v56 op_sel_hi:[1,0,1]
	v_and_b32_e32 v1, 0x380038, v53
	v_or_b32_e32 v1, 0x64006400, v1
	buffer_store_dword v3, off, s[40:43], 0 offset:24 ; 4-byte Folded Spill
	v_pk_fma_f16 v3, v1, s36, v0 op_sel_hi:[1,0,1]
	v_and_b32_e32 v1, 0x380038, v60
	v_or_b32_e32 v1, 0x64006400, v1
	v_pk_fma_f16 v29, v1, s36, v38 op_sel_hi:[1,0,1]
	ds_read2_b32 v[1:2], v51 offset0:8 offset1:9
	buffer_store_dword v8, off, s[40:43], 0 offset:188 ; 4-byte Folded Spill
	buffer_store_dword v3, off, s[40:43], 0 offset:180 ; 4-byte Folded Spill
	buffer_load_dword v40, off, s[40:43], 0 offset:112 ; 4-byte Folded Reload
	s_waitcnt lgkmcnt(0)
	v_pk_fma_f16 v46, v23, v1, v46
	v_pk_fma_f16 v33, v8, v1, v33
	;; [unrolled: 1-line block ×8, first 2 shown]
	v_or_b32_e32 v2, 0x64006400, v50
	v_pk_add_f16 v8, v20, v2
	v_or_b32_e32 v2, 0x64006400, v4
	v_or_b32_e32 v4, 0x64006400, v44
	v_pk_fma_f16 v3, v13, s36, v0 op_sel_hi:[1,0,1]
	v_or_b32_e32 v13, 0x64006400, v43
	ds_read2_b32 v[43:44], v51 offset0:10 offset1:11
	v_or_b32_e32 v33, 0x64006400, v52
	v_pk_fma_f16 v9, v33, s36, v59 op_sel_hi:[1,0,1]
	v_or_b32_e32 v33, 0x64006400, v48
	v_pk_add_f16 v7, v19, v2
	v_pk_add_f16 v2, v18, v33
	s_waitcnt lgkmcnt(0)
	v_pk_fma_f16 v5, v2, v43, v5
	v_pk_fma_f16 v61, v3, v44, v5
	v_and_b32_e32 v5, 0x380038, v22
	v_pk_fma_f16 v26, v13, s36, v38 op_sel_hi:[1,0,1]
	v_pk_fma_f16 v1, v31, v43, v1
	v_or_b32_e32 v5, 0x64006400, v5
	buffer_store_dword v3, off, s[40:43], 0 offset:212 ; 4-byte Folded Spill
	v_pk_fma_f16 v62, v26, v44, v1
	v_and_b32_e32 v1, 0x380038, v30
	v_pk_fma_f16 v3, v5, s36, v56 op_sel_hi:[1,0,1]
	v_and_b32_e32 v5, 0x380038, v21
	v_or_b32_e32 v1, 0x64006400, v1
	v_or_b32_e32 v5, 0x64006400, v5
	v_pk_fma_f16 v37, v1, s36, v59 op_sel_hi:[1,0,1]
	v_pk_fma_f16 v1, v5, s36, v0 op_sel_hi:[1,0,1]
	v_and_b32_e32 v0, 0x380038, v34
	v_or_b32_e32 v0, 0x64006400, v0
	v_pk_fma_f16 v10, v0, s36, v38 op_sel_hi:[1,0,1]
	v_and_b32_e32 v0, 0x70007, v30
	v_or_b32_e32 v0, 0x64006400, v0
	v_pk_add_f16 v33, v20, v0
	v_and_b32_e32 v0, 0x70007, v22
	v_pk_fma_f16 v4, v4, s36, v56 op_sel_hi:[1,0,1]
	v_pk_fma_f16 v13, v7, v43, v53
	v_or_b32_e32 v0, 0x64006400, v0
	buffer_store_dword v4, off, s[40:43], 0 offset:220 ; 4-byte Folded Spill
	v_pk_fma_f16 v13, v4, v44, v13
	v_pk_add_f16 v4, v19, v0
	v_and_b32_e32 v0, 0x70007, v21
	v_or_b32_e32 v0, 0x64006400, v0
	buffer_store_dword v2, off, s[40:43], 0 offset:208 ; 4-byte Folded Spill
	v_pk_add_f16 v2, v18, v0
	buffer_load_dword v0, off, s[40:43], 0 offset:84 ; 4-byte Folded Reload
	ds_read2_b32 v[53:54], v51 offset0:12 offset1:13
	v_and_b32_e32 v38, 0x70007, v34
	v_or_b32_e32 v38, 0x64006400, v38
	buffer_store_dword v8, off, s[40:43], 0 offset:236 ; 4-byte Folded Spill
	v_pk_fma_f16 v11, v8, v43, v46
	s_waitcnt lgkmcnt(0)
	v_pk_fma_f16 v13, v4, v53, v13
	v_pk_add_f16 v8, v17, v38
	v_pk_fma_f16 v60, v3, v54, v13
	v_pk_fma_f16 v13, v2, v53, v61
	;; [unrolled: 1-line block ×4, first 2 shown]
	buffer_store_dword v7, off, s[40:43], 0 offset:216 ; 4-byte Folded Spill
	v_pk_fma_f16 v11, v9, v44, v11
	v_pk_fma_f16 v62, v10, v54, v13
	buffer_load_dword v7, off, s[40:43], 0 offset:124 ; 4-byte Folded Reload
	buffer_load_dword v44, off, s[40:43], 0 offset:180 ; 4-byte Folded Reload
	buffer_load_dword v38, off, s[40:43], 0 offset:68 ; 4-byte Folded Reload
	v_and_b32_e32 v30, 0x1c001c0, v30
	v_or_b32_e32 v30, 0x64006400, v30
	buffer_store_dword v9, off, s[40:43], 0 offset:240 ; 4-byte Folded Spill
	v_pk_fma_f16 v16, v30, s37, v49 op_sel_hi:[1,0,1]
	buffer_load_dword v9, off, s[40:43], 0 offset:136 ; 4-byte Folded Reload
	buffer_load_dword v30, off, s[40:43], 0 offset:188 ; 4-byte Folded Reload
	;; [unrolled: 1-line block ×4, first 2 shown]
	v_pk_fma_f16 v11, v33, v53, v11
	v_pk_fma_f16 v11, v37, v54, v11
	buffer_load_dword v54, off, s[40:43], 0 offset:132 ; 4-byte Folded Reload
	buffer_load_dword v46, off, s[40:43], 0 offset:184 ; 4-byte Folded Reload
	;; [unrolled: 1-line block ×3, first 2 shown]
	v_mov_b32_e32 v48, v47
	buffer_store_dword v3, off, s[40:43], 0 offset:252 ; 4-byte Folded Spill
	buffer_store_dword v1, off, s[40:43], 0 offset:244 ; 4-byte Folded Spill
	;; [unrolled: 1-line block ×3, first 2 shown]
	buffer_load_dword v2, off, s[40:43], 0 offset:216 ; 4-byte Folded Reload
	s_waitcnt vmcnt(17)
	v_and_b32_e32 v13, 0x20002, v0
	buffer_load_dword v0, off, s[40:43], 0 offset:232 ; 4-byte Folded Reload
	buffer_load_dword v56, off, s[40:43], 0 offset:100 ; 4-byte Folded Reload
	;; [unrolled: 1-line block ×6, first 2 shown]
	s_waitcnt vmcnt(18)
	v_and_or_b32 v13, v38, s34, v13
	buffer_store_dword v27, off, s[40:43], 0 offset:256 ; 4-byte Folded Spill
	buffer_store_dword v29, off, s[40:43], 0 offset:224 ; 4-byte Folded Spill
	;; [unrolled: 1-line block ×7, first 2 shown]
	s_waitcnt vmcnt(12)
	v_and_b32_e32 v38, 0x40004, v0
	v_or3_b32 v13, v13, v38, s35
	v_pk_add_f16 v6, v20, v13
	buffer_load_dword v20, off, s[40:43], 0 offset:64 ; 4-byte Folded Reload
	buffer_load_dword v0, off, s[40:43], 0 offset:160 ; 4-byte Folded Reload
	v_and_b32_e32 v13, 0x20002, v5
	buffer_load_dword v38, off, s[40:43], 0 offset:212 ; 4-byte Folded Reload
	s_waitcnt vmcnt(2)
	v_and_or_b32 v13, v20, s34, v13
	s_waitcnt vmcnt(1)
	v_and_b32_e32 v20, 0x40004, v0
	v_or3_b32 v13, v13, v20, s35
	v_pk_add_f16 v63, v19, v13
	buffer_load_dword v13, off, s[40:43], 0 offset:76 ; 4-byte Folded Reload
	buffer_load_dword v0, off, s[40:43], 0 offset:92 ; 4-byte Folded Reload
	buffer_load_dword v19, off, s[40:43], 0 offset:60 ; 4-byte Folded Reload
	v_and_b32_e32 v20, 0x1c001c0, v22
	v_or_b32_e32 v20, 0x64006400, v20
	v_pk_fma_f16 v59, v20, s37, v57 op_sel_hi:[1,0,1]
	buffer_load_dword v20, off, s[40:43], 0 offset:88 ; 4-byte Folded Reload
	buffer_load_dword v57, off, s[40:43], 0 offset:96 ; 4-byte Folded Reload
	s_waitcnt vmcnt(4)
	v_and_b32_e32 v13, 0x20002, v13
	s_waitcnt vmcnt(2)
	v_and_or_b32 v13, v19, s34, v13
	v_and_b32_e32 v19, 0x40004, v0
	v_or3_b32 v13, v13, v19, s35
	v_and_b32_e32 v19, 0x1c001c0, v21
	v_or_b32_e32 v19, 0x64006400, v19
	v_pk_add_f16 v15, v18, v13
	buffer_load_dword v13, off, s[40:43], 0 offset:72 ; 4-byte Folded Reload
	v_pk_fma_f16 v12, v19, s37, v25 op_sel_hi:[1,0,1]
	buffer_load_dword v25, off, s[40:43], 0 offset:220 ; 4-byte Folded Reload
	buffer_load_dword v18, off, s[40:43], 0 offset:56 ; 4-byte Folded Reload
	s_waitcnt vmcnt(2)
	v_and_b32_e32 v13, 0x20002, v13
	s_waitcnt vmcnt(0)
	v_and_or_b32 v13, v18, s34, v13
	v_or3_b32 v13, v13, v14, s35
	v_and_b32_e32 v14, 0x1c001c0, v34
	v_or_b32_e32 v14, 0x64006400, v14
	v_pk_fma_f16 v0, v14, s37, v24 op_sel_hi:[1,0,1]
	v_pk_add_f16 v5, v17, v13
	ds_read2_b32 v[13:14], v51 offset0:14 offset1:15
	v_mov_b32_e32 v21, v0
	buffer_load_dword v34, off, s[40:43], 0 offset:244 ; 4-byte Folded Reload
	v_mov_b32_e32 v22, v5
	buffer_store_dword v21, off, s[40:43], 0 offset:72 ; 4-byte Folded Spill
	s_waitcnt lgkmcnt(0)
	v_pk_fma_f16 v11, v16, v13, v11
	v_pk_fma_f16 v3, v6, v14, v11
	;; [unrolled: 1-line block ×3, first 2 shown]
	buffer_store_dword v3, off, s[40:43], 0 offset:80 ; 4-byte Folded Spill
	v_pk_fma_f16 v3, v63, v14, v11
	v_pk_fma_f16 v11, v12, v13, v61
	;; [unrolled: 1-line block ×5, first 2 shown]
	buffer_store_dword v0, off, s[40:43], 0 offset:60 ; 4-byte Folded Spill
	buffer_load_dword v0, off, s[40:43], 0 offset:16 ; 4-byte Folded Reload
	ds_read2_b32 v[13:14], v51 offset0:64 offset1:65
	buffer_load_dword v62, off, s[40:43], 0 offset:140 ; 4-byte Folded Reload
	v_mov_b32_e32 v5, v15
	buffer_store_dword v3, off, s[40:43], 0 offset:84 ; 4-byte Folded Spill
	buffer_store_dword v1, off, s[40:43], 0 offset:56 ; 4-byte Folded Spill
	buffer_load_dword v3, off, s[40:43], 0 offset:120 ; 4-byte Folded Reload
	s_waitcnt lgkmcnt(0)
	v_pk_fma_f16 v17, v55, v13, 0
	buffer_load_dword v1, off, s[40:43], 0 offset:156 ; 4-byte Folded Reload
	v_pk_fma_f16 v17, v54, v14, v17
	buffer_store_dword v22, off, s[40:43], 0 offset:76 ; 4-byte Folded Spill
	s_waitcnt vmcnt(6)
	v_pk_fma_f16 v18, v0, v13, 0
	buffer_load_dword v0, off, s[40:43], 0 offset:20 ; 4-byte Folded Reload
	s_waitcnt vmcnt(0)
	v_pk_fma_f16 v18, v0, v14, v18
	buffer_load_dword v0, off, s[40:43], 0 offset:8 ; 4-byte Folded Reload
	v_pk_fma_f16 v11, v20, v13, 0
	v_pk_fma_f16 v11, v9, v14, v11
	s_waitcnt vmcnt(0)
	v_pk_fma_f16 v13, v0, v13, 0
	buffer_load_dword v0, off, s[40:43], 0 offset:12 ; 4-byte Folded Reload
	s_waitcnt vmcnt(0)
	v_pk_fma_f16 v19, v0, v14, v13
	ds_read2_b32 v[13:14], v51 offset0:66 offset1:67
	buffer_load_dword v0, off, s[40:43], 0 offset:24 ; 4-byte Folded Reload
	s_waitcnt lgkmcnt(0)
	v_pk_fma_f16 v11, v3, v13, v11
	v_pk_fma_f16 v17, v40, v13, v17
	;; [unrolled: 1-line block ×8, first 2 shown]
	ds_read2_b32 v[13:14], v51 offset0:68 offset1:69
	s_waitcnt lgkmcnt(0)
	v_pk_fma_f16 v11, v1, v13, v11
	v_pk_fma_f16 v17, v35, v13, v17
	v_pk_fma_f16 v18, v58, v13, v18
	v_pk_fma_f16 v13, v27, v13, v19
	buffer_load_dword v27, off, s[40:43], 0 offset:168 ; 4-byte Folded Reload
	v_pk_fma_f16 v11, v36, v14, v11
	v_pk_fma_f16 v17, v39, v14, v17
	;; [unrolled: 1-line block ×4, first 2 shown]
	ds_read2_b32 v[13:14], v51 offset0:70 offset1:71
	s_waitcnt lgkmcnt(0)
	v_pk_fma_f16 v17, v41, v13, v17
	v_pk_fma_f16 v18, v48, v13, v18
	;; [unrolled: 1-line block ×3, first 2 shown]
	s_waitcnt vmcnt(0)
	v_pk_fma_f16 v11, v27, v13, v11
	v_pk_fma_f16 v13, v0, v13, v19
	buffer_load_dword v0, off, s[40:43], 0 offset:28 ; 4-byte Folded Reload
	v_pk_fma_f16 v11, v45, v14, v11
	v_pk_fma_f16 v18, v47, v14, v18
	s_waitcnt vmcnt(0)
	v_pk_fma_f16 v19, v0, v14, v13
	ds_read2_b32 v[13:14], v51 offset0:72 offset1:73
	buffer_load_dword v0, off, s[40:43], 0 offset:196 ; 4-byte Folded Reload
	s_waitcnt lgkmcnt(0)
	v_pk_fma_f16 v11, v23, v13, v11
	v_pk_fma_f16 v17, v30, v13, v17
	;; [unrolled: 1-line block ×4, first 2 shown]
	buffer_load_dword v29, off, s[40:43], 0 offset:236 ; 4-byte Folded Reload
	v_pk_fma_f16 v17, v32, v14, v17
	v_pk_fma_f16 v18, v46, v14, v18
	;; [unrolled: 1-line block ×3, first 2 shown]
	buffer_load_dword v28, off, s[40:43], 0 offset:240 ; 4-byte Folded Reload
	s_waitcnt vmcnt(2)
	v_pk_fma_f16 v11, v0, v14, v11
	ds_read2_b32 v[13:14], v51 offset0:74 offset1:75
	s_waitcnt lgkmcnt(0)
	v_pk_fma_f16 v17, v2, v13, v17
	v_pk_fma_f16 v18, v43, v13, v18
	s_waitcnt vmcnt(1)
	v_pk_fma_f16 v11, v29, v13, v11
	v_pk_fma_f16 v13, v31, v13, v19
	;; [unrolled: 1-line block ×3, first 2 shown]
	v_mov_b32_e32 v31, v37
	buffer_load_dword v26, off, s[40:43], 0 offset:252 ; 4-byte Folded Reload
	buffer_load_dword v37, off, s[40:43], 0 offset:248 ; 4-byte Folded Reload
	s_waitcnt vmcnt(2)
	v_pk_fma_f16 v11, v28, v14, v11
	v_pk_fma_f16 v17, v25, v14, v17
	;; [unrolled: 1-line block ×3, first 2 shown]
	ds_read2_b32 v[13:14], v51 offset0:76 offset1:77
	s_waitcnt lgkmcnt(0)
	v_pk_fma_f16 v11, v33, v13, v11
	v_pk_fma_f16 v17, v4, v13, v17
	v_pk_fma_f16 v11, v31, v14, v11
	s_waitcnt vmcnt(1)
	v_pk_fma_f16 v17, v26, v14, v17
	s_waitcnt vmcnt(0)
	v_pk_fma_f16 v18, v37, v13, v18
	v_pk_fma_f16 v13, v8, v13, v19
	;; [unrolled: 1-line block ×4, first 2 shown]
	ds_read2_b32 v[13:14], v51 offset0:78 offset1:79
	s_waitcnt lgkmcnt(0)
	v_pk_fma_f16 v11, v16, v13, v11
	v_pk_fma_f16 v60, v6, v14, v11
	;; [unrolled: 1-line block ×7, first 2 shown]
	buffer_store_dword v8, off, s[40:43], 0 offset:64 ; 4-byte Folded Spill
	v_pk_fma_f16 v8, v22, v14, v11
	ds_read2_b32 v[21:22], v51 offset0:128 offset1:129
	ds_read2_b32 v[17:18], v51 offset0:132 offset1:133
	;; [unrolled: 1-line block ×3, first 2 shown]
	buffer_store_dword v8, off, s[40:43], 0 offset:68 ; 4-byte Folded Spill
	s_waitcnt lgkmcnt(2)
	v_pk_fma_f16 v11, v20, v21, 0
	ds_read2_b32 v[19:20], v51 offset0:130 offset1:131
	v_pk_fma_f16 v10, v9, v22, v11
	s_waitcnt lgkmcnt(0)
	v_pk_fma_f16 v10, v3, v19, v10
	v_pk_fma_f16 v10, v7, v20, v10
	;; [unrolled: 1-line block ×3, first 2 shown]
	ds_read2_b32 v[10:11], v51 offset0:134 offset1:135
	v_pk_fma_f16 v9, v36, v18, v9
	s_waitcnt lgkmcnt(0)
	v_pk_fma_f16 v7, v27, v10, v9
	v_pk_fma_f16 v7, v45, v11, v7
	;; [unrolled: 1-line block ×3, first 2 shown]
	ds_read2_b32 v[23:24], v51 offset0:138 offset1:139
	ds_read2_b32 v[7:8], v51 offset0:142 offset1:143
	v_pk_fma_f16 v3, v0, v14, v3
	s_waitcnt lgkmcnt(1)
	v_pk_fma_f16 v3, v29, v23, v3
	v_pk_fma_f16 v3, v28, v24, v3
	ds_read2_b32 v[27:28], v51 offset0:140 offset1:141
	s_waitcnt lgkmcnt(0)
	v_pk_fma_f16 v3, v33, v27, v3
	v_pk_fma_f16 v1, v31, v28, v3
	;; [unrolled: 1-line block ×15, first 2 shown]
	buffer_load_dword v0, off, s[40:43], 0 offset:80 ; 4-byte Folded Reload
	buffer_load_dword v4, off, s[40:43], 0 offset:84 ; 4-byte Folded Reload
	;; [unrolled: 1-line block ×7, first 2 shown]
	v_pk_fma_f16 v2, v26, v28, v2
	v_pk_fma_f16 v1, v16, v7, v1
	;; [unrolled: 1-line block ×5, first 2 shown]
	s_waitcnt vmcnt(5)
	v_pack_b32_f16 v3, v0, v4
	v_perm_b32 v4, v4, v0, s38
	buffer_load_dword v0, off, s[40:43], 0 offset:16 ; 4-byte Folded Reload
	v_pk_add_f16 v3, v3, v4
	s_waitcnt vmcnt(4)
	v_pk_fma_f16 v35, v3, v39, v35
	v_pack_b32_f16 v3, v60, v61
	v_perm_b32 v4, v61, v60, s38
	v_pk_add_f16 v3, v3, v4
	s_waitcnt vmcnt(2)
	v_pk_fma_f16 v32, v3, v39, v32
	v_pack_b32_f16 v3, v1, v2
	v_perm_b32 v1, v2, v1, s38
	v_pk_add_f16 v1, v3, v1
	s_waitcnt vmcnt(1)
	v_pk_fma_f16 v15, v1, v39, v15
	buffer_load_dword v2, off, s[40:43], 0 offset:12 ; 4-byte Folded Reload
	s_waitcnt vmcnt(1)
	v_pk_fma_f16 v1, v0, v21, 0
	buffer_load_dword v0, off, s[40:43], 0 offset:20 ; 4-byte Folded Reload
	s_waitcnt vmcnt(0)
	v_pk_fma_f16 v1, v0, v22, v1
	v_pk_fma_f16 v1, v53, v19, v1
	;; [unrolled: 1-line block ×12, first 2 shown]
	buffer_load_dword v1, off, s[40:43], 0 offset:8 ; 4-byte Folded Reload
	v_pk_fma_f16 v0, v34, v28, v0
	v_pk_fma_f16 v0, v12, v7, v0
	;; [unrolled: 1-line block ×3, first 2 shown]
	s_waitcnt vmcnt(0)
	v_pk_fma_f16 v1, v1, v21, 0
	v_pk_fma_f16 v1, v2, v22, v1
	buffer_load_dword v2, off, s[40:43], 0 offset:256 ; 4-byte Folded Reload
	v_pk_fma_f16 v1, v57, v19, v1
	v_pk_fma_f16 v1, v56, v20, v1
	s_waitcnt vmcnt(0)
	v_pk_fma_f16 v1, v2, v17, v1
	buffer_load_dword v2, off, s[40:43], 0 offset:24 ; 4-byte Folded Reload
	v_pk_fma_f16 v1, v62, v18, v1
	s_waitcnt vmcnt(0)
	v_pk_fma_f16 v1, v2, v10, v1
	buffer_load_dword v2, off, s[40:43], 0 offset:28 ; 4-byte Folded Reload
	s_waitcnt vmcnt(0)
	v_pk_fma_f16 v1, v2, v11, v1
	buffer_load_dword v2, off, s[40:43], 0 offset:224 ; 4-byte Folded Reload
	;; [unrolled: 3-line block ×7, first 2 shown]
	s_waitcnt vmcnt(0)
	v_pk_fma_f16 v1, v2, v28, v1
	buffer_load_dword v10, off, s[40:43], 0 ; 4-byte Folded Reload
	buffer_load_dword v11, off, s[40:43], 0 offset:4 ; 4-byte Folded Reload
	buffer_load_dword v2, off, s[40:43], 0 offset:72 ; 4-byte Folded Reload
	s_waitcnt vmcnt(2)
	v_add_co_u32_e64 v10, s[6:7], s33, v10
	s_waitcnt vmcnt(0)
	v_pk_fma_f16 v1, v2, v7, v1
	buffer_load_dword v2, off, s[40:43], 0 offset:76 ; 4-byte Folded Reload
	buffer_load_dword v3, off, s[40:43], 0 offset:56 ; 4-byte Folded Reload
	;; [unrolled: 1-line block ×4, first 2 shown]
	s_waitcnt vmcnt(3)
	v_pk_fma_f16 v1, v2, v8, v1
	s_waitcnt vmcnt(1)
	v_pack_b32_f16 v2, v3, v4
	v_perm_b32 v3, v4, v3, s38
	v_pk_add_f16 v2, v2, v3
	buffer_load_dword v3, off, s[40:43], 0 offset:64 ; 4-byte Folded Reload
	buffer_load_dword v4, off, s[40:43], 0 offset:68 ; 4-byte Folded Reload
	;; [unrolled: 1-line block ×4, first 2 shown]
	s_waitcnt vmcnt(4)
	v_pk_fma_f16 v9, v2, v40, v9
	s_waitcnt vmcnt(2)
	v_pack_b32_f16 v2, v3, v4
	v_perm_b32 v3, v4, v3, s38
	v_pk_add_f16 v2, v2, v3
	s_waitcnt vmcnt(1)
	v_pk_fma_f16 v8, v2, v40, v8
	v_pack_b32_f16 v2, v0, v1
	v_perm_b32 v0, v1, v0, s38
	v_pk_add_f16 v0, v2, v0
	s_waitcnt vmcnt(0)
	v_pk_fma_f16 v7, v0, v40, v7
	v_mov_b32_e32 v0, s31
	v_addc_co_u32_e64 v11, s[6:7], v11, v0, s[6:7]
	s_cbranch_scc1 .LBB24_46
.LBB24_29:                              ; =>This Inner Loop Header: Depth=1
	s_cmp_lg_u32 s25, s30
	s_cbranch_scc1 .LBB24_28
; %bb.30:                               ;   in Loop: Header=BB24_29 Depth=1
	buffer_load_dword v0, off, s[40:43], 0 offset:296 ; 4-byte Folded Reload
	buffer_load_dword v1, off, s[40:43], 0 offset:300 ; 4-byte Folded Reload
	s_add_i32 s28, s28, 1
	s_mul_i32 s39, s28, s16
	s_ashr_i32 s6, s39, 31
	s_lshr_b32 s6, s6, 27
	s_add_i32 s6, s39, s6
	s_ashr_i32 s6, s6, 5
	v_mov_b32_e32 v2, s11
	s_waitcnt vmcnt(0)
	v_mad_u64_u32 v[0:1], s[6:7], s6, 3, v[0:1]
	v_ashrrev_i32_e32 v1, 31, v0
	v_lshlrev_b64 v[0:1], 2, v[0:1]
	v_add_co_u32_e64 v5, s[6:7], s10, v0
	v_addc_co_u32_e64 v6, s[6:7], v2, v1, s[6:7]
	global_load_dword v1, v[5:6], off
                                        ; implicit-def: $vgpr0
	s_and_saveexec_b64 s[6:7], vcc
	s_xor_b64 s[6:7], exec, s[6:7]
	s_cbranch_execz .LBB24_44
; %bb.31:                               ;   in Loop: Header=BB24_29 Depth=1
                                        ; implicit-def: $vgpr0
	s_and_saveexec_b64 s[18:19], s[0:1]
	s_xor_b64 s[18:19], exec, s[18:19]
	s_cbranch_execz .LBB24_41
; %bb.32:                               ;   in Loop: Header=BB24_29 Depth=1
                                        ; implicit-def: $vgpr0
	s_and_saveexec_b64 s[20:21], s[2:3]
	;; [unrolled: 5-line block ×3, first 2 shown]
	s_xor_b64 s[22:23], exec, s[22:23]
	s_cbranch_execz .LBB24_35
; %bb.34:                               ;   in Loop: Header=BB24_29 Depth=1
	buffer_load_dword v0, off, s[40:43], 0 offset:312 ; 4-byte Folded Reload
                                        ; implicit-def: $vgpr5_vgpr6
	s_waitcnt vmcnt(0)
	v_lshrrev_b32_e32 v0, v0, v1
                                        ; implicit-def: $vgpr1
.LBB24_35:                              ;   in Loop: Header=BB24_29 Depth=1
	s_andn2_saveexec_b64 s[22:23], s[22:23]
	s_cbranch_execz .LBB24_37
; %bb.36:                               ;   in Loop: Header=BB24_29 Depth=1
	global_load_dword v0, v[5:6], off offset:4
	s_waitcnt vmcnt(0)
	v_alignbit_b32 v0, v0, v1, 28
	v_and_b32_e32 v0, 0xfff, v0
.LBB24_37:                              ;   in Loop: Header=BB24_29 Depth=1
	s_or_b64 exec, exec, s[22:23]
                                        ; implicit-def: $vgpr1
.LBB24_38:                              ;   in Loop: Header=BB24_29 Depth=1
	s_andn2_saveexec_b64 s[20:21], s[20:21]
	s_cbranch_execz .LBB24_40
; %bb.39:                               ;   in Loop: Header=BB24_29 Depth=1
	buffer_load_dword v0, off, s[40:43], 0 offset:308 ; 4-byte Folded Reload
	s_waitcnt vmcnt(0)
	v_lshrrev_b32_e32 v0, v0, v1
.LBB24_40:                              ;   in Loop: Header=BB24_29 Depth=1
	s_or_b64 exec, exec, s[20:21]
                                        ; implicit-def: $vgpr5_vgpr6
                                        ; implicit-def: $vgpr1
.LBB24_41:                              ;   in Loop: Header=BB24_29 Depth=1
	s_andn2_saveexec_b64 s[18:19], s[18:19]
	s_cbranch_execz .LBB24_43
; %bb.42:                               ;   in Loop: Header=BB24_29 Depth=1
	global_load_dword v0, v[5:6], off offset:4
	s_waitcnt vmcnt(0)
	v_perm_b32 v0, v1, v0, s17
	v_and_b32_e32 v0, 0xfff, v0
.LBB24_43:                              ;   in Loop: Header=BB24_29 Depth=1
	s_or_b64 exec, exec, s[18:19]
                                        ; implicit-def: $vgpr1
.LBB24_44:                              ;   in Loop: Header=BB24_29 Depth=1
	s_andn2_saveexec_b64 s[6:7], s[6:7]
	s_cbranch_execz .LBB24_27
; %bb.45:                               ;   in Loop: Header=BB24_29 Depth=1
	buffer_load_dword v0, off, s[40:43], 0 offset:304 ; 4-byte Folded Reload
	s_waitcnt vmcnt(0)
	v_lshrrev_b32_e32 v0, v0, v1
	s_branch .LBB24_27
.LBB24_46:
	buffer_load_dword v0, off, s[40:43], 0 offset:288 ; 4-byte Folded Reload
	buffer_load_dword v1, off, s[40:43], 0 offset:292 ; 4-byte Folded Reload
	s_mul_i32 s24, s24, s16
	v_mov_b32_e32 v3, s15
	s_mov_b64 s[0:1], 0
	s_waitcnt vmcnt(1)
	v_add_u32_e32 v0, s24, v0
	s_waitcnt vmcnt(0)
	v_ashrrev_i32_e32 v1, 31, v0
	v_lshlrev_b64 v[1:2], 1, v[0:1]
	v_add_co_u32_e32 v1, vcc, s14, v1
	v_addc_co_u32_e32 v2, vcc, v3, v2, vcc
	global_load_dword v4, v[1:2], off
.LBB24_47:                              ; =>This Inner Loop Header: Depth=1
	s_waitcnt vmcnt(0)
	v_pk_add_f16 v3, v35, v4
	global_atomic_cmpswap v3, v[1:2], v[3:4], off glc
	s_waitcnt vmcnt(0)
	v_cmp_eq_u32_e32 vcc, v4, v3
	s_or_b64 s[0:1], vcc, s[0:1]
	v_mov_b32_e32 v4, v3
	s_andn2_b64 exec, exec, s[0:1]
	s_cbranch_execnz .LBB24_47
; %bb.48:
	s_or_b64 exec, exec, s[0:1]
	global_load_dword v4, v[1:2], off offset:4
	s_mov_b64 s[0:1], 0
.LBB24_49:                              ; =>This Inner Loop Header: Depth=1
	s_waitcnt vmcnt(0)
	v_pk_add_f16 v3, v9, v4
	global_atomic_cmpswap v3, v[1:2], v[3:4], off offset:4 glc
	s_waitcnt vmcnt(0)
	v_cmp_eq_u32_e32 vcc, v4, v3
	s_or_b64 s[0:1], vcc, s[0:1]
	v_mov_b32_e32 v4, v3
	s_andn2_b64 exec, exec, s[0:1]
	s_cbranch_execnz .LBB24_49
; %bb.50:
	s_or_b64 exec, exec, s[0:1]
	v_add_u32_e32 v0, s16, v0
	v_ashrrev_i32_e32 v1, 31, v0
	v_lshlrev_b64 v[1:2], 1, v[0:1]
	v_mov_b32_e32 v3, s15
	v_add_co_u32_e32 v1, vcc, s14, v1
	v_addc_co_u32_e32 v2, vcc, v3, v2, vcc
	global_load_dword v4, v[1:2], off
	s_mov_b64 s[0:1], 0
.LBB24_51:                              ; =>This Inner Loop Header: Depth=1
	s_waitcnt vmcnt(0)
	v_pk_add_f16 v3, v32, v4
	global_atomic_cmpswap v3, v[1:2], v[3:4], off glc
	s_waitcnt vmcnt(0)
	v_cmp_eq_u32_e32 vcc, v4, v3
	s_or_b64 s[0:1], vcc, s[0:1]
	v_mov_b32_e32 v4, v3
	s_andn2_b64 exec, exec, s[0:1]
	s_cbranch_execnz .LBB24_51
; %bb.52:
	s_or_b64 exec, exec, s[0:1]
	global_load_dword v4, v[1:2], off offset:4
	s_mov_b64 s[0:1], 0
.LBB24_53:                              ; =>This Inner Loop Header: Depth=1
	s_waitcnt vmcnt(0)
	v_pk_add_f16 v3, v8, v4
	global_atomic_cmpswap v3, v[1:2], v[3:4], off offset:4 glc
	s_waitcnt vmcnt(0)
	v_cmp_eq_u32_e32 vcc, v4, v3
	s_or_b64 s[0:1], vcc, s[0:1]
	v_mov_b32_e32 v4, v3
	s_andn2_b64 exec, exec, s[0:1]
	s_cbranch_execnz .LBB24_53
; %bb.54:
	s_or_b64 exec, exec, s[0:1]
	v_add_u32_e32 v0, s16, v0
	v_ashrrev_i32_e32 v1, 31, v0
	v_lshlrev_b64 v[0:1], 1, v[0:1]
	v_mov_b32_e32 v2, s15
	v_add_co_u32_e32 v0, vcc, s14, v0
	v_addc_co_u32_e32 v1, vcc, v2, v1, vcc
	global_load_dword v3, v[0:1], off
	s_mov_b64 s[0:1], 0
.LBB24_55:                              ; =>This Inner Loop Header: Depth=1
	s_waitcnt vmcnt(0)
	v_pk_add_f16 v2, v15, v3
	global_atomic_cmpswap v2, v[0:1], v[2:3], off glc
	s_waitcnt vmcnt(0)
	v_cmp_eq_u32_e32 vcc, v3, v2
	s_or_b64 s[0:1], vcc, s[0:1]
	v_mov_b32_e32 v3, v2
	s_andn2_b64 exec, exec, s[0:1]
	s_cbranch_execnz .LBB24_55
; %bb.56:
	s_or_b64 exec, exec, s[0:1]
	global_load_dword v3, v[0:1], off offset:4
	s_mov_b64 s[0:1], 0
.LBB24_57:                              ; =>This Inner Loop Header: Depth=1
	s_waitcnt vmcnt(0)
	v_pk_add_f16 v2, v7, v3
	global_atomic_cmpswap v2, v[0:1], v[2:3], off offset:4 glc
	s_waitcnt vmcnt(0)
	v_cmp_eq_u32_e32 vcc, v3, v2
	s_or_b64 s[0:1], vcc, s[0:1]
	v_mov_b32_e32 v3, v2
	s_andn2_b64 exec, exec, s[0:1]
	s_cbranch_execnz .LBB24_57
.LBB24_58:
	s_endpgm
	.section	.rodata,"a",@progbits
	.p2align	6, 0x0
	.amdhsa_kernel _ZN4vllm4gptq33gemm_half_q_half_gptq_3bit_kernelILb1ELi3EEEvPK6__halfPKjS6_S4_PS2_iiiibPKi
		.amdhsa_group_segment_fixed_size 768
		.amdhsa_private_segment_fixed_size 320
		.amdhsa_kernarg_size 72
		.amdhsa_user_sgpr_count 6
		.amdhsa_user_sgpr_private_segment_buffer 1
		.amdhsa_user_sgpr_dispatch_ptr 0
		.amdhsa_user_sgpr_queue_ptr 0
		.amdhsa_user_sgpr_kernarg_segment_ptr 1
		.amdhsa_user_sgpr_dispatch_id 0
		.amdhsa_user_sgpr_flat_scratch_init 0
		.amdhsa_user_sgpr_private_segment_size 0
		.amdhsa_uses_dynamic_stack 0
		.amdhsa_system_sgpr_private_segment_wavefront_offset 1
		.amdhsa_system_sgpr_workgroup_id_x 1
		.amdhsa_system_sgpr_workgroup_id_y 1
		.amdhsa_system_sgpr_workgroup_id_z 1
		.amdhsa_system_sgpr_workgroup_info 0
		.amdhsa_system_vgpr_workitem_id 0
		.amdhsa_next_free_vgpr 64
		.amdhsa_next_free_sgpr 44
		.amdhsa_reserve_vcc 1
		.amdhsa_reserve_flat_scratch 0
		.amdhsa_float_round_mode_32 0
		.amdhsa_float_round_mode_16_64 0
		.amdhsa_float_denorm_mode_32 3
		.amdhsa_float_denorm_mode_16_64 3
		.amdhsa_dx10_clamp 1
		.amdhsa_ieee_mode 1
		.amdhsa_fp16_overflow 0
		.amdhsa_exception_fp_ieee_invalid_op 0
		.amdhsa_exception_fp_denorm_src 0
		.amdhsa_exception_fp_ieee_div_zero 0
		.amdhsa_exception_fp_ieee_overflow 0
		.amdhsa_exception_fp_ieee_underflow 0
		.amdhsa_exception_fp_ieee_inexact 0
		.amdhsa_exception_int_div_zero 0
	.end_amdhsa_kernel
	.section	.text._ZN4vllm4gptq33gemm_half_q_half_gptq_3bit_kernelILb1ELi3EEEvPK6__halfPKjS6_S4_PS2_iiiibPKi,"axG",@progbits,_ZN4vllm4gptq33gemm_half_q_half_gptq_3bit_kernelILb1ELi3EEEvPK6__halfPKjS6_S4_PS2_iiiibPKi,comdat
.Lfunc_end24:
	.size	_ZN4vllm4gptq33gemm_half_q_half_gptq_3bit_kernelILb1ELi3EEEvPK6__halfPKjS6_S4_PS2_iiiibPKi, .Lfunc_end24-_ZN4vllm4gptq33gemm_half_q_half_gptq_3bit_kernelILb1ELi3EEEvPK6__halfPKjS6_S4_PS2_iiiibPKi
                                        ; -- End function
	.set _ZN4vllm4gptq33gemm_half_q_half_gptq_3bit_kernelILb1ELi3EEEvPK6__halfPKjS6_S4_PS2_iiiibPKi.num_vgpr, 64
	.set _ZN4vllm4gptq33gemm_half_q_half_gptq_3bit_kernelILb1ELi3EEEvPK6__halfPKjS6_S4_PS2_iiiibPKi.num_agpr, 0
	.set _ZN4vllm4gptq33gemm_half_q_half_gptq_3bit_kernelILb1ELi3EEEvPK6__halfPKjS6_S4_PS2_iiiibPKi.numbered_sgpr, 44
	.set _ZN4vllm4gptq33gemm_half_q_half_gptq_3bit_kernelILb1ELi3EEEvPK6__halfPKjS6_S4_PS2_iiiibPKi.num_named_barrier, 0
	.set _ZN4vllm4gptq33gemm_half_q_half_gptq_3bit_kernelILb1ELi3EEEvPK6__halfPKjS6_S4_PS2_iiiibPKi.private_seg_size, 320
	.set _ZN4vllm4gptq33gemm_half_q_half_gptq_3bit_kernelILb1ELi3EEEvPK6__halfPKjS6_S4_PS2_iiiibPKi.uses_vcc, 1
	.set _ZN4vllm4gptq33gemm_half_q_half_gptq_3bit_kernelILb1ELi3EEEvPK6__halfPKjS6_S4_PS2_iiiibPKi.uses_flat_scratch, 0
	.set _ZN4vllm4gptq33gemm_half_q_half_gptq_3bit_kernelILb1ELi3EEEvPK6__halfPKjS6_S4_PS2_iiiibPKi.has_dyn_sized_stack, 0
	.set _ZN4vllm4gptq33gemm_half_q_half_gptq_3bit_kernelILb1ELi3EEEvPK6__halfPKjS6_S4_PS2_iiiibPKi.has_recursion, 0
	.set _ZN4vllm4gptq33gemm_half_q_half_gptq_3bit_kernelILb1ELi3EEEvPK6__halfPKjS6_S4_PS2_iiiibPKi.has_indirect_call, 0
	.section	.AMDGPU.csdata,"",@progbits
; Kernel info:
; codeLenInByte = 8436
; TotalNumSgprs: 48
; NumVgprs: 64
; ScratchSize: 320
; MemoryBound: 0
; FloatMode: 240
; IeeeMode: 1
; LDSByteSize: 768 bytes/workgroup (compile time only)
; SGPRBlocks: 5
; VGPRBlocks: 15
; NumSGPRsForWavesPerEU: 48
; NumVGPRsForWavesPerEU: 64
; Occupancy: 4
; WaveLimiterHint : 0
; COMPUTE_PGM_RSRC2:SCRATCH_EN: 1
; COMPUTE_PGM_RSRC2:USER_SGPR: 6
; COMPUTE_PGM_RSRC2:TRAP_HANDLER: 0
; COMPUTE_PGM_RSRC2:TGID_X_EN: 1
; COMPUTE_PGM_RSRC2:TGID_Y_EN: 1
; COMPUTE_PGM_RSRC2:TGID_Z_EN: 1
; COMPUTE_PGM_RSRC2:TIDIG_COMP_CNT: 0
	.section	.text._ZN4vllm4gptq33gemm_half_q_half_gptq_4bit_kernelILb1ELi3EEEvPK6__halfPKjS6_S4_PS2_iiiibPKi,"axG",@progbits,_ZN4vllm4gptq33gemm_half_q_half_gptq_4bit_kernelILb1ELi3EEEvPK6__halfPKjS6_S4_PS2_iiiibPKi,comdat
	.protected	_ZN4vllm4gptq33gemm_half_q_half_gptq_4bit_kernelILb1ELi3EEEvPK6__halfPKjS6_S4_PS2_iiiibPKi ; -- Begin function _ZN4vllm4gptq33gemm_half_q_half_gptq_4bit_kernelILb1ELi3EEEvPK6__halfPKjS6_S4_PS2_iiiibPKi
	.globl	_ZN4vllm4gptq33gemm_half_q_half_gptq_4bit_kernelILb1ELi3EEEvPK6__halfPKjS6_S4_PS2_iiiibPKi
	.p2align	8
	.type	_ZN4vllm4gptq33gemm_half_q_half_gptq_4bit_kernelILb1ELi3EEEvPK6__halfPKjS6_S4_PS2_iiiibPKi,@function
_ZN4vllm4gptq33gemm_half_q_half_gptq_4bit_kernelILb1ELi3EEEvPK6__halfPKjS6_S4_PS2_iiiibPKi: ; @_ZN4vllm4gptq33gemm_half_q_half_gptq_4bit_kernelILb1ELi3EEEvPK6__halfPKjS6_S4_PS2_iiiibPKi
; %bb.0:
	s_load_dwordx4 s[16:19], s[4:5], 0x2c
	s_lshl_b32 s24, s8, 7
	s_add_i32 s0, s24, 0x80
	v_cvt_f64_u32_e32 v[1:2], s0
	s_load_dwordx8 s[8:15], s[4:5], 0x8
	s_waitcnt lgkmcnt(0)
	v_cvt_f64_i32_e32 v[3:4], s17
	s_mul_i32 s7, s7, 3
	v_min_f64 v[1:2], v[1:2], v[3:4]
	v_cvt_i32_f64_e32 v2, v[1:2]
	v_add_u32_e32 v1, s24, v0
	v_readfirstlane_b32 s25, v2
	v_cmp_lt_u32_e32 vcc, v1, v2
	s_and_saveexec_b64 s[2:3], vcc
	s_cbranch_execz .LBB25_8
; %bb.1:
	s_load_dwordx2 s[0:1], s[4:5], 0x40
	s_load_dwordx2 s[20:21], s[4:5], 0x0
	v_mov_b32_e32 v2, 0
	v_lshlrev_b64 v[3:4], 2, v[1:2]
	s_waitcnt lgkmcnt(0)
	v_mov_b32_e32 v5, s1
	v_add_co_u32_e32 v3, vcc, s0, v3
	s_cmp_lg_u64 s[0:1], 0
	v_addc_co_u32_e32 v4, vcc, v5, v4, vcc
	v_mov_b32_e32 v6, v2
	s_cselect_b64 s[4:5], -1, 0
	s_cmp_eq_u64 s[0:1], 0
	v_mov_b32_e32 v5, v1
	s_cbranch_scc1 .LBB25_3
; %bb.2:
	global_load_dword v5, v[3:4], off
	s_waitcnt vmcnt(0)
	v_ashrrev_i32_e32 v6, 31, v5
.LBB25_3:
	s_mul_i32 s22, s7, s17
	s_ashr_i32 s23, s22, 31
	s_lshl_b64 s[0:1], s[22:23], 1
	s_add_u32 s0, s20, s0
	v_lshlrev_b64 v[5:6], 1, v[5:6]
	s_addc_u32 s1, s21, s1
	v_mov_b32_e32 v7, s1
	v_add_co_u32_e32 v5, vcc, s0, v5
	v_addc_co_u32_e32 v6, vcc, v7, v6, vcc
	global_load_ushort v5, v[5:6], off
	v_lshlrev_b32_e32 v7, 1, v0
	v_cndmask_b32_e64 v6, 0, 1, s[4:5]
	v_cmp_ne_u32_e64 s[0:1], 1, v6
	s_andn2_b64 vcc, exec, s[4:5]
	s_waitcnt vmcnt(0)
	ds_write_b16 v7, v5
	v_mov_b32_e32 v6, v2
	v_mov_b32_e32 v5, v1
	s_cbranch_vccnz .LBB25_5
; %bb.4:
	global_load_dword v5, v[3:4], off
	s_waitcnt vmcnt(0)
	v_ashrrev_i32_e32 v6, 31, v5
.LBB25_5:
	s_add_i32 s4, s22, s17
	s_ashr_i32 s5, s4, 31
	s_lshl_b64 s[22:23], s[4:5], 1
	s_add_u32 s5, s20, s22
	v_lshlrev_b64 v[5:6], 1, v[5:6]
	s_addc_u32 s22, s21, s23
	v_mov_b32_e32 v8, s22
	v_add_co_u32_e32 v5, vcc, s5, v5
	v_addc_co_u32_e32 v6, vcc, v8, v6, vcc
	global_load_ushort v5, v[5:6], off
	s_and_b64 vcc, exec, s[0:1]
	s_waitcnt vmcnt(0)
	ds_write_b16 v7, v5 offset:256
	s_cbranch_vccnz .LBB25_7
; %bb.6:
	global_load_dword v1, v[3:4], off
	s_waitcnt vmcnt(0)
	v_ashrrev_i32_e32 v2, 31, v1
.LBB25_7:
	s_add_i32 s0, s4, s17
	s_ashr_i32 s1, s0, 31
	s_lshl_b64 s[0:1], s[0:1], 1
	s_add_u32 s0, s20, s0
	v_lshlrev_b64 v[1:2], 1, v[1:2]
	s_addc_u32 s1, s21, s1
	v_mov_b32_e32 v3, s1
	v_add_co_u32_e32 v1, vcc, s0, v1
	v_addc_co_u32_e32 v2, vcc, v3, v2, vcc
	global_load_ushort v1, v[1:2], off
	s_waitcnt vmcnt(0)
	ds_write_b16 v7, v1 offset:512
.LBB25_8:
	s_or_b64 exec, exec, s[2:3]
	v_lshlrev_b32_e32 v1, 2, v0
	v_lshl_add_u32 v1, s6, 9, v1
	v_cmp_gt_i32_e32 vcc, s16, v1
	s_and_saveexec_b64 s[0:1], vcc
	s_cbranch_execz .LBB25_26
; %bb.9:
	s_abs_i32 s0, s18
	v_cvt_f32_u32_e32 v2, s0
	v_mov_b32_e32 v12, 0
	v_mov_b32_e32 v8, 0
	;; [unrolled: 1-line block ×3, first 2 shown]
	v_rcp_iflag_f32_e32 v2, v2
	v_mov_b32_e32 v11, 0
	v_mov_b32_e32 v13, 0
	s_cmp_ge_i32 s24, s25
	v_mul_f32_e32 v2, 0x4f7ffffe, v2
	v_cvt_u32_f32_e32 v2, v2
	v_mov_b32_e32 v14, 0
	v_mov_b32_e32 v15, 0
	;; [unrolled: 1-line block ×3, first 2 shown]
	v_readfirstlane_b32 s1, v2
	v_mov_b32_e32 v17, 0
	v_mov_b32_e32 v18, 0
	;; [unrolled: 1-line block ×4, first 2 shown]
	s_waitcnt lgkmcnt(0)
	s_barrier
	s_cbranch_scc1 .LBB25_14
; %bb.10:
	s_sub_i32 s5, 0, s0
	s_mul_i32 s5, s5, s1
	s_mul_hi_u32 s5, s1, s5
	s_abs_i32 s4, s17
	s_add_i32 s1, s1, s5
	s_ashr_i32 s2, s17, 31
	s_ashr_i32 s3, s18, 31
	s_mul_hi_u32 s1, s4, s1
	s_xor_b32 s2, s2, s3
	s_mul_i32 s3, s1, s0
	s_sub_i32 s3, s4, s3
	s_add_i32 s4, s1, 1
	s_sub_i32 s5, s3, s0
	s_cmp_ge_u32 s3, s0
	s_cselect_b32 s1, s4, s1
	s_cselect_b32 s3, s5, s3
	s_add_i32 s4, s1, 1
	s_cmp_ge_u32 s3, s0
	s_cselect_b32 s0, s4, s1
	s_xor_b32 s0, s0, s2
	s_sub_i32 s4, s0, s2
	v_cvt_f32_u32_e32 v3, s4
	s_bitcmp1_b32 s19, 0
	s_cselect_b64 s[0:1], -1, 0
	s_sub_i32 s2, 0, s4
	v_rcp_iflag_f32_e32 v3, v3
	s_xor_b64 s[0:1], s[0:1], -1
	v_ashrrev_i32_e32 v2, 31, v1
	v_lshrrev_b32_e32 v4, 29, v2
	v_mul_f32_e32 v3, 0x4f7ffffe, v3
	v_cvt_u32_f32_e32 v3, v3
	v_add_u32_e32 v4, v1, v4
	v_ashrrev_i32_e32 v9, 3, v4
	v_mov_b32_e32 v5, s13
	v_readfirstlane_b32 s3, v3
	s_mul_i32 s2, s2, s3
	s_mul_hi_u32 s2, s3, s2
	s_add_i32 s3, s3, s2
	s_mul_hi_u32 s2, s24, s3
	s_mul_i32 s3, s2, s4
	s_sub_i32 s3, s24, s3
	s_add_i32 s5, s2, 1
	s_sub_i32 s6, s3, s4
	s_cmp_ge_u32 s3, s4
	s_cselect_b32 s2, s5, s2
	s_cselect_b32 s3, s6, s3
	s_add_i32 s5, s2, 1
	s_cmp_ge_u32 s3, s4
	s_cselect_b32 s5, s5, s2
	s_mul_i32 s2, s5, s16
	s_ashr_i32 s3, s2, 31
	s_lshr_b32 s3, s3, 29
	s_add_i32 s3, s2, s3
	s_ashr_i32 s3, s3, 3
	v_add_u32_e32 v3, s3, v9
	v_ashrrev_i32_e32 v4, 31, v3
	v_lshlrev_b64 v[6:7], 2, v[3:4]
	v_add_u32_e32 v3, s2, v1
	v_ashrrev_i32_e32 v4, 31, v3
	v_lshlrev_b64 v[3:4], 1, v[3:4]
	v_mov_b32_e32 v8, s11
	v_add_co_u32_e32 v3, vcc, s12, v3
	v_addc_co_u32_e32 v4, vcc, v5, v4, vcc
	v_add_co_u32_e32 v6, vcc, s10, v6
	v_addc_co_u32_e32 v7, vcc, v8, v7, vcc
	global_load_dwordx2 v[4:5], v[3:4], off
	v_cndmask_b32_e64 v22, 0, 1, s[0:1]
	global_load_dword v6, v[6:7], off
	s_lshr_b32 s0, s24, 3
	s_mul_i32 s0, s16, s0
	s_ashr_i32 s1, s0, 31
	v_lshlrev_b32_e32 v7, 4, v0
	s_lshl_b64 s[0:1], s[0:1], 2
	v_and_b32_e32 v21, 16, v7
	v_lshlrev_b64 v[2:3], 2, v[1:2]
	s_add_u32 s20, s8, s0
	s_addc_u32 s0, s9, s1
	s_mov_b32 s18, 0x10001
	v_mov_b32_e32 v0, 0xe400e400
	v_mov_b32_e32 v12, s0
	v_add_co_u32_e32 v2, vcc, s20, v2
	v_addc_co_u32_e32 v3, vcc, v12, v3, vcc
	s_ashr_i32 s17, s16, 31
	s_mov_b32 s6, 0
	s_movk_i32 s19, 0x2c00
	v_mov_b32_e32 v19, 0
	v_mov_b32_e32 v20, 0
	;; [unrolled: 1-line block ×11, first 2 shown]
	s_add_i32 s8, s4, s24
	s_lshl_b64 s[0:1], s[16:17], 4
	s_lshl_b64 s[2:3], s[16:17], 2
	s_waitcnt vmcnt(1)
	v_cvt_f32_f16_sdwa v25, v4 dst_sel:DWORD dst_unused:UNUSED_PAD src0_sel:WORD_1
	v_cvt_f32_f16_e32 v26, v4
	s_waitcnt vmcnt(0)
	v_lshrrev_b32_e32 v4, v7, v6
	v_cvt_f32_f16_sdwa v23, v5 dst_sel:DWORD dst_unused:UNUSED_PAD src0_sel:WORD_1
	v_cvt_f32_f16_e32 v24, v5
	v_bfe_u32 v5, v6, v21, 4
	v_bfe_u32 v6, v4, 12, 4
	;; [unrolled: 1-line block ×4, first 2 shown]
	v_add_u32_e32 v5, v5, v22
	v_add_u32_e32 v6, v6, v22
	;; [unrolled: 1-line block ×4, first 2 shown]
	v_cvt_f32_ubyte0_e32 v12, v5
	v_mad_u32_u24 v27, v5, s18, v0
	v_cvt_f32_ubyte0_e32 v5, v6
	v_mad_u32_u24 v30, v6, s18, v0
	;; [unrolled: 2-line block ×4, first 2 shown]
	v_cvt_f16_f32_e32 v4, v12
	v_cvt_f16_f32_e32 v5, v5
	;; [unrolled: 1-line block ×4, first 2 shown]
	v_sub_f16_e32 v4, 0xd400, v4
	v_sub_f16_e32 v5, 0xd400, v5
	;; [unrolled: 1-line block ×4, first 2 shown]
	v_mul_u32_u24_e32 v31, 0x10001, v4
	v_mul_u32_u24_e32 v32, 0x10001, v5
	;; [unrolled: 1-line block ×4, first 2 shown]
	v_mov_b32_e32 v12, 0
	s_branch .LBB25_12
.LBB25_11:                              ;   in Loop: Header=BB25_12 Depth=1
	global_load_dwordx4 v[41:44], v[2:3], off
	s_add_i32 s24, s24, 32
	s_waitcnt vmcnt(0)
	v_lshrrev_b32_e32 v6, 8, v41
	v_and_b32_e32 v5, 0xf000f0, v41
	v_and_b32_e32 v7, 0xf000f, v6
	v_and_b32_e32 v6, 0xf000f0, v6
	v_and_b32_e32 v4, 0xf000f, v41
	v_or_b32_e32 v5, 0x64006400, v5
	v_or_b32_e32 v36, 0x64006400, v6
	;; [unrolled: 1-line block ×4, first 2 shown]
	v_pk_fma_f16 v7, v5, s19, v31 op_sel_hi:[1,0,1]
	v_pk_fma_f16 v5, v36, s19, v31 op_sel_hi:[1,0,1]
	v_and_b32_e32 v36, 0xf000f0, v42
	v_pk_add_f16 v6, v27, v4
	v_pk_add_f16 v4, v27, v35
	v_and_b32_e32 v35, 0xf000f, v42
	v_or_b32_e32 v37, 0x64006400, v36
	v_lshrrev_b32_e32 v36, 8, v42
	v_or_b32_e32 v35, 0x64006400, v35
	v_and_b32_e32 v38, 0xf000f, v36
	v_and_b32_e32 v36, 0xf000f0, v36
	;; [unrolled: 1-line block ×3, first 2 shown]
	v_or_b32_e32 v39, 0x64006400, v36
	v_pk_add_f16 v36, v29, v35
	v_and_b32_e32 v35, 0xf000f, v43
	v_or_b32_e32 v41, 0x64006400, v40
	v_lshrrev_b32_e32 v40, 8, v43
	v_or_b32_e32 v35, 0x64006400, v35
	v_and_b32_e32 v42, 0xf000f, v40
	v_and_b32_e32 v40, 0xf000f0, v40
	v_or_b32_e32 v43, 0x64006400, v40
	v_pk_add_f16 v40, v28, v35
	v_and_b32_e32 v35, 0xf000f, v44
	v_and_b32_e32 v45, 0xf000f0, v44
	v_lshrrev_b32_e32 v44, 8, v44
	v_or_b32_e32 v35, 0x64006400, v35
	v_and_b32_e32 v46, 0xf000f, v44
	v_and_b32_e32 v44, 0xf000f0, v44
	v_or_b32_e32 v47, 0x64006400, v44
	v_pk_add_f16 v44, v30, v35
	v_mov_b32_e32 v35, s6
	ds_read2_b32 v[48:49], v35 offset1:1
	v_or_b32_e32 v38, 0x64006400, v38
	v_pk_fma_f16 v37, v37, s19, v34 op_sel_hi:[1,0,1]
	v_pk_add_f16 v38, v29, v38
	v_pk_fma_f16 v39, v39, s19, v34 op_sel_hi:[1,0,1]
	s_waitcnt lgkmcnt(0)
	v_pk_fma_f16 v50, v6, v48, 0
	v_pk_fma_f16 v52, v7, v49, v50
	ds_read2_b32 v[50:51], v35 offset0:2 offset1:3
	v_or_b32_e32 v45, 0x64006400, v45
	v_or_b32_e32 v46, 0x64006400, v46
	v_pk_fma_f16 v45, v45, s19, v32 op_sel_hi:[1,0,1]
	v_pk_add_f16 v46, v30, v46
	s_waitcnt lgkmcnt(0)
	v_pk_fma_f16 v52, v4, v50, v52
	v_pk_fma_f16 v52, v5, v51, v52
	v_cvt_f32_f16_e32 v53, v52
	v_cvt_f32_f16_sdwa v52, v52 dst_sel:DWORD dst_unused:UNUSED_PAD src0_sel:WORD_1
	v_pk_fma_f16 v47, v47, s19, v32 op_sel_hi:[1,0,1]
	v_pk_fma_f16 v41, v41, s19, v33 op_sel_hi:[1,0,1]
	v_or_b32_e32 v42, 0x64006400, v42
	v_add_f32_e32 v52, v53, v52
	v_fmac_f32_e32 v19, v52, v26
	v_pk_fma_f16 v52, v36, v48, 0
	v_pk_fma_f16 v52, v37, v49, v52
	;; [unrolled: 1-line block ×4, first 2 shown]
	v_cvt_f32_f16_e32 v53, v52
	v_cvt_f32_f16_sdwa v52, v52 dst_sel:DWORD dst_unused:UNUSED_PAD src0_sel:WORD_1
	v_pk_add_f16 v42, v28, v42
	v_pk_fma_f16 v43, v43, s19, v33 op_sel_hi:[1,0,1]
	s_add_i32 s6, s6, 64
	v_add_f32_e32 v52, v53, v52
	v_fmac_f32_e32 v20, v52, v25
	v_pk_fma_f16 v52, v40, v48, 0
	v_pk_fma_f16 v48, v44, v48, 0
	;; [unrolled: 1-line block ×6, first 2 shown]
	v_cvt_f32_f16_e32 v49, v48
	v_cvt_f32_f16_sdwa v48, v48 dst_sel:DWORD dst_unused:UNUSED_PAD src0_sel:WORD_1
	v_pk_fma_f16 v52, v42, v50, v52
	v_pk_fma_f16 v52, v43, v51, v52
	v_cvt_f32_f16_e32 v53, v52
	v_add_f32_e32 v48, v49, v48
	v_fmac_f32_e32 v17, v48, v23
	ds_read2_b32 v[48:49], v35 offset0:64 offset1:65
	v_cvt_f32_f16_sdwa v52, v52 dst_sel:DWORD dst_unused:UNUSED_PAD src0_sel:WORD_1
	s_cmp_ge_i32 s24, s25
	v_add_f32_e32 v52, v53, v52
	s_waitcnt lgkmcnt(0)
	v_pk_fma_f16 v50, v6, v48, 0
	v_fmac_f32_e32 v18, v52, v24
	v_pk_fma_f16 v52, v7, v49, v50
	ds_read2_b32 v[50:51], v35 offset0:66 offset1:67
	s_waitcnt lgkmcnt(0)
	v_pk_fma_f16 v52, v4, v50, v52
	v_pk_fma_f16 v52, v5, v51, v52
	v_cvt_f32_f16_e32 v53, v52
	v_cvt_f32_f16_sdwa v52, v52 dst_sel:DWORD dst_unused:UNUSED_PAD src0_sel:WORD_1
	v_add_f32_e32 v52, v53, v52
	v_fmac_f32_e32 v16, v52, v26
	v_pk_fma_f16 v52, v36, v48, 0
	v_pk_fma_f16 v52, v37, v49, v52
	;; [unrolled: 1-line block ×4, first 2 shown]
	v_cvt_f32_f16_e32 v53, v52
	v_cvt_f32_f16_sdwa v52, v52 dst_sel:DWORD dst_unused:UNUSED_PAD src0_sel:WORD_1
	v_add_f32_e32 v52, v53, v52
	v_fmac_f32_e32 v15, v52, v25
	v_pk_fma_f16 v52, v40, v48, 0
	v_pk_fma_f16 v48, v44, v48, 0
	v_pk_fma_f16 v48, v45, v49, v48
	v_pk_fma_f16 v48, v46, v50, v48
	v_pk_fma_f16 v48, v47, v51, v48
	v_pk_fma_f16 v52, v41, v49, v52
	v_cvt_f32_f16_e32 v49, v48
	v_cvt_f32_f16_sdwa v48, v48 dst_sel:DWORD dst_unused:UNUSED_PAD src0_sel:WORD_1
	v_pk_fma_f16 v52, v42, v50, v52
	v_pk_fma_f16 v52, v43, v51, v52
	v_cvt_f32_f16_e32 v53, v52
	v_add_f32_e32 v48, v49, v48
	v_fmac_f32_e32 v13, v48, v23
	ds_read2_b32 v[48:49], v35 offset0:128 offset1:129
	v_cvt_f32_f16_sdwa v52, v52 dst_sel:DWORD dst_unused:UNUSED_PAD src0_sel:WORD_1
	s_waitcnt lgkmcnt(0)
	v_pk_fma_f16 v6, v6, v48, 0
	v_pk_fma_f16 v50, v7, v49, v6
	ds_read2_b32 v[6:7], v35 offset0:130 offset1:131
	v_add_f32_e32 v52, v53, v52
	v_fmac_f32_e32 v14, v52, v24
	s_waitcnt lgkmcnt(0)
	v_pk_fma_f16 v4, v4, v6, v50
	v_pk_fma_f16 v4, v5, v7, v4
	v_cvt_f32_f16_e32 v5, v4
	v_cvt_f32_f16_sdwa v4, v4 dst_sel:DWORD dst_unused:UNUSED_PAD src0_sel:WORD_1
	v_add_f32_e32 v4, v5, v4
	v_fmac_f32_e32 v11, v4, v26
	v_pk_fma_f16 v4, v36, v48, 0
	v_pk_fma_f16 v4, v37, v49, v4
	v_pk_fma_f16 v4, v38, v6, v4
	v_pk_fma_f16 v4, v39, v7, v4
	v_cvt_f32_f16_e32 v5, v4
	v_cvt_f32_f16_sdwa v4, v4 dst_sel:DWORD dst_unused:UNUSED_PAD src0_sel:WORD_1
	v_add_f32_e32 v4, v5, v4
	v_fmac_f32_e32 v10, v4, v25
	v_pk_fma_f16 v4, v40, v48, 0
	v_pk_fma_f16 v4, v41, v49, v4
	;; [unrolled: 8-line block ×3, first 2 shown]
	v_pk_fma_f16 v4, v46, v6, v4
	v_pk_fma_f16 v4, v47, v7, v4
	v_cvt_f32_f16_e32 v5, v4
	v_cvt_f32_f16_sdwa v4, v4 dst_sel:DWORD dst_unused:UNUSED_PAD src0_sel:WORD_1
	v_mov_b32_e32 v6, s3
	v_add_f32_e32 v4, v5, v4
	v_fmac_f32_e32 v12, v4, v23
	v_add_co_u32_e32 v4, vcc, s2, v2
	v_addc_co_u32_e32 v5, vcc, v3, v6, vcc
	global_load_dwordx4 v[44:47], v[4:5], off
	v_add_co_u32_e32 v4, vcc, s2, v4
	v_addc_co_u32_e32 v5, vcc, v5, v6, vcc
	s_waitcnt vmcnt(0)
	v_lshrrev_b32_e32 v37, 8, v44
	v_and_b32_e32 v7, 0xf000f, v44
	v_and_b32_e32 v36, 0xf000f0, v44
	;; [unrolled: 1-line block ×4, first 2 shown]
	v_lshrrev_b32_e32 v41, 8, v45
	v_or_b32_e32 v7, 0x64006400, v7
	v_or_b32_e32 v36, 0x64006400, v36
	;; [unrolled: 1-line block ×4, first 2 shown]
	v_and_b32_e32 v42, 0xf000f, v41
	v_and_b32_e32 v41, 0xf000f0, v41
	v_pk_add_f16 v37, v27, v7
	v_pk_fma_f16 v38, v36, s19, v31 op_sel_hi:[1,0,1]
	v_pk_add_f16 v7, v27, v39
	v_pk_fma_f16 v36, v40, s19, v31 op_sel_hi:[1,0,1]
	v_and_b32_e32 v39, 0xf000f, v45
	v_and_b32_e32 v40, 0xf000f0, v45
	v_or_b32_e32 v42, 0x64006400, v42
	v_or_b32_e32 v43, 0x64006400, v41
	v_lshrrev_b32_e32 v45, 8, v46
	v_pk_add_f16 v41, v29, v42
	v_pk_fma_f16 v42, v43, s19, v34 op_sel_hi:[1,0,1]
	v_and_b32_e32 v43, 0xf000f, v46
	v_and_b32_e32 v44, 0xf000f0, v46
	;; [unrolled: 1-line block ×4, first 2 shown]
	v_or_b32_e32 v46, 0x64006400, v46
	v_or_b32_e32 v48, 0x64006400, v45
	v_pk_add_f16 v45, v28, v46
	v_pk_fma_f16 v46, v48, s19, v33 op_sel_hi:[1,0,1]
	v_and_b32_e32 v48, 0xf000f, v47
	v_and_b32_e32 v49, 0xf000f0, v47
	v_lshrrev_b32_e32 v47, 8, v47
	v_and_b32_e32 v50, 0xf000f, v47
	v_and_b32_e32 v47, 0xf000f0, v47
	v_or_b32_e32 v48, 0x64006400, v48
	v_or_b32_e32 v49, 0x64006400, v49
	;; [unrolled: 1-line block ×4, first 2 shown]
	v_pk_add_f16 v47, v30, v48
	v_pk_fma_f16 v48, v49, s19, v32 op_sel_hi:[1,0,1]
	v_pk_add_f16 v49, v30, v50
	v_pk_fma_f16 v50, v51, s19, v32 op_sel_hi:[1,0,1]
	ds_read2_b32 v[51:52], v35 offset0:4 offset1:5
	v_or_b32_e32 v39, 0x64006400, v39
	v_or_b32_e32 v40, 0x64006400, v40
	v_pk_add_f16 v39, v29, v39
	v_pk_fma_f16 v40, v40, s19, v34 op_sel_hi:[1,0,1]
	s_waitcnt lgkmcnt(0)
	v_pk_fma_f16 v53, v37, v51, 0
	v_pk_fma_f16 v55, v38, v52, v53
	ds_read2_b32 v[53:54], v35 offset0:6 offset1:7
	v_or_b32_e32 v43, 0x64006400, v43
	v_pk_add_f16 v43, v28, v43
	v_or_b32_e32 v44, 0x64006400, v44
	v_pk_fma_f16 v44, v44, s19, v33 op_sel_hi:[1,0,1]
	s_waitcnt lgkmcnt(0)
	v_pk_fma_f16 v55, v7, v53, v55
	v_pk_fma_f16 v55, v36, v54, v55
	v_cvt_f32_f16_e32 v56, v55
	v_cvt_f32_f16_sdwa v55, v55 dst_sel:DWORD dst_unused:UNUSED_PAD src0_sel:WORD_1
	v_add_f32_e32 v55, v56, v55
	v_fmac_f32_e32 v19, v55, v26
	v_pk_fma_f16 v55, v39, v51, 0
	v_pk_fma_f16 v55, v40, v52, v55
	;; [unrolled: 1-line block ×4, first 2 shown]
	v_cvt_f32_f16_e32 v56, v55
	v_cvt_f32_f16_sdwa v55, v55 dst_sel:DWORD dst_unused:UNUSED_PAD src0_sel:WORD_1
	v_add_f32_e32 v55, v56, v55
	v_fmac_f32_e32 v20, v55, v25
	v_pk_fma_f16 v55, v43, v51, 0
	v_pk_fma_f16 v51, v47, v51, 0
	;; [unrolled: 1-line block ×6, first 2 shown]
	v_cvt_f32_f16_e32 v52, v51
	v_cvt_f32_f16_sdwa v51, v51 dst_sel:DWORD dst_unused:UNUSED_PAD src0_sel:WORD_1
	v_pk_fma_f16 v55, v45, v53, v55
	v_pk_fma_f16 v55, v46, v54, v55
	v_cvt_f32_f16_e32 v56, v55
	v_add_f32_e32 v51, v52, v51
	v_fmac_f32_e32 v17, v51, v23
	ds_read2_b32 v[51:52], v35 offset0:68 offset1:69
	v_cvt_f32_f16_sdwa v55, v55 dst_sel:DWORD dst_unused:UNUSED_PAD src0_sel:WORD_1
	v_add_f32_e32 v55, v56, v55
	s_waitcnt lgkmcnt(0)
	v_pk_fma_f16 v53, v37, v51, 0
	v_fmac_f32_e32 v18, v55, v24
	v_pk_fma_f16 v55, v38, v52, v53
	ds_read2_b32 v[53:54], v35 offset0:70 offset1:71
	s_waitcnt lgkmcnt(0)
	v_pk_fma_f16 v55, v7, v53, v55
	v_pk_fma_f16 v55, v36, v54, v55
	v_cvt_f32_f16_e32 v56, v55
	v_cvt_f32_f16_sdwa v55, v55 dst_sel:DWORD dst_unused:UNUSED_PAD src0_sel:WORD_1
	v_add_f32_e32 v55, v56, v55
	v_fmac_f32_e32 v16, v55, v26
	v_pk_fma_f16 v55, v39, v51, 0
	v_pk_fma_f16 v55, v40, v52, v55
	;; [unrolled: 1-line block ×4, first 2 shown]
	v_cvt_f32_f16_e32 v56, v55
	v_cvt_f32_f16_sdwa v55, v55 dst_sel:DWORD dst_unused:UNUSED_PAD src0_sel:WORD_1
	v_add_f32_e32 v55, v56, v55
	v_fmac_f32_e32 v15, v55, v25
	v_pk_fma_f16 v55, v43, v51, 0
	v_pk_fma_f16 v51, v47, v51, 0
	;; [unrolled: 1-line block ×6, first 2 shown]
	v_cvt_f32_f16_e32 v52, v51
	v_cvt_f32_f16_sdwa v51, v51 dst_sel:DWORD dst_unused:UNUSED_PAD src0_sel:WORD_1
	v_pk_fma_f16 v55, v45, v53, v55
	v_pk_fma_f16 v55, v46, v54, v55
	v_cvt_f32_f16_e32 v56, v55
	v_add_f32_e32 v51, v52, v51
	v_fmac_f32_e32 v13, v51, v23
	ds_read2_b32 v[51:52], v35 offset0:132 offset1:133
	v_cvt_f32_f16_sdwa v55, v55 dst_sel:DWORD dst_unused:UNUSED_PAD src0_sel:WORD_1
	s_waitcnt lgkmcnt(0)
	v_pk_fma_f16 v37, v37, v51, 0
	v_pk_fma_f16 v53, v38, v52, v37
	ds_read2_b32 v[37:38], v35 offset0:134 offset1:135
	v_add_f32_e32 v55, v56, v55
	v_fmac_f32_e32 v14, v55, v24
	s_waitcnt lgkmcnt(0)
	v_pk_fma_f16 v7, v7, v37, v53
	v_pk_fma_f16 v7, v36, v38, v7
	v_cvt_f32_f16_e32 v36, v7
	v_cvt_f32_f16_sdwa v7, v7 dst_sel:DWORD dst_unused:UNUSED_PAD src0_sel:WORD_1
	v_add_f32_e32 v7, v36, v7
	v_fmac_f32_e32 v11, v7, v26
	v_pk_fma_f16 v7, v39, v51, 0
	v_pk_fma_f16 v7, v40, v52, v7
	v_pk_fma_f16 v7, v41, v37, v7
	v_pk_fma_f16 v7, v42, v38, v7
	v_cvt_f32_f16_e32 v36, v7
	v_cvt_f32_f16_sdwa v7, v7 dst_sel:DWORD dst_unused:UNUSED_PAD src0_sel:WORD_1
	v_add_f32_e32 v7, v36, v7
	v_fmac_f32_e32 v10, v7, v25
	v_pk_fma_f16 v7, v43, v51, 0
	v_pk_fma_f16 v7, v44, v52, v7
	;; [unrolled: 8-line block ×3, first 2 shown]
	v_pk_fma_f16 v7, v49, v37, v7
	v_pk_fma_f16 v7, v50, v38, v7
	v_cvt_f32_f16_e32 v36, v7
	v_cvt_f32_f16_sdwa v7, v7 dst_sel:DWORD dst_unused:UNUSED_PAD src0_sel:WORD_1
	v_add_f32_e32 v7, v36, v7
	global_load_dwordx4 v[36:39], v[4:5], off
	v_fmac_f32_e32 v12, v7, v23
	v_add_co_u32_e32 v4, vcc, s2, v4
	v_addc_co_u32_e32 v5, vcc, v5, v6, vcc
	v_add_co_u32_e32 v2, vcc, s0, v2
	s_waitcnt vmcnt(0)
	v_and_b32_e32 v7, 0xf000f, v36
	v_and_b32_e32 v40, 0xf000f0, v36
	v_lshrrev_b32_e32 v36, 8, v36
	v_and_b32_e32 v41, 0xf000f, v36
	v_and_b32_e32 v36, 0xf000f0, v36
	v_or_b32_e32 v36, 0x64006400, v36
	v_pk_fma_f16 v42, v36, s19, v31 op_sel_hi:[1,0,1]
	v_and_b32_e32 v36, 0xf000f, v37
	v_and_b32_e32 v43, 0xf000f0, v37
	v_lshrrev_b32_e32 v37, 8, v37
	v_and_b32_e32 v44, 0xf000f, v37
	v_and_b32_e32 v37, 0xf000f0, v37
	v_or_b32_e32 v36, 0x64006400, v36
	v_or_b32_e32 v37, 0x64006400, v37
	v_pk_add_f16 v45, v29, v36
	v_pk_fma_f16 v46, v37, s19, v34 op_sel_hi:[1,0,1]
	v_and_b32_e32 v36, 0xf000f, v38
	v_and_b32_e32 v37, 0xf000f0, v38
	v_or_b32_e32 v36, 0x64006400, v36
	v_or_b32_e32 v37, 0x64006400, v37
	v_pk_add_f16 v48, v28, v36
	v_pk_fma_f16 v49, v37, s19, v33 op_sel_hi:[1,0,1]
	v_and_b32_e32 v36, 0xf000f, v39
	v_and_b32_e32 v37, 0xf000f0, v39
	v_lshrrev_b32_e32 v38, 8, v38
	v_or_b32_e32 v36, 0x64006400, v36
	v_or_b32_e32 v37, 0x64006400, v37
	v_and_b32_e32 v47, 0xf000f, v38
	v_and_b32_e32 v38, 0xf000f0, v38
	v_pk_add_f16 v51, v30, v36
	v_pk_fma_f16 v52, v37, s19, v32 op_sel_hi:[1,0,1]
	ds_read2_b32 v[36:37], v35 offset0:8 offset1:9
	v_or_b32_e32 v38, 0x64006400, v38
	v_pk_fma_f16 v50, v38, s19, v33 op_sel_hi:[1,0,1]
	v_lshrrev_b32_e32 v38, 8, v39
	v_or_b32_e32 v7, 0x64006400, v7
	v_and_b32_e32 v39, 0xf000f, v38
	v_and_b32_e32 v38, 0xf000f0, v38
	v_or_b32_e32 v40, 0x64006400, v40
	v_pk_add_f16 v7, v27, v7
	v_or_b32_e32 v38, 0x64006400, v38
	v_pk_fma_f16 v40, v40, s19, v31 op_sel_hi:[1,0,1]
	v_or_b32_e32 v39, 0x64006400, v39
	v_pk_fma_f16 v54, v38, s19, v32 op_sel_hi:[1,0,1]
	s_waitcnt lgkmcnt(0)
	v_pk_fma_f16 v38, v7, v36, 0
	v_pk_add_f16 v53, v30, v39
	v_pk_fma_f16 v55, v40, v37, v38
	ds_read2_b32 v[38:39], v35 offset0:10 offset1:11
	v_or_b32_e32 v41, 0x64006400, v41
	v_pk_add_f16 v41, v27, v41
	v_or_b32_e32 v43, 0x64006400, v43
	v_or_b32_e32 v44, 0x64006400, v44
	s_waitcnt lgkmcnt(0)
	v_pk_fma_f16 v55, v41, v38, v55
	v_pk_fma_f16 v55, v42, v39, v55
	v_cvt_f32_f16_e32 v56, v55
	v_cvt_f32_f16_sdwa v55, v55 dst_sel:DWORD dst_unused:UNUSED_PAD src0_sel:WORD_1
	v_pk_fma_f16 v43, v43, s19, v34 op_sel_hi:[1,0,1]
	v_pk_add_f16 v44, v29, v44
	v_or_b32_e32 v47, 0x64006400, v47
	v_add_f32_e32 v55, v56, v55
	v_fmac_f32_e32 v19, v55, v26
	v_pk_fma_f16 v55, v45, v36, 0
	v_pk_fma_f16 v55, v43, v37, v55
	;; [unrolled: 1-line block ×4, first 2 shown]
	v_cvt_f32_f16_e32 v56, v55
	v_cvt_f32_f16_sdwa v55, v55 dst_sel:DWORD dst_unused:UNUSED_PAD src0_sel:WORD_1
	v_pk_add_f16 v47, v28, v47
	v_add_f32_e32 v55, v56, v55
	v_fmac_f32_e32 v20, v55, v25
	v_pk_fma_f16 v55, v48, v36, 0
	v_pk_fma_f16 v36, v51, v36, 0
	;; [unrolled: 1-line block ×6, first 2 shown]
	v_cvt_f32_f16_e32 v37, v36
	v_cvt_f32_f16_sdwa v36, v36 dst_sel:DWORD dst_unused:UNUSED_PAD src0_sel:WORD_1
	v_pk_fma_f16 v55, v47, v38, v55
	v_pk_fma_f16 v55, v50, v39, v55
	v_cvt_f32_f16_e32 v56, v55
	v_add_f32_e32 v36, v37, v36
	v_fmac_f32_e32 v17, v36, v23
	ds_read2_b32 v[36:37], v35 offset0:72 offset1:73
	v_cvt_f32_f16_sdwa v55, v55 dst_sel:DWORD dst_unused:UNUSED_PAD src0_sel:WORD_1
	v_add_f32_e32 v55, v56, v55
	s_waitcnt lgkmcnt(0)
	v_pk_fma_f16 v38, v7, v36, 0
	v_fmac_f32_e32 v18, v55, v24
	v_pk_fma_f16 v55, v40, v37, v38
	ds_read2_b32 v[38:39], v35 offset0:74 offset1:75
	s_waitcnt lgkmcnt(0)
	v_pk_fma_f16 v55, v41, v38, v55
	v_pk_fma_f16 v55, v42, v39, v55
	v_cvt_f32_f16_e32 v56, v55
	v_cvt_f32_f16_sdwa v55, v55 dst_sel:DWORD dst_unused:UNUSED_PAD src0_sel:WORD_1
	v_add_f32_e32 v55, v56, v55
	v_fmac_f32_e32 v16, v55, v26
	v_pk_fma_f16 v55, v45, v36, 0
	v_pk_fma_f16 v55, v43, v37, v55
	v_pk_fma_f16 v55, v44, v38, v55
	v_pk_fma_f16 v55, v46, v39, v55
	v_cvt_f32_f16_e32 v56, v55
	v_cvt_f32_f16_sdwa v55, v55 dst_sel:DWORD dst_unused:UNUSED_PAD src0_sel:WORD_1
	v_add_f32_e32 v55, v56, v55
	v_fmac_f32_e32 v15, v55, v25
	v_pk_fma_f16 v55, v48, v36, 0
	v_pk_fma_f16 v36, v51, v36, 0
	;; [unrolled: 1-line block ×6, first 2 shown]
	v_cvt_f32_f16_e32 v37, v36
	v_cvt_f32_f16_sdwa v36, v36 dst_sel:DWORD dst_unused:UNUSED_PAD src0_sel:WORD_1
	v_pk_fma_f16 v55, v47, v38, v55
	v_pk_fma_f16 v55, v50, v39, v55
	ds_read2_b32 v[38:39], v35 offset0:138 offset1:139
	v_add_f32_e32 v36, v37, v36
	v_fmac_f32_e32 v13, v36, v23
	ds_read2_b32 v[36:37], v35 offset0:136 offset1:137
	v_cvt_f32_f16_e32 v56, v55
	v_cvt_f32_f16_sdwa v55, v55 dst_sel:DWORD dst_unused:UNUSED_PAD src0_sel:WORD_1
	s_waitcnt lgkmcnt(0)
	v_pk_fma_f16 v7, v7, v36, 0
	v_pk_fma_f16 v7, v40, v37, v7
	;; [unrolled: 1-line block ×4, first 2 shown]
	v_cvt_f32_f16_e32 v40, v7
	v_cvt_f32_f16_sdwa v7, v7 dst_sel:DWORD dst_unused:UNUSED_PAD src0_sel:WORD_1
	v_add_f32_e32 v55, v56, v55
	v_fmac_f32_e32 v14, v55, v24
	v_add_f32_e32 v7, v40, v7
	v_fmac_f32_e32 v11, v7, v26
	v_pk_fma_f16 v7, v45, v36, 0
	v_pk_fma_f16 v7, v43, v37, v7
	v_pk_fma_f16 v7, v44, v38, v7
	v_pk_fma_f16 v7, v46, v39, v7
	v_cvt_f32_f16_e32 v40, v7
	v_cvt_f32_f16_sdwa v7, v7 dst_sel:DWORD dst_unused:UNUSED_PAD src0_sel:WORD_1
	v_add_f32_e32 v7, v40, v7
	v_fmac_f32_e32 v10, v7, v25
	v_pk_fma_f16 v7, v48, v36, 0
	v_pk_fma_f16 v7, v49, v37, v7
	v_pk_fma_f16 v7, v47, v38, v7
	v_pk_fma_f16 v7, v50, v39, v7
	v_cvt_f32_f16_e32 v40, v7
	v_cvt_f32_f16_sdwa v7, v7 dst_sel:DWORD dst_unused:UNUSED_PAD src0_sel:WORD_1
	;; [unrolled: 8-line block ×3, first 2 shown]
	v_add_f32_e32 v7, v36, v7
	global_load_dwordx4 v[36:39], v[4:5], off
	v_fmac_f32_e32 v12, v7, v23
	s_waitcnt vmcnt(0)
	v_lshrrev_b32_e32 v6, 8, v36
	v_and_b32_e32 v7, 0xf000f, v6
	v_and_b32_e32 v6, 0xf000f0, v6
	v_or_b32_e32 v7, 0x64006400, v7
	v_or_b32_e32 v6, 0x64006400, v6
	v_and_b32_e32 v4, 0xf000f, v36
	v_and_b32_e32 v5, 0xf000f0, v36
	v_pk_add_f16 v48, v27, v7
	v_pk_fma_f16 v49, v6, s19, v31 op_sel_hi:[1,0,1]
	v_and_b32_e32 v6, 0xf000f, v37
	v_and_b32_e32 v7, 0xf000f0, v37
	v_lshrrev_b32_e32 v36, 8, v37
	v_or_b32_e32 v6, 0x64006400, v6
	v_or_b32_e32 v7, 0x64006400, v7
	v_and_b32_e32 v37, 0xf000f, v36
	v_and_b32_e32 v36, 0xf000f0, v36
	v_or_b32_e32 v36, 0x64006400, v36
	v_pk_add_f16 v44, v29, v6
	v_pk_fma_f16 v45, v7, s19, v34 op_sel_hi:[1,0,1]
	v_and_b32_e32 v6, 0xf000f, v38
	v_and_b32_e32 v7, 0xf000f0, v38
	v_or_b32_e32 v37, 0x64006400, v37
	v_pk_fma_f16 v47, v36, s19, v34 op_sel_hi:[1,0,1]
	v_or_b32_e32 v6, 0x64006400, v6
	v_or_b32_e32 v7, 0x64006400, v7
	v_lshrrev_b32_e32 v36, 8, v38
	v_pk_add_f16 v46, v29, v37
	v_and_b32_e32 v37, 0xf000f, v36
	v_and_b32_e32 v36, 0xf000f0, v36
	v_pk_add_f16 v40, v28, v6
	v_pk_fma_f16 v41, v7, s19, v33 op_sel_hi:[1,0,1]
	v_and_b32_e32 v6, 0xf000f, v39
	v_and_b32_e32 v7, 0xf000f0, v39
	v_or_b32_e32 v36, 0x64006400, v36
	v_or_b32_e32 v6, 0x64006400, v6
	;; [unrolled: 1-line block ×3, first 2 shown]
	v_pk_fma_f16 v43, v36, s19, v33 op_sel_hi:[1,0,1]
	v_lshrrev_b32_e32 v36, 8, v39
	v_pk_add_f16 v38, v30, v6
	v_pk_fma_f16 v39, v7, s19, v32 op_sel_hi:[1,0,1]
	ds_read2_b32 v[6:7], v35 offset0:12 offset1:13
	v_or_b32_e32 v37, 0x64006400, v37
	v_or_b32_e32 v4, 0x64006400, v4
	v_pk_add_f16 v42, v28, v37
	v_and_b32_e32 v37, 0xf000f, v36
	v_and_b32_e32 v36, 0xf000f0, v36
	v_or_b32_e32 v5, 0x64006400, v5
	v_pk_add_f16 v4, v27, v4
	v_or_b32_e32 v37, 0x64006400, v37
	v_or_b32_e32 v50, 0x64006400, v36
	v_pk_fma_f16 v5, v5, s19, v31 op_sel_hi:[1,0,1]
	v_pk_add_f16 v36, v30, v37
	v_pk_fma_f16 v37, v50, s19, v32 op_sel_hi:[1,0,1]
	s_waitcnt lgkmcnt(0)
	v_pk_fma_f16 v50, v4, v6, 0
	v_pk_fma_f16 v52, v5, v7, v50
	ds_read2_b32 v[50:51], v35 offset0:14 offset1:15
	s_waitcnt lgkmcnt(0)
	v_pk_fma_f16 v52, v48, v50, v52
	v_pk_fma_f16 v52, v49, v51, v52
	v_cvt_f32_f16_e32 v53, v52
	v_cvt_f32_f16_sdwa v52, v52 dst_sel:DWORD dst_unused:UNUSED_PAD src0_sel:WORD_1
	v_add_f32_e32 v52, v53, v52
	v_fmac_f32_e32 v19, v52, v26
	v_pk_fma_f16 v52, v44, v6, 0
	v_pk_fma_f16 v52, v45, v7, v52
	;; [unrolled: 1-line block ×4, first 2 shown]
	v_cvt_f32_f16_e32 v53, v52
	v_cvt_f32_f16_sdwa v52, v52 dst_sel:DWORD dst_unused:UNUSED_PAD src0_sel:WORD_1
	v_add_f32_e32 v52, v53, v52
	v_fmac_f32_e32 v20, v52, v25
	v_pk_fma_f16 v52, v40, v6, 0
	v_pk_fma_f16 v6, v38, v6, 0
	v_pk_fma_f16 v6, v39, v7, v6
	v_pk_fma_f16 v6, v36, v50, v6
	v_pk_fma_f16 v6, v37, v51, v6
	v_pk_fma_f16 v52, v41, v7, v52
	v_cvt_f32_f16_e32 v7, v6
	v_cvt_f32_f16_sdwa v6, v6 dst_sel:DWORD dst_unused:UNUSED_PAD src0_sel:WORD_1
	v_pk_fma_f16 v52, v42, v50, v52
	v_pk_fma_f16 v52, v43, v51, v52
	v_cvt_f32_f16_e32 v53, v52
	v_add_f32_e32 v6, v7, v6
	v_fmac_f32_e32 v17, v6, v23
	ds_read2_b32 v[6:7], v35 offset0:76 offset1:77
	v_cvt_f32_f16_sdwa v52, v52 dst_sel:DWORD dst_unused:UNUSED_PAD src0_sel:WORD_1
	v_add_f32_e32 v52, v53, v52
	s_waitcnt lgkmcnt(0)
	v_pk_fma_f16 v50, v4, v6, 0
	v_fmac_f32_e32 v18, v52, v24
	v_pk_fma_f16 v52, v5, v7, v50
	ds_read2_b32 v[50:51], v35 offset0:78 offset1:79
	s_waitcnt lgkmcnt(0)
	v_pk_fma_f16 v52, v48, v50, v52
	v_pk_fma_f16 v52, v49, v51, v52
	v_cvt_f32_f16_e32 v53, v52
	v_cvt_f32_f16_sdwa v52, v52 dst_sel:DWORD dst_unused:UNUSED_PAD src0_sel:WORD_1
	v_add_f32_e32 v52, v53, v52
	v_fmac_f32_e32 v16, v52, v26
	v_pk_fma_f16 v52, v44, v6, 0
	v_pk_fma_f16 v52, v45, v7, v52
	;; [unrolled: 1-line block ×4, first 2 shown]
	v_cvt_f32_f16_e32 v53, v52
	v_cvt_f32_f16_sdwa v52, v52 dst_sel:DWORD dst_unused:UNUSED_PAD src0_sel:WORD_1
	v_add_f32_e32 v52, v53, v52
	v_fmac_f32_e32 v15, v52, v25
	v_pk_fma_f16 v52, v40, v6, 0
	v_pk_fma_f16 v6, v38, v6, 0
	;; [unrolled: 1-line block ×6, first 2 shown]
	v_cvt_f32_f16_e32 v7, v6
	v_cvt_f32_f16_sdwa v6, v6 dst_sel:DWORD dst_unused:UNUSED_PAD src0_sel:WORD_1
	v_pk_fma_f16 v52, v42, v50, v52
	v_pk_fma_f16 v52, v43, v51, v52
	v_cvt_f32_f16_e32 v53, v52
	v_add_f32_e32 v6, v7, v6
	v_fmac_f32_e32 v13, v6, v23
	ds_read2_b32 v[6:7], v35 offset0:140 offset1:141
	v_cvt_f32_f16_sdwa v52, v52 dst_sel:DWORD dst_unused:UNUSED_PAD src0_sel:WORD_1
	s_waitcnt lgkmcnt(0)
	v_pk_fma_f16 v4, v4, v6, 0
	v_pk_fma_f16 v50, v5, v7, v4
	ds_read2_b32 v[4:5], v35 offset0:142 offset1:143
	v_add_f32_e32 v52, v53, v52
	v_fmac_f32_e32 v14, v52, v24
	s_waitcnt lgkmcnt(0)
	v_pk_fma_f16 v35, v48, v4, v50
	v_pk_fma_f16 v35, v49, v5, v35
	v_cvt_f32_f16_e32 v48, v35
	v_cvt_f32_f16_sdwa v35, v35 dst_sel:DWORD dst_unused:UNUSED_PAD src0_sel:WORD_1
	v_add_f32_e32 v35, v48, v35
	v_fmac_f32_e32 v11, v35, v26
	v_pk_fma_f16 v35, v44, v6, 0
	v_pk_fma_f16 v35, v45, v7, v35
	;; [unrolled: 1-line block ×4, first 2 shown]
	v_cvt_f32_f16_e32 v44, v35
	v_cvt_f32_f16_sdwa v35, v35 dst_sel:DWORD dst_unused:UNUSED_PAD src0_sel:WORD_1
	v_add_f32_e32 v35, v44, v35
	v_fmac_f32_e32 v10, v35, v25
	v_pk_fma_f16 v35, v40, v6, 0
	v_pk_fma_f16 v6, v38, v6, 0
	v_pk_fma_f16 v35, v41, v7, v35
	v_pk_fma_f16 v6, v39, v7, v6
	v_pk_fma_f16 v35, v42, v4, v35
	v_pk_fma_f16 v4, v36, v4, v6
	v_pk_fma_f16 v4, v37, v5, v4
	v_pk_fma_f16 v35, v43, v5, v35
	v_cvt_f32_f16_e32 v5, v4
	v_cvt_f32_f16_sdwa v4, v4 dst_sel:DWORD dst_unused:UNUSED_PAD src0_sel:WORD_1
	v_cvt_f32_f16_e32 v40, v35
	v_cvt_f32_f16_sdwa v35, v35 dst_sel:DWORD dst_unused:UNUSED_PAD src0_sel:WORD_1
	v_add_f32_e32 v4, v5, v4
	v_fmac_f32_e32 v12, v4, v23
	v_add_f32_e32 v35, v40, v35
	v_mov_b32_e32 v4, s1
	v_fmac_f32_e32 v8, v35, v24
	v_addc_co_u32_e32 v3, vcc, v3, v4, vcc
	s_cbranch_scc1 .LBB25_14
.LBB25_12:                              ; =>This Inner Loop Header: Depth=1
	s_cmp_lg_u32 s24, s8
	s_cbranch_scc1 .LBB25_11
; %bb.13:                               ;   in Loop: Header=BB25_12 Depth=1
	s_add_i32 s5, s5, 1
	s_mul_i32 s9, s5, s16
	s_ashr_i32 s17, s9, 31
	s_lshr_b32 s17, s17, 29
	s_add_i32 s17, s9, s17
	v_add_u32_e32 v6, s9, v1
	s_ashr_i32 s17, s17, 3
	v_ashrrev_i32_e32 v7, 31, v6
	v_add_u32_e32 v4, s17, v9
	v_lshlrev_b64 v[6:7], 1, v[6:7]
	v_ashrrev_i32_e32 v5, 31, v4
	v_lshlrev_b64 v[4:5], 2, v[4:5]
	v_mov_b32_e32 v24, s13
	v_add_co_u32_e32 v6, vcc, s12, v6
	v_addc_co_u32_e32 v7, vcc, v24, v7, vcc
	v_mov_b32_e32 v23, s11
	v_add_co_u32_e32 v4, vcc, s10, v4
	v_addc_co_u32_e32 v5, vcc, v23, v5, vcc
	global_load_dword v4, v[4:5], off
	s_add_i32 s8, s8, s4
	global_load_dwordx2 v[6:7], v[6:7], off
	s_waitcnt vmcnt(1)
	v_lshrrev_b32_e32 v5, v21, v4
	v_bfe_u32 v4, v4, v21, 4
	s_waitcnt vmcnt(0)
	v_cvt_f32_f16_e32 v26, v6
	v_cvt_f32_f16_sdwa v25, v6 dst_sel:DWORD dst_unused:UNUSED_PAD src0_sel:WORD_1
	v_cvt_f32_f16_e32 v24, v7
	v_cvt_f32_f16_sdwa v23, v7 dst_sel:DWORD dst_unused:UNUSED_PAD src0_sel:WORD_1
	v_bfe_u32 v6, v5, 4, 4
	v_bfe_u32 v7, v5, 8, 4
	;; [unrolled: 1-line block ×3, first 2 shown]
	v_add_u32_e32 v4, v4, v22
	v_cvt_f32_ubyte0_e32 v28, v4
	v_mad_u32_u24 v27, v4, s18, v0
	v_add_u32_e32 v4, v6, v22
	v_add_u32_e32 v6, v7, v22
	;; [unrolled: 1-line block ×3, first 2 shown]
	v_cvt_f16_f32_e32 v7, v28
	v_cvt_f32_ubyte0_e32 v31, v4
	v_mad_u32_u24 v29, v4, s18, v0
	v_cvt_f32_ubyte0_e32 v4, v6
	v_mad_u32_u24 v28, v6, s18, v0
	;; [unrolled: 2-line block ×3, first 2 shown]
	v_cvt_f16_f32_e32 v5, v31
	v_cvt_f16_f32_e32 v4, v4
	;; [unrolled: 1-line block ×3, first 2 shown]
	v_sub_f16_e32 v7, 0xd400, v7
	v_sub_f16_e32 v5, 0xd400, v5
	;; [unrolled: 1-line block ×4, first 2 shown]
	v_mul_u32_u24_e32 v31, 0x10001, v7
	v_mul_u32_u24_e32 v34, 0x10001, v5
	;; [unrolled: 1-line block ×4, first 2 shown]
	s_branch .LBB25_11
.LBB25_14:
	s_mul_i32 s7, s7, s16
	v_add_u32_e32 v0, s7, v1
	v_ashrrev_i32_e32 v1, 31, v0
	v_lshlrev_b64 v[1:2], 1, v[0:1]
	v_mov_b32_e32 v3, s15
	v_add_co_u32_e32 v1, vcc, s14, v1
	v_addc_co_u32_e32 v2, vcc, v3, v2, vcc
	global_load_dword v4, v[1:2], off
	v_cvt_f16_f32_e32 v3, v19
	v_cvt_f16_f32_e32 v5, v20
	s_mov_b64 s[0:1], 0
	v_pack_b32_f16 v5, v3, v5
.LBB25_15:                              ; =>This Inner Loop Header: Depth=1
	s_waitcnt vmcnt(0)
	v_pk_add_f16 v3, v5, v4
	global_atomic_cmpswap v3, v[1:2], v[3:4], off glc
	s_waitcnt vmcnt(0)
	v_cmp_eq_u32_e32 vcc, v4, v3
	s_or_b64 s[0:1], vcc, s[0:1]
	v_mov_b32_e32 v4, v3
	s_andn2_b64 exec, exec, s[0:1]
	s_cbranch_execnz .LBB25_15
; %bb.16:
	s_or_b64 exec, exec, s[0:1]
	global_load_dword v4, v[1:2], off offset:4
	v_cvt_f16_f32_e32 v3, v18
	v_cvt_f16_f32_e32 v5, v17
	s_mov_b64 s[0:1], 0
	v_pack_b32_f16 v5, v3, v5
.LBB25_17:                              ; =>This Inner Loop Header: Depth=1
	s_waitcnt vmcnt(0)
	v_pk_add_f16 v3, v5, v4
	global_atomic_cmpswap v3, v[1:2], v[3:4], off offset:4 glc
	s_waitcnt vmcnt(0)
	v_cmp_eq_u32_e32 vcc, v4, v3
	s_or_b64 s[0:1], vcc, s[0:1]
	v_mov_b32_e32 v4, v3
	s_andn2_b64 exec, exec, s[0:1]
	s_cbranch_execnz .LBB25_17
; %bb.18:
	s_or_b64 exec, exec, s[0:1]
	v_add_u32_e32 v0, s16, v0
	v_ashrrev_i32_e32 v1, 31, v0
	v_lshlrev_b64 v[1:2], 1, v[0:1]
	v_mov_b32_e32 v3, s15
	v_add_co_u32_e32 v1, vcc, s14, v1
	v_addc_co_u32_e32 v2, vcc, v3, v2, vcc
	global_load_dword v4, v[1:2], off
	v_cvt_f16_f32_e32 v3, v16
	v_cvt_f16_f32_e32 v5, v15
	s_mov_b64 s[0:1], 0
	v_pack_b32_f16 v5, v3, v5
.LBB25_19:                              ; =>This Inner Loop Header: Depth=1
	s_waitcnt vmcnt(0)
	v_pk_add_f16 v3, v5, v4
	global_atomic_cmpswap v3, v[1:2], v[3:4], off glc
	s_waitcnt vmcnt(0)
	v_cmp_eq_u32_e32 vcc, v4, v3
	s_or_b64 s[0:1], vcc, s[0:1]
	v_mov_b32_e32 v4, v3
	s_andn2_b64 exec, exec, s[0:1]
	s_cbranch_execnz .LBB25_19
; %bb.20:
	s_or_b64 exec, exec, s[0:1]
	global_load_dword v4, v[1:2], off offset:4
	v_cvt_f16_f32_e32 v3, v14
	v_cvt_f16_f32_e32 v5, v13
	s_mov_b64 s[0:1], 0
	v_pack_b32_f16 v5, v3, v5
.LBB25_21:                              ; =>This Inner Loop Header: Depth=1
	s_waitcnt vmcnt(0)
	v_pk_add_f16 v3, v5, v4
	global_atomic_cmpswap v3, v[1:2], v[3:4], off offset:4 glc
	s_waitcnt vmcnt(0)
	v_cmp_eq_u32_e32 vcc, v4, v3
	s_or_b64 s[0:1], vcc, s[0:1]
	v_mov_b32_e32 v4, v3
	s_andn2_b64 exec, exec, s[0:1]
	s_cbranch_execnz .LBB25_21
; %bb.22:
	s_or_b64 exec, exec, s[0:1]
	v_add_u32_e32 v0, s16, v0
	v_ashrrev_i32_e32 v1, 31, v0
	v_lshlrev_b64 v[0:1], 1, v[0:1]
	v_mov_b32_e32 v2, s15
	v_add_co_u32_e32 v0, vcc, s14, v0
	v_addc_co_u32_e32 v1, vcc, v2, v1, vcc
	global_load_dword v3, v[0:1], off
	v_cvt_f16_f32_e32 v2, v11
	v_cvt_f16_f32_e32 v4, v10
	s_mov_b64 s[0:1], 0
	v_pack_b32_f16 v4, v2, v4
.LBB25_23:                              ; =>This Inner Loop Header: Depth=1
	s_waitcnt vmcnt(0)
	v_pk_add_f16 v2, v4, v3
	global_atomic_cmpswap v2, v[0:1], v[2:3], off glc
	s_waitcnt vmcnt(0)
	v_cmp_eq_u32_e32 vcc, v3, v2
	s_or_b64 s[0:1], vcc, s[0:1]
	v_mov_b32_e32 v3, v2
	s_andn2_b64 exec, exec, s[0:1]
	s_cbranch_execnz .LBB25_23
; %bb.24:
	s_or_b64 exec, exec, s[0:1]
	global_load_dword v3, v[0:1], off offset:4
	v_cvt_f16_f32_e32 v2, v8
	v_cvt_f16_f32_e32 v4, v12
	s_mov_b64 s[0:1], 0
	v_pack_b32_f16 v4, v2, v4
.LBB25_25:                              ; =>This Inner Loop Header: Depth=1
	s_waitcnt vmcnt(0)
	v_pk_add_f16 v2, v4, v3
	global_atomic_cmpswap v2, v[0:1], v[2:3], off offset:4 glc
	s_waitcnt vmcnt(0)
	v_cmp_eq_u32_e32 vcc, v3, v2
	s_or_b64 s[0:1], vcc, s[0:1]
	v_mov_b32_e32 v3, v2
	s_andn2_b64 exec, exec, s[0:1]
	s_cbranch_execnz .LBB25_25
.LBB25_26:
	s_endpgm
	.section	.rodata,"a",@progbits
	.p2align	6, 0x0
	.amdhsa_kernel _ZN4vllm4gptq33gemm_half_q_half_gptq_4bit_kernelILb1ELi3EEEvPK6__halfPKjS6_S4_PS2_iiiibPKi
		.amdhsa_group_segment_fixed_size 768
		.amdhsa_private_segment_fixed_size 0
		.amdhsa_kernarg_size 72
		.amdhsa_user_sgpr_count 6
		.amdhsa_user_sgpr_private_segment_buffer 1
		.amdhsa_user_sgpr_dispatch_ptr 0
		.amdhsa_user_sgpr_queue_ptr 0
		.amdhsa_user_sgpr_kernarg_segment_ptr 1
		.amdhsa_user_sgpr_dispatch_id 0
		.amdhsa_user_sgpr_flat_scratch_init 0
		.amdhsa_user_sgpr_private_segment_size 0
		.amdhsa_uses_dynamic_stack 0
		.amdhsa_system_sgpr_private_segment_wavefront_offset 0
		.amdhsa_system_sgpr_workgroup_id_x 1
		.amdhsa_system_sgpr_workgroup_id_y 1
		.amdhsa_system_sgpr_workgroup_id_z 1
		.amdhsa_system_sgpr_workgroup_info 0
		.amdhsa_system_vgpr_workitem_id 0
		.amdhsa_next_free_vgpr 57
		.amdhsa_next_free_sgpr 26
		.amdhsa_reserve_vcc 1
		.amdhsa_reserve_flat_scratch 0
		.amdhsa_float_round_mode_32 0
		.amdhsa_float_round_mode_16_64 0
		.amdhsa_float_denorm_mode_32 3
		.amdhsa_float_denorm_mode_16_64 3
		.amdhsa_dx10_clamp 1
		.amdhsa_ieee_mode 1
		.amdhsa_fp16_overflow 0
		.amdhsa_exception_fp_ieee_invalid_op 0
		.amdhsa_exception_fp_denorm_src 0
		.amdhsa_exception_fp_ieee_div_zero 0
		.amdhsa_exception_fp_ieee_overflow 0
		.amdhsa_exception_fp_ieee_underflow 0
		.amdhsa_exception_fp_ieee_inexact 0
		.amdhsa_exception_int_div_zero 0
	.end_amdhsa_kernel
	.section	.text._ZN4vllm4gptq33gemm_half_q_half_gptq_4bit_kernelILb1ELi3EEEvPK6__halfPKjS6_S4_PS2_iiiibPKi,"axG",@progbits,_ZN4vllm4gptq33gemm_half_q_half_gptq_4bit_kernelILb1ELi3EEEvPK6__halfPKjS6_S4_PS2_iiiibPKi,comdat
.Lfunc_end25:
	.size	_ZN4vllm4gptq33gemm_half_q_half_gptq_4bit_kernelILb1ELi3EEEvPK6__halfPKjS6_S4_PS2_iiiibPKi, .Lfunc_end25-_ZN4vllm4gptq33gemm_half_q_half_gptq_4bit_kernelILb1ELi3EEEvPK6__halfPKjS6_S4_PS2_iiiibPKi
                                        ; -- End function
	.set _ZN4vllm4gptq33gemm_half_q_half_gptq_4bit_kernelILb1ELi3EEEvPK6__halfPKjS6_S4_PS2_iiiibPKi.num_vgpr, 57
	.set _ZN4vllm4gptq33gemm_half_q_half_gptq_4bit_kernelILb1ELi3EEEvPK6__halfPKjS6_S4_PS2_iiiibPKi.num_agpr, 0
	.set _ZN4vllm4gptq33gemm_half_q_half_gptq_4bit_kernelILb1ELi3EEEvPK6__halfPKjS6_S4_PS2_iiiibPKi.numbered_sgpr, 26
	.set _ZN4vllm4gptq33gemm_half_q_half_gptq_4bit_kernelILb1ELi3EEEvPK6__halfPKjS6_S4_PS2_iiiibPKi.num_named_barrier, 0
	.set _ZN4vllm4gptq33gemm_half_q_half_gptq_4bit_kernelILb1ELi3EEEvPK6__halfPKjS6_S4_PS2_iiiibPKi.private_seg_size, 0
	.set _ZN4vllm4gptq33gemm_half_q_half_gptq_4bit_kernelILb1ELi3EEEvPK6__halfPKjS6_S4_PS2_iiiibPKi.uses_vcc, 1
	.set _ZN4vllm4gptq33gemm_half_q_half_gptq_4bit_kernelILb1ELi3EEEvPK6__halfPKjS6_S4_PS2_iiiibPKi.uses_flat_scratch, 0
	.set _ZN4vllm4gptq33gemm_half_q_half_gptq_4bit_kernelILb1ELi3EEEvPK6__halfPKjS6_S4_PS2_iiiibPKi.has_dyn_sized_stack, 0
	.set _ZN4vllm4gptq33gemm_half_q_half_gptq_4bit_kernelILb1ELi3EEEvPK6__halfPKjS6_S4_PS2_iiiibPKi.has_recursion, 0
	.set _ZN4vllm4gptq33gemm_half_q_half_gptq_4bit_kernelILb1ELi3EEEvPK6__halfPKjS6_S4_PS2_iiiibPKi.has_indirect_call, 0
	.section	.AMDGPU.csdata,"",@progbits
; Kernel info:
; codeLenInByte = 6544
; TotalNumSgprs: 30
; NumVgprs: 57
; ScratchSize: 0
; MemoryBound: 0
; FloatMode: 240
; IeeeMode: 1
; LDSByteSize: 768 bytes/workgroup (compile time only)
; SGPRBlocks: 3
; VGPRBlocks: 14
; NumSGPRsForWavesPerEU: 30
; NumVGPRsForWavesPerEU: 57
; Occupancy: 4
; WaveLimiterHint : 0
; COMPUTE_PGM_RSRC2:SCRATCH_EN: 0
; COMPUTE_PGM_RSRC2:USER_SGPR: 6
; COMPUTE_PGM_RSRC2:TRAP_HANDLER: 0
; COMPUTE_PGM_RSRC2:TGID_X_EN: 1
; COMPUTE_PGM_RSRC2:TGID_Y_EN: 1
; COMPUTE_PGM_RSRC2:TGID_Z_EN: 1
; COMPUTE_PGM_RSRC2:TIDIG_COMP_CNT: 0
	.section	.text._ZN4vllm4gptq33gemm_half_q_half_gptq_8bit_kernelILb1ELi3EEEvPK6__halfPKjS6_S4_PS2_iiiibPKi,"axG",@progbits,_ZN4vllm4gptq33gemm_half_q_half_gptq_8bit_kernelILb1ELi3EEEvPK6__halfPKjS6_S4_PS2_iiiibPKi,comdat
	.protected	_ZN4vllm4gptq33gemm_half_q_half_gptq_8bit_kernelILb1ELi3EEEvPK6__halfPKjS6_S4_PS2_iiiibPKi ; -- Begin function _ZN4vllm4gptq33gemm_half_q_half_gptq_8bit_kernelILb1ELi3EEEvPK6__halfPKjS6_S4_PS2_iiiibPKi
	.globl	_ZN4vllm4gptq33gemm_half_q_half_gptq_8bit_kernelILb1ELi3EEEvPK6__halfPKjS6_S4_PS2_iiiibPKi
	.p2align	8
	.type	_ZN4vllm4gptq33gemm_half_q_half_gptq_8bit_kernelILb1ELi3EEEvPK6__halfPKjS6_S4_PS2_iiiibPKi,@function
_ZN4vllm4gptq33gemm_half_q_half_gptq_8bit_kernelILb1ELi3EEEvPK6__halfPKjS6_S4_PS2_iiiibPKi: ; @_ZN4vllm4gptq33gemm_half_q_half_gptq_8bit_kernelILb1ELi3EEEvPK6__halfPKjS6_S4_PS2_iiiibPKi
; %bb.0:
	s_mov_b64 s[30:31], s[2:3]
	s_load_dwordx4 s[16:19], s[4:5], 0x2c
	s_mov_b64 s[28:29], s[0:1]
	s_add_u32 s28, s28, s9
	s_addc_u32 s29, s29, 0
	s_lshl_b32 s24, s8, 7
	s_add_i32 s0, s24, 0x80
	v_cvt_f64_u32_e32 v[1:2], s0
	s_waitcnt lgkmcnt(0)
	v_cvt_f64_i32_e32 v[3:4], s17
	s_load_dwordx8 s[8:15], s[4:5], 0x8
	s_mul_i32 s7, s7, 3
	v_min_f64 v[1:2], v[1:2], v[3:4]
	v_cvt_i32_f64_e32 v2, v[1:2]
	v_add_u32_e32 v1, s24, v0
	v_readfirstlane_b32 s25, v2
	v_cmp_lt_u32_e32 vcc, v1, v2
	s_and_saveexec_b64 s[2:3], vcc
	s_cbranch_execz .LBB26_8
; %bb.1:
	s_load_dwordx2 s[0:1], s[4:5], 0x40
	s_load_dwordx2 s[20:21], s[4:5], 0x0
	v_mov_b32_e32 v2, 0
	v_lshlrev_b64 v[3:4], 2, v[1:2]
	s_waitcnt lgkmcnt(0)
	v_mov_b32_e32 v5, s1
	v_add_co_u32_e32 v3, vcc, s0, v3
	s_cmp_lg_u64 s[0:1], 0
	v_addc_co_u32_e32 v4, vcc, v5, v4, vcc
	v_mov_b32_e32 v6, v2
	s_cselect_b64 s[4:5], -1, 0
	s_cmp_eq_u64 s[0:1], 0
	v_mov_b32_e32 v5, v1
	s_cbranch_scc1 .LBB26_3
; %bb.2:
	global_load_dword v5, v[3:4], off
	s_waitcnt vmcnt(0)
	v_ashrrev_i32_e32 v6, 31, v5
.LBB26_3:
	s_mul_i32 s22, s7, s17
	s_ashr_i32 s23, s22, 31
	s_lshl_b64 s[0:1], s[22:23], 1
	s_add_u32 s0, s20, s0
	v_lshlrev_b64 v[5:6], 1, v[5:6]
	s_addc_u32 s1, s21, s1
	v_mov_b32_e32 v7, s1
	v_add_co_u32_e32 v5, vcc, s0, v5
	v_addc_co_u32_e32 v6, vcc, v7, v6, vcc
	global_load_ushort v5, v[5:6], off
	v_lshlrev_b32_e32 v7, 1, v0
	v_cndmask_b32_e64 v6, 0, 1, s[4:5]
	v_cmp_ne_u32_e64 s[0:1], 1, v6
	s_andn2_b64 vcc, exec, s[4:5]
	s_waitcnt vmcnt(0)
	ds_write_b16 v7, v5
	v_mov_b32_e32 v6, v2
	v_mov_b32_e32 v5, v1
	s_cbranch_vccnz .LBB26_5
; %bb.4:
	global_load_dword v5, v[3:4], off
	s_waitcnt vmcnt(0)
	v_ashrrev_i32_e32 v6, 31, v5
.LBB26_5:
	s_add_i32 s4, s22, s17
	s_ashr_i32 s5, s4, 31
	s_lshl_b64 s[22:23], s[4:5], 1
	s_add_u32 s5, s20, s22
	v_lshlrev_b64 v[5:6], 1, v[5:6]
	s_addc_u32 s22, s21, s23
	v_mov_b32_e32 v8, s22
	v_add_co_u32_e32 v5, vcc, s5, v5
	v_addc_co_u32_e32 v6, vcc, v8, v6, vcc
	global_load_ushort v5, v[5:6], off
	s_and_b64 vcc, exec, s[0:1]
	s_waitcnt vmcnt(0)
	ds_write_b16 v7, v5 offset:256
	s_cbranch_vccnz .LBB26_7
; %bb.6:
	global_load_dword v1, v[3:4], off
	s_waitcnt vmcnt(0)
	v_ashrrev_i32_e32 v2, 31, v1
.LBB26_7:
	s_add_i32 s0, s4, s17
	s_ashr_i32 s1, s0, 31
	s_lshl_b64 s[0:1], s[0:1], 1
	s_add_u32 s0, s20, s0
	v_lshlrev_b64 v[1:2], 1, v[1:2]
	s_addc_u32 s1, s21, s1
	v_mov_b32_e32 v3, s1
	v_add_co_u32_e32 v1, vcc, s0, v1
	v_addc_co_u32_e32 v2, vcc, v3, v2, vcc
	global_load_ushort v1, v[1:2], off
	s_waitcnt vmcnt(0)
	ds_write_b16 v7, v1 offset:512
.LBB26_8:
	s_or_b64 exec, exec, s[2:3]
	v_lshlrev_b32_e32 v0, 2, v0
	v_lshl_add_u32 v1, s6, 9, v0
	v_mov_b32_e32 v0, v1
	buffer_store_dword v0, off, s[28:31], 0 offset:76 ; 4-byte Folded Spill
	s_nop 0
	buffer_store_dword v1, off, s[28:31], 0 offset:80 ; 4-byte Folded Spill
	v_cmp_gt_i32_e32 vcc, s16, v1
	s_and_saveexec_b64 s[0:1], vcc
	s_cbranch_execz .LBB26_27
; %bb.9:
	s_abs_i32 s0, s18
	v_cvt_f32_u32_e32 v0, s0
	s_mov_b32 s4, 0
	v_mov_b32_e32 v36, 0
	v_mov_b32_e32 v11, 0
	v_rcp_iflag_f32_e32 v0, v0
	v_mov_b32_e32 v24, 0
	v_mov_b32_e32 v16, 0
	s_cmp_ge_i32 s24, s25
	v_mul_f32_e32 v0, 0x4f7ffffe, v0
	v_cvt_u32_f32_e32 v0, v0
	v_mov_b32_e32 v8, 0
	v_mov_b32_e32 v34, 0
	s_waitcnt lgkmcnt(0)
	v_readfirstlane_b32 s1, v0
	s_waitcnt vmcnt(0)
	s_barrier
	s_cbranch_scc1 .LBB26_15
; %bb.10:
	buffer_load_dword v1, off, s[28:31], 0 offset:76 ; 4-byte Folded Reload
	buffer_load_dword v2, off, s[28:31], 0 offset:80 ; 4-byte Folded Reload
	s_sub_i32 s6, 0, s0
	s_mul_i32 s6, s6, s1
	s_mul_hi_u32 s6, s1, s6
	s_abs_i32 s5, s17
	s_add_i32 s1, s1, s6
	s_ashr_i32 s2, s17, 31
	s_ashr_i32 s3, s18, 31
	s_mul_hi_u32 s1, s5, s1
	s_xor_b32 s2, s2, s3
	s_mul_i32 s3, s1, s0
	s_sub_i32 s3, s5, s3
	s_add_i32 s5, s1, 1
	s_sub_i32 s6, s3, s0
	s_cmp_ge_u32 s3, s0
	s_cselect_b32 s1, s5, s1
	s_cselect_b32 s3, s6, s3
	s_add_i32 s5, s1, 1
	s_cmp_ge_u32 s3, s0
	s_cselect_b32 s0, s5, s1
	s_xor_b32 s0, s0, s2
	s_sub_i32 s5, s0, s2
	v_cvt_f32_u32_e32 v0, s5
	s_bitcmp1_b32 s19, 0
	s_cselect_b64 s[0:1], -1, 0
	s_sub_i32 s2, 0, s5
	v_rcp_iflag_f32_e32 v0, v0
	s_xor_b64 s[0:1], s[0:1], -1
	v_mov_b32_e32 v5, s11
	v_mov_b32_e32 v4, s13
	v_mul_f32_e32 v0, 0x4f7ffffe, v0
	v_cvt_u32_f32_e32 v0, v0
	v_mov_b32_e32 v34, 0
	v_mov_b32_e32 v8, 0
	;; [unrolled: 1-line block ×3, first 2 shown]
	v_readfirstlane_b32 s3, v0
	s_mul_i32 s2, s2, s3
	s_mul_hi_u32 s2, s3, s2
	s_add_i32 s3, s3, s2
	s_mul_hi_u32 s2, s24, s3
	s_mul_i32 s3, s2, s5
	s_sub_i32 s3, s24, s3
	s_add_i32 s6, s2, 1
	s_sub_i32 s17, s3, s5
	s_cmp_ge_u32 s3, s5
	s_cselect_b32 s2, s6, s2
	s_cselect_b32 s3, s17, s3
	s_add_i32 s6, s2, 1
	s_cmp_ge_u32 s3, s5
	s_cselect_b32 s6, s6, s2
	s_mul_i32 s2, s6, s16
	s_ashr_i32 s3, s2, 31
	s_lshr_b32 s3, s3, 30
	v_mov_b32_e32 v24, 0
	v_mov_b32_e32 v11, 0
	;; [unrolled: 1-line block ×3, first 2 shown]
	s_waitcnt vmcnt(1)
	v_mov_b32_e32 v6, v1
	v_add_u32_e32 v0, s2, v6
	s_add_i32 s2, s2, s3
	s_waitcnt vmcnt(0)
	v_ashrrev_i32_e32 v2, 2, v6
	s_ashr_i32 s2, s2, 2
	buffer_store_dword v2, off, s[28:31], 0 offset:84 ; 4-byte Folded Spill
	v_add_u32_e32 v2, s2, v2
	v_ashrrev_i32_e32 v3, 31, v2
	v_lshlrev_b64 v[2:3], 2, v[2:3]
	v_ashrrev_i32_e32 v1, 31, v0
	v_lshlrev_b64 v[0:1], 1, v[0:1]
	v_add_co_u32_e32 v2, vcc, s10, v2
	v_addc_co_u32_e32 v3, vcc, v5, v3, vcc
	v_add_co_u32_e32 v0, vcc, s12, v0
	global_load_dword v2, v[2:3], off
	v_addc_co_u32_e32 v1, vcc, v4, v1, vcc
	global_load_dwordx2 v[29:30], v[0:1], off
	v_cndmask_b32_e64 v3, 0, 1, s[0:1]
	s_lshr_b32 s0, s24, 2
	s_mul_i32 s0, s16, s0
	v_mov_b32_e32 v0, v6
	s_ashr_i32 s1, s0, 31
	v_ashrrev_i32_e32 v7, 31, v6
	buffer_store_dword v0, off, s[28:31], 0 offset:76 ; 4-byte Folded Spill
	s_nop 0
	buffer_store_dword v1, off, s[28:31], 0 offset:80 ; 4-byte Folded Spill
	s_lshl_b64 s[0:1], s[0:1], 2
	v_lshlrev_b64 v[0:1], 2, v[6:7]
	s_add_u32 s18, s8, s0
	s_addc_u32 s0, s9, s1
	buffer_store_dword v3, off, s[28:31], 0 offset:72 ; 4-byte Folded Spill
	s_ashr_i32 s17, s16, 31
	v_mov_b32_e32 v3, s0
	v_add_co_u32_e32 v4, vcc, s18, v0
	s_add_i32 s8, s5, s24
	s_lshl_b64 s[0:1], s[16:17], 5
	s_lshl_b64 s[2:3], s[16:17], 2
	v_addc_co_u32_e32 v5, vcc, v3, v1, vcc
	s_waitcnt vmcnt(4)
	v_and_b32_e32 v1, 0xff, v2
	v_bfe_u32 v3, v2, 8, 8
	v_bfe_u32 v6, v2, 16, 8
	v_lshrrev_b32_e32 v2, 24, v2
.LBB26_11:                              ; =>This Inner Loop Header: Depth=1
	s_cmp_lg_u32 s24, s8
	v_mov_b32_e32 v22, v11
	buffer_store_dword v16, off, s[28:31], 0 offset:8 ; 4-byte Folded Spill
	buffer_store_dword v24, off, s[28:31], 0 offset:12 ; 4-byte Folded Spill
	;; [unrolled: 1-line block ×3, first 2 shown]
	s_cbranch_scc1 .LBB26_13
; %bb.12:                               ;   in Loop: Header=BB26_11 Depth=1
	buffer_load_dword v0, off, s[28:31], 0 offset:84 ; 4-byte Folded Reload
	s_add_i32 s6, s6, 1
	s_mul_i32 s9, s6, s16
	s_ashr_i32 s17, s9, 31
	s_lshr_b32 s17, s17, 30
	s_add_i32 s17, s9, s17
	s_ashr_i32 s17, s17, 2
	s_waitcnt vmcnt(4)
	v_mov_b32_e32 v2, s11
	v_mov_b32_e32 v3, s13
	s_add_i32 s8, s8, s5
	s_waitcnt vmcnt(0)
	v_add_u32_e32 v0, s17, v0
	v_ashrrev_i32_e32 v1, 31, v0
	v_lshlrev_b64 v[0:1], 2, v[0:1]
	v_add_co_u32_e32 v0, vcc, s10, v0
	v_addc_co_u32_e32 v1, vcc, v2, v1, vcc
	global_load_dword v2, v[0:1], off
	s_nop 0
	buffer_load_dword v0, off, s[28:31], 0 offset:76 ; 4-byte Folded Reload
	buffer_load_dword v1, off, s[28:31], 0 offset:80 ; 4-byte Folded Reload
	s_waitcnt vmcnt(1)
	v_add_u32_e32 v0, s9, v0
	s_waitcnt vmcnt(0)
	v_ashrrev_i32_e32 v1, 31, v0
	v_lshlrev_b64 v[0:1], 1, v[0:1]
	v_bfe_u32 v6, v2, 16, 8
	v_add_co_u32_e32 v0, vcc, s12, v0
	v_addc_co_u32_e32 v1, vcc, v3, v1, vcc
	global_load_dwordx2 v[29:30], v[0:1], off
	v_and_b32_e32 v1, 0xff, v2
	v_bfe_u32 v3, v2, 8, 8
	v_lshrrev_b32_e32 v2, 24, v2
.LBB26_13:                              ;   in Loop: Header=BB26_11 Depth=1
	buffer_load_dword v0, off, s[28:31], 0 offset:72 ; 4-byte Folded Reload
	v_mov_b32_e32 v21, s4
	s_waitcnt vmcnt(7)
	buffer_store_dword v1, off, s[28:31], 0 offset:56 ; 4-byte Folded Spill
	s_waitcnt vmcnt(7)
	buffer_store_dword v3, off, s[28:31], 0 offset:60 ; 4-byte Folded Spill
	;; [unrolled: 2-line block ×4, first 2 shown]
	buffer_store_dword v4, off, s[28:31], 0 ; 4-byte Folded Spill
	s_nop 0
	buffer_store_dword v5, off, s[28:31], 0 offset:4 ; 4-byte Folded Spill
	s_add_i32 s24, s24, 32
	s_add_i32 s4, s4, 64
	s_cmp_ge_i32 s24, s25
	s_waitcnt vmcnt(6)
	v_add_u32_e32 v33, v1, v0
	v_add_u32_e32 v32, v3, v0
	;; [unrolled: 1-line block ×4, first 2 shown]
	buffer_load_dword v0, off, s[28:31], 0  ; 4-byte Folded Reload
	buffer_load_dword v1, off, s[28:31], 0 offset:4 ; 4-byte Folded Reload
	v_mov_b32_e32 v2, s3
	s_waitcnt vmcnt(0)
	global_load_dwordx4 v[4:7], v[0:1], off
	s_nop 0
	buffer_load_dword v0, off, s[28:31], 0  ; 4-byte Folded Reload
	buffer_load_dword v1, off, s[28:31], 0 offset:4 ; 4-byte Folded Reload
	s_waitcnt vmcnt(1)
	v_add_co_u32_e32 v12, vcc, s2, v0
	buffer_store_dword v2, off, s[28:31], 0 offset:52 ; 4-byte Folded Spill
	buffer_load_dword v0, off, s[28:31], 0  ; 4-byte Folded Reload
	buffer_load_dword v1, off, s[28:31], 0 offset:4 ; 4-byte Folded Reload
	v_sub_u32_sdwa v8, v4, v33 dst_sel:DWORD dst_unused:UNUSED_PAD src0_sel:BYTE_0 src1_sel:DWORD
	v_cvt_f32_i32_e32 v8, v8
	v_cvt_f16_f32_e32 v38, v8
	v_sub_u32_sdwa v8, v4, v33 dst_sel:DWORD dst_unused:UNUSED_PAD src0_sel:BYTE_1 src1_sel:DWORD
	v_cvt_f32_i32_e32 v8, v8
	v_cvt_f16_f32_e32 v37, v8
	v_sub_u32_sdwa v8, v4, v33 dst_sel:DWORD dst_unused:UNUSED_PAD src0_sel:BYTE_2 src1_sel:DWORD
	v_sub_u32_sdwa v4, v4, v33 dst_sel:DWORD dst_unused:UNUSED_PAD src0_sel:BYTE_3 src1_sel:DWORD
	v_cvt_f32_i32_e32 v4, v4
	v_cvt_f32_i32_e32 v8, v8
	v_cvt_f16_f32_e32 v27, v4
	v_cvt_f16_f32_e32 v26, v8
	s_waitcnt vmcnt(0)
	v_addc_co_u32_e32 v13, vcc, v1, v2, vcc
	global_load_dwordx4 v[0:3], v[12:13], off
	v_add_co_u32_e32 v12, vcc, s2, v12
	s_waitcnt vmcnt(0)
	v_sub_u32_sdwa v4, v0, v33 dst_sel:DWORD dst_unused:UNUSED_PAD src0_sel:BYTE_0 src1_sel:DWORD
	v_cvt_f32_i32_e32 v4, v4
	v_cvt_f16_f32_e32 v28, v4
	v_sub_u32_sdwa v4, v0, v33 dst_sel:DWORD dst_unused:UNUSED_PAD src0_sel:BYTE_1 src1_sel:DWORD
	v_cvt_f32_i32_e32 v4, v4
	v_cvt_f16_f32_e32 v39, v4
	v_sub_u32_sdwa v4, v0, v33 dst_sel:DWORD dst_unused:UNUSED_PAD src0_sel:BYTE_2 src1_sel:DWORD
	v_sub_u32_sdwa v0, v0, v33 dst_sel:DWORD dst_unused:UNUSED_PAD src0_sel:BYTE_3 src1_sel:DWORD
	v_cvt_f32_i32_e32 v0, v0
	v_cvt_f32_i32_e32 v4, v4
	v_cvt_f16_f32_e32 v41, v0
	v_sub_u32_sdwa v0, v5, v32 dst_sel:DWORD dst_unused:UNUSED_PAD src0_sel:BYTE_0 src1_sel:DWORD
	v_cvt_f32_i32_e32 v0, v0
	v_cvt_f16_f32_e32 v40, v4
	v_cvt_f16_f32_e32 v42, v0
	v_sub_u32_sdwa v0, v5, v32 dst_sel:DWORD dst_unused:UNUSED_PAD src0_sel:BYTE_1 src1_sel:DWORD
	v_cvt_f32_i32_e32 v0, v0
	v_cvt_f16_f32_e32 v43, v0
	v_sub_u32_sdwa v0, v5, v32 dst_sel:DWORD dst_unused:UNUSED_PAD src0_sel:BYTE_2 src1_sel:DWORD
	v_cvt_f32_i32_e32 v0, v0
	v_cvt_f16_f32_e32 v44, v0
	v_sub_u32_sdwa v0, v5, v32 dst_sel:DWORD dst_unused:UNUSED_PAD src0_sel:BYTE_3 src1_sel:DWORD
	v_cvt_f32_i32_e32 v0, v0
	v_cvt_f16_f32_e32 v45, v0
	v_sub_u32_sdwa v0, v1, v32 dst_sel:DWORD dst_unused:UNUSED_PAD src0_sel:BYTE_0 src1_sel:DWORD
	v_cvt_f32_i32_e32 v0, v0
	v_cvt_f16_f32_e32 v46, v0
	v_sub_u32_sdwa v0, v1, v32 dst_sel:DWORD dst_unused:UNUSED_PAD src0_sel:BYTE_1 src1_sel:DWORD
	v_cvt_f32_i32_e32 v0, v0
	v_cvt_f16_f32_e32 v47, v0
	v_sub_u32_sdwa v0, v1, v32 dst_sel:DWORD dst_unused:UNUSED_PAD src0_sel:BYTE_2 src1_sel:DWORD
	v_cvt_f32_i32_e32 v0, v0
	v_cvt_f16_f32_e32 v48, v0
	v_sub_u32_sdwa v0, v1, v32 dst_sel:DWORD dst_unused:UNUSED_PAD src0_sel:BYTE_3 src1_sel:DWORD
	v_cvt_f32_i32_e32 v0, v0
	v_cvt_f16_f32_e32 v49, v0
	v_sub_u32_sdwa v0, v6, v31 dst_sel:DWORD dst_unused:UNUSED_PAD src0_sel:BYTE_0 src1_sel:DWORD
	v_cvt_f32_i32_e32 v0, v0
	;; [unrolled: 12-line block ×5, first 2 shown]
	v_cvt_f16_f32_e32 v62, v0
	v_sub_u32_sdwa v0, v3, v23 dst_sel:DWORD dst_unused:UNUSED_PAD src0_sel:BYTE_1 src1_sel:DWORD
	v_cvt_f32_i32_e32 v0, v0
	v_cvt_f16_f32_e32 v63, v0
	v_sub_u32_sdwa v0, v3, v23 dst_sel:DWORD dst_unused:UNUSED_PAD src0_sel:BYTE_2 src1_sel:DWORD
	v_cvt_f32_i32_e32 v0, v0
	v_cvt_f16_f32_e32 v14, v0
	v_sub_u32_sdwa v0, v3, v23 dst_sel:DWORD dst_unused:UNUSED_PAD src0_sel:BYTE_3 src1_sel:DWORD
	v_cvt_f32_i32_e32 v0, v0
	v_cvt_f16_f32_e32 v16, v0
	ds_read_b128 v[0:3], v21
	ds_read_b128 v[8:11], v21 offset:16
	ds_read_b128 v[4:7], v21 offset:32
	ds_read_b128 v[17:20], v21 offset:48
	buffer_load_dword v24, off, s[28:31], 0 offset:12 ; 4-byte Folded Reload
	s_waitcnt lgkmcnt(3)
	v_fma_mix_f32 v15, v38, v0, 0 op_sel_hi:[1,1,0]
	v_fma_mix_f32 v35, v42, v0, 0 op_sel_hi:[1,1,0]
	v_fma_mix_f32 v15, v37, v0, v15 op_sel:[0,1,0] op_sel_hi:[1,1,0]
	v_fma_mix_f32 v35, v43, v0, v35 op_sel:[0,1,0] op_sel_hi:[1,1,0]
	v_fma_mix_f32 v15, v26, v1, v15 op_sel_hi:[1,1,0]
	v_fma_mix_f32 v35, v44, v1, v35 op_sel_hi:[1,1,0]
	v_fma_mix_f32 v15, v27, v1, v15 op_sel:[0,1,0] op_sel_hi:[1,1,0]
	v_fma_mix_f32 v35, v45, v1, v35 op_sel:[0,1,0] op_sel_hi:[1,1,0]
	;; [unrolled: 4-line block ×4, first 2 shown]
	v_fma_mixlo_f16 v15, v15, v29, 0 op_sel_hi:[0,1,0]
	v_fma_mixlo_f16 v35, v35, v29, 0 op_sel:[0,1,0] op_sel_hi:[0,1,0]
	v_add_f16_e32 v25, v36, v15
	v_add_f16_sdwa v15, v36, v35 dst_sel:DWORD dst_unused:UNUSED_PAD src0_sel:WORD_1 src1_sel:DWORD
	v_fma_mix_f32 v35, v50, v0, 0 op_sel_hi:[1,1,0]
	v_fma_mix_f32 v36, v58, v0, 0 op_sel_hi:[1,1,0]
	v_fma_mix_f32 v35, v51, v0, v35 op_sel:[0,1,0] op_sel_hi:[1,1,0]
	v_fma_mix_f32 v0, v59, v0, v36 op_sel:[0,1,0] op_sel_hi:[1,1,0]
	v_fma_mix_f32 v0, v60, v1, v0 op_sel_hi:[1,1,0]
	v_fma_mix_f32 v0, v61, v1, v0 op_sel:[0,1,0] op_sel_hi:[1,1,0]
	v_fma_mix_f32 v35, v52, v1, v35 op_sel_hi:[1,1,0]
	v_fma_mix_f32 v0, v62, v2, v0 op_sel_hi:[1,1,0]
	v_fma_mix_f32 v35, v53, v1, v35 op_sel:[0,1,0] op_sel_hi:[1,1,0]
	v_fma_mix_f32 v0, v63, v2, v0 op_sel:[0,1,0] op_sel_hi:[1,1,0]
	v_fma_mix_f32 v35, v54, v2, v35 op_sel_hi:[1,1,0]
	v_fma_mix_f32 v0, v14, v3, v0 op_sel_hi:[1,1,0]
	v_fma_mix_f32 v35, v55, v2, v35 op_sel:[0,1,0] op_sel_hi:[1,1,0]
	v_fma_mix_f32 v0, v16, v3, v0 op_sel:[0,1,0] op_sel_hi:[1,1,0]
	v_fma_mix_f32 v35, v56, v3, v35 op_sel_hi:[1,1,0]
	v_fma_mixlo_f16 v0, v0, v30, 0 op_sel:[0,1,0] op_sel_hi:[0,1,0]
	v_fma_mix_f32 v35, v57, v3, v35 op_sel:[0,1,0] op_sel_hi:[1,1,0]
	v_add_f16_sdwa v36, v22, v0 dst_sel:DWORD dst_unused:UNUSED_PAD src0_sel:WORD_1 src1_sel:DWORD
	ds_read_b128 v[0:3], v21 offset:256
	v_fma_mixlo_f16 v35, v35, v30, 0 op_sel_hi:[0,1,0]
	v_add_f16_e32 v35, v22, v35
	buffer_store_dword v21, off, s[28:31], 0 offset:48 ; 4-byte Folded Spill
	s_waitcnt lgkmcnt(0)
	v_fma_mix_f32 v22, v38, v0, 0 op_sel_hi:[1,1,0]
	v_fma_mix_f32 v22, v37, v0, v22 op_sel:[0,1,0] op_sel_hi:[1,1,0]
	v_fma_mix_f32 v22, v26, v1, v22 op_sel_hi:[1,1,0]
	v_fma_mix_f32 v22, v27, v1, v22 op_sel:[0,1,0] op_sel_hi:[1,1,0]
	;; [unrolled: 2-line block ×4, first 2 shown]
	v_fma_mixlo_f16 v22, v22, v29, 0 op_sel_hi:[0,1,0]
	s_waitcnt vmcnt(1)
	v_add_f16_e32 v22, v24, v22
	buffer_store_dword v22, off, s[28:31], 0 offset:32 ; 4-byte Folded Spill
	v_fma_mix_f32 v22, v42, v0, 0 op_sel_hi:[1,1,0]
	v_fma_mix_f32 v22, v43, v0, v22 op_sel:[0,1,0] op_sel_hi:[1,1,0]
	v_fma_mix_f32 v22, v44, v1, v22 op_sel_hi:[1,1,0]
	v_fma_mix_f32 v22, v45, v1, v22 op_sel:[0,1,0] op_sel_hi:[1,1,0]
	;; [unrolled: 2-line block ×4, first 2 shown]
	v_fma_mixlo_f16 v22, v22, v29, 0 op_sel:[0,1,0] op_sel_hi:[0,1,0]
	v_add_f16_sdwa v22, v24, v22 dst_sel:DWORD dst_unused:UNUSED_PAD src0_sel:WORD_1 src1_sel:DWORD
	buffer_load_dword v24, off, s[28:31], 0 offset:8 ; 4-byte Folded Reload
	s_nop 0
	buffer_store_dword v22, off, s[28:31], 0 offset:36 ; 4-byte Folded Spill
	v_fma_mix_f32 v22, v50, v0, 0 op_sel_hi:[1,1,0]
	v_fma_mix_f32 v22, v51, v0, v22 op_sel:[0,1,0] op_sel_hi:[1,1,0]
	v_fma_mix_f32 v22, v52, v1, v22 op_sel_hi:[1,1,0]
	v_fma_mix_f32 v22, v53, v1, v22 op_sel:[0,1,0] op_sel_hi:[1,1,0]
	;; [unrolled: 2-line block ×4, first 2 shown]
	v_fma_mixlo_f16 v22, v22, v30, 0 op_sel_hi:[0,1,0]
	s_waitcnt vmcnt(1)
	v_add_f16_e32 v22, v24, v22
	buffer_store_dword v22, off, s[28:31], 0 offset:40 ; 4-byte Folded Spill
	v_fma_mix_f32 v22, v58, v0, 0 op_sel_hi:[1,1,0]
	v_fma_mix_f32 v0, v59, v0, v22 op_sel:[0,1,0] op_sel_hi:[1,1,0]
	v_fma_mix_f32 v0, v60, v1, v0 op_sel_hi:[1,1,0]
	v_fma_mix_f32 v0, v61, v1, v0 op_sel:[0,1,0] op_sel_hi:[1,1,0]
	;; [unrolled: 2-line block ×4, first 2 shown]
	v_fma_mixlo_f16 v0, v0, v30, 0 op_sel:[0,1,0] op_sel_hi:[0,1,0]
	v_add_f16_sdwa v0, v24, v0 dst_sel:DWORD dst_unused:UNUSED_PAD src0_sel:WORD_1 src1_sel:DWORD
	buffer_load_dword v24, off, s[28:31], 0 offset:16 ; 4-byte Folded Reload
	s_nop 0
	buffer_store_dword v0, off, s[28:31], 0 offset:44 ; 4-byte Folded Spill
	ds_read_b128 v[0:3], v21 offset:512
	s_waitcnt lgkmcnt(0)
	v_fma_mix_f32 v22, v38, v0, 0 op_sel_hi:[1,1,0]
	buffer_load_dword v38, off, s[28:31], 0 offset:52 ; 4-byte Folded Reload
	v_fma_mix_f32 v22, v37, v0, v22 op_sel:[0,1,0] op_sel_hi:[1,1,0]
	v_fma_mix_f32 v22, v26, v1, v22 op_sel_hi:[1,1,0]
	v_fma_mix_f32 v22, v27, v1, v22 op_sel:[0,1,0] op_sel_hi:[1,1,0]
	v_fma_mix_f32 v22, v28, v2, v22 op_sel_hi:[1,1,0]
	;; [unrolled: 2-line block ×3, first 2 shown]
	v_fma_mix_f32 v22, v41, v3, v22 op_sel:[0,1,0] op_sel_hi:[1,1,0]
	v_fma_mixlo_f16 v22, v22, v29, 0 op_sel_hi:[0,1,0]
	s_waitcnt vmcnt(2)
	v_add_f16_e32 v21, v24, v22
	v_fma_mix_f32 v22, v42, v0, 0 op_sel_hi:[1,1,0]
	v_fma_mix_f32 v22, v43, v0, v22 op_sel:[0,1,0] op_sel_hi:[1,1,0]
	v_fma_mix_f32 v22, v44, v1, v22 op_sel_hi:[1,1,0]
	v_fma_mix_f32 v22, v45, v1, v22 op_sel:[0,1,0] op_sel_hi:[1,1,0]
	;; [unrolled: 2-line block ×4, first 2 shown]
	v_fma_mixlo_f16 v22, v22, v29, 0 op_sel:[0,1,0] op_sel_hi:[0,1,0]
	buffer_store_dword v21, off, s[28:31], 0 offset:28 ; 4-byte Folded Spill
	v_add_f16_sdwa v21, v24, v22 dst_sel:DWORD dst_unused:UNUSED_PAD src0_sel:WORD_1 src1_sel:DWORD
	buffer_store_dword v21, off, s[28:31], 0 offset:24 ; 4-byte Folded Spill
	v_fma_mix_f32 v21, v50, v0, 0 op_sel_hi:[1,1,0]
	v_fma_mix_f32 v21, v51, v0, v21 op_sel:[0,1,0] op_sel_hi:[1,1,0]
	v_fma_mix_f32 v21, v52, v1, v21 op_sel_hi:[1,1,0]
	v_fma_mix_f32 v21, v53, v1, v21 op_sel:[0,1,0] op_sel_hi:[1,1,0]
	;; [unrolled: 2-line block ×4, first 2 shown]
	v_fma_mixlo_f16 v21, v21, v30, 0 op_sel_hi:[0,1,0]
	v_add_f16_e32 v21, v34, v21
	buffer_store_dword v21, off, s[28:31], 0 offset:20 ; 4-byte Folded Spill
	v_fma_mix_f32 v21, v58, v0, 0 op_sel_hi:[1,1,0]
	v_fma_mix_f32 v0, v59, v0, v21 op_sel:[0,1,0] op_sel_hi:[1,1,0]
	v_fma_mix_f32 v0, v60, v1, v0 op_sel_hi:[1,1,0]
	v_fma_mix_f32 v0, v61, v1, v0 op_sel:[0,1,0] op_sel_hi:[1,1,0]
	;; [unrolled: 2-line block ×4, first 2 shown]
	v_fma_mixlo_f16 v0, v0, v30, 0 op_sel:[0,1,0] op_sel_hi:[0,1,0]
	v_add_f16_sdwa v0, v34, v0 dst_sel:DWORD dst_unused:UNUSED_PAD src0_sel:WORD_1 src1_sel:DWORD
	s_waitcnt vmcnt(3)
	v_addc_co_u32_e32 v13, vcc, v13, v38, vcc
	buffer_store_dword v0, off, s[28:31], 0 offset:16 ; 4-byte Folded Spill
	global_load_dwordx4 v[0:3], v[12:13], off
	v_add_co_u32_e32 v12, vcc, s2, v12
	v_addc_co_u32_e32 v13, vcc, v13, v38, vcc
	global_load_dwordx4 v[39:42], v[12:13], off
	s_waitcnt vmcnt(1)
	v_sub_u32_sdwa v14, v0, v33 dst_sel:DWORD dst_unused:UNUSED_PAD src0_sel:BYTE_0 src1_sel:DWORD
	v_cvt_f32_i32_e32 v14, v14
	v_sub_u32_sdwa v16, v0, v33 dst_sel:DWORD dst_unused:UNUSED_PAD src0_sel:BYTE_2 src1_sel:DWORD
	v_cvt_f32_i32_e32 v16, v16
	v_cvt_f16_f32_e32 v34, v14
	v_sub_u32_sdwa v14, v0, v33 dst_sel:DWORD dst_unused:UNUSED_PAD src0_sel:BYTE_1 src1_sel:DWORD
	v_sub_u32_sdwa v0, v0, v33 dst_sel:DWORD dst_unused:UNUSED_PAD src0_sel:BYTE_3 src1_sel:DWORD
	v_cvt_f32_i32_e32 v0, v0
	v_cvt_f16_f32_e32 v21, v16
	v_cvt_f32_i32_e32 v14, v14
	v_cvt_f16_f32_e32 v22, v0
	s_waitcnt vmcnt(0)
	v_sub_u32_sdwa v0, v39, v33 dst_sel:DWORD dst_unused:UNUSED_PAD src0_sel:BYTE_0 src1_sel:DWORD
	v_cvt_f32_i32_e32 v0, v0
	v_cvt_f16_f32_e32 v14, v14
	v_cvt_f16_f32_e32 v43, v0
	v_sub_u32_sdwa v0, v39, v33 dst_sel:DWORD dst_unused:UNUSED_PAD src0_sel:BYTE_1 src1_sel:DWORD
	v_cvt_f32_i32_e32 v0, v0
	v_cvt_f16_f32_e32 v45, v0
	v_sub_u32_sdwa v0, v39, v33 dst_sel:DWORD dst_unused:UNUSED_PAD src0_sel:BYTE_2 src1_sel:DWORD
	v_cvt_f32_i32_e32 v0, v0
	v_cvt_f16_f32_e32 v47, v0
	v_sub_u32_sdwa v0, v39, v33 dst_sel:DWORD dst_unused:UNUSED_PAD src0_sel:BYTE_3 src1_sel:DWORD
	v_cvt_f32_i32_e32 v0, v0
	v_mov_b32_e32 v39, v23
	v_cvt_f16_f32_e32 v49, v0
	v_sub_u32_sdwa v0, v1, v32 dst_sel:DWORD dst_unused:UNUSED_PAD src0_sel:BYTE_0 src1_sel:DWORD
	v_cvt_f32_i32_e32 v0, v0
	v_cvt_f16_f32_e32 v44, v0
	v_sub_u32_sdwa v0, v1, v32 dst_sel:DWORD dst_unused:UNUSED_PAD src0_sel:BYTE_1 src1_sel:DWORD
	v_cvt_f32_i32_e32 v0, v0
	v_cvt_f16_f32_e32 v46, v0
	v_sub_u32_sdwa v0, v1, v32 dst_sel:DWORD dst_unused:UNUSED_PAD src0_sel:BYTE_2 src1_sel:DWORD
	v_cvt_f32_i32_e32 v0, v0
	v_cvt_f16_f32_e32 v48, v0
	v_sub_u32_sdwa v0, v1, v32 dst_sel:DWORD dst_unused:UNUSED_PAD src0_sel:BYTE_3 src1_sel:DWORD
	v_cvt_f32_i32_e32 v0, v0
	v_fma_mix_f32 v1, v34, v8, 0 op_sel_hi:[1,1,0]
	v_fma_mix_f32 v1, v14, v8, v1 op_sel:[0,1,0] op_sel_hi:[1,1,0]
	v_fma_mix_f32 v1, v21, v9, v1 op_sel_hi:[1,1,0]
	v_cvt_f16_f32_e32 v50, v0
	v_sub_u32_sdwa v0, v40, v32 dst_sel:DWORD dst_unused:UNUSED_PAD src0_sel:BYTE_0 src1_sel:DWORD
	v_cvt_f32_i32_e32 v0, v0
	v_fma_mix_f32 v1, v22, v9, v1 op_sel:[0,1,0] op_sel_hi:[1,1,0]
	v_fma_mix_f32 v1, v43, v10, v1 op_sel_hi:[1,1,0]
	v_fma_mix_f32 v1, v45, v10, v1 op_sel:[0,1,0] op_sel_hi:[1,1,0]
	v_cvt_f16_f32_e32 v51, v0
	v_sub_u32_sdwa v0, v40, v32 dst_sel:DWORD dst_unused:UNUSED_PAD src0_sel:BYTE_1 src1_sel:DWORD
	v_cvt_f32_i32_e32 v0, v0
	v_fma_mix_f32 v1, v47, v11, v1 op_sel_hi:[1,1,0]
	v_fma_mix_f32 v1, v49, v11, v1 op_sel:[0,1,0] op_sel_hi:[1,1,0]
	v_fma_mixlo_f16 v1, v1, v29, 0 op_sel_hi:[0,1,0]
	v_cvt_f16_f32_e32 v53, v0
	v_sub_u32_sdwa v0, v40, v32 dst_sel:DWORD dst_unused:UNUSED_PAD src0_sel:BYTE_2 src1_sel:DWORD
	v_cvt_f32_i32_e32 v0, v0
	v_add_f16_e32 v1, v25, v1
	buffer_store_dword v1, off, s[28:31], 0 offset:12 ; 4-byte Folded Spill
	v_fma_mix_f32 v1, v44, v8, 0 op_sel_hi:[1,1,0]
	v_cvt_f16_f32_e32 v55, v0
	v_sub_u32_sdwa v0, v40, v32 dst_sel:DWORD dst_unused:UNUSED_PAD src0_sel:BYTE_3 src1_sel:DWORD
	v_cvt_f32_i32_e32 v0, v0
	v_fma_mix_f32 v1, v46, v8, v1 op_sel:[0,1,0] op_sel_hi:[1,1,0]
	v_fma_mix_f32 v1, v48, v9, v1 op_sel_hi:[1,1,0]
	v_fma_mix_f32 v1, v50, v9, v1 op_sel:[0,1,0] op_sel_hi:[1,1,0]
	v_cvt_f16_f32_e32 v57, v0
	v_sub_u32_sdwa v0, v2, v31 dst_sel:DWORD dst_unused:UNUSED_PAD src0_sel:BYTE_0 src1_sel:DWORD
	v_cvt_f32_i32_e32 v0, v0
	v_fma_mix_f32 v1, v51, v10, v1 op_sel_hi:[1,1,0]
	v_fma_mix_f32 v1, v53, v10, v1 op_sel:[0,1,0] op_sel_hi:[1,1,0]
	v_fma_mix_f32 v1, v55, v11, v1 op_sel_hi:[1,1,0]
	v_cvt_f16_f32_e32 v52, v0
	v_sub_u32_sdwa v0, v2, v31 dst_sel:DWORD dst_unused:UNUSED_PAD src0_sel:BYTE_1 src1_sel:DWORD
	v_cvt_f32_i32_e32 v0, v0
	v_fma_mix_f32 v1, v57, v11, v1 op_sel:[0,1,0] op_sel_hi:[1,1,0]
	v_fma_mixlo_f16 v1, v1, v29, 0 op_sel:[0,1,0] op_sel_hi:[0,1,0]
	v_add_f16_e32 v25, v15, v1
	v_cvt_f16_f32_e32 v54, v0
	v_sub_u32_sdwa v0, v2, v31 dst_sel:DWORD dst_unused:UNUSED_PAD src0_sel:BYTE_2 src1_sel:DWORD
	v_cvt_f32_i32_e32 v0, v0
	v_fma_mix_f32 v1, v52, v8, 0 op_sel_hi:[1,1,0]
	v_fma_mix_f32 v1, v54, v8, v1 op_sel:[0,1,0] op_sel_hi:[1,1,0]
	v_cvt_f16_f32_e32 v56, v0
	v_sub_u32_sdwa v0, v2, v31 dst_sel:DWORD dst_unused:UNUSED_PAD src0_sel:BYTE_3 src1_sel:DWORD
	v_cvt_f32_i32_e32 v0, v0
	buffer_load_dword v2, off, s[28:31], 0 offset:32 ; 4-byte Folded Reload
	v_fma_mix_f32 v1, v56, v9, v1 op_sel_hi:[1,1,0]
	v_cvt_f16_f32_e32 v58, v0
	v_sub_u32_sdwa v0, v41, v31 dst_sel:DWORD dst_unused:UNUSED_PAD src0_sel:BYTE_0 src1_sel:DWORD
	v_cvt_f32_i32_e32 v0, v0
	v_fma_mix_f32 v1, v58, v9, v1 op_sel:[0,1,0] op_sel_hi:[1,1,0]
	v_cvt_f16_f32_e32 v59, v0
	v_sub_u32_sdwa v0, v41, v31 dst_sel:DWORD dst_unused:UNUSED_PAD src0_sel:BYTE_1 src1_sel:DWORD
	v_cvt_f32_i32_e32 v0, v0
	v_fma_mix_f32 v1, v59, v10, v1 op_sel_hi:[1,1,0]
	v_cvt_f16_f32_e32 v61, v0
	v_sub_u32_sdwa v0, v41, v31 dst_sel:DWORD dst_unused:UNUSED_PAD src0_sel:BYTE_2 src1_sel:DWORD
	v_cvt_f32_i32_e32 v0, v0
	v_fma_mix_f32 v1, v61, v10, v1 op_sel:[0,1,0] op_sel_hi:[1,1,0]
	v_cvt_f16_f32_e32 v63, v0
	v_sub_u32_sdwa v0, v41, v31 dst_sel:DWORD dst_unused:UNUSED_PAD src0_sel:BYTE_3 src1_sel:DWORD
	v_cvt_f32_i32_e32 v0, v0
	v_fma_mix_f32 v1, v63, v11, v1 op_sel_hi:[1,1,0]
	v_cvt_f16_f32_e32 v16, v0
	v_sub_u32_sdwa v0, v3, v23 dst_sel:DWORD dst_unused:UNUSED_PAD src0_sel:BYTE_0 src1_sel:DWORD
	v_cvt_f32_i32_e32 v0, v0
	v_fma_mix_f32 v1, v16, v11, v1 op_sel:[0,1,0] op_sel_hi:[1,1,0]
	v_fma_mixlo_f16 v1, v1, v30, 0 op_sel_hi:[0,1,0]
	v_cvt_f16_f32_e32 v60, v0
	v_sub_u32_sdwa v0, v3, v23 dst_sel:DWORD dst_unused:UNUSED_PAD src0_sel:BYTE_1 src1_sel:DWORD
	v_cvt_f32_i32_e32 v0, v0
	v_add_f16_e32 v1, v35, v1
	buffer_store_dword v1, off, s[28:31], 0 offset:8 ; 4-byte Folded Spill
	v_fma_mix_f32 v1, v60, v8, 0 op_sel_hi:[1,1,0]
	v_cvt_f16_f32_e32 v62, v0
	v_sub_u32_sdwa v0, v3, v23 dst_sel:DWORD dst_unused:UNUSED_PAD src0_sel:BYTE_2 src1_sel:DWORD
	v_cvt_f32_i32_e32 v0, v0
	v_fma_mix_f32 v1, v62, v8, v1 op_sel:[0,1,0] op_sel_hi:[1,1,0]
	v_cvt_f16_f32_e32 v24, v0
	v_sub_u32_sdwa v0, v3, v23 dst_sel:DWORD dst_unused:UNUSED_PAD src0_sel:BYTE_3 src1_sel:DWORD
	buffer_load_dword v3, off, s[28:31], 0 offset:48 ; 4-byte Folded Reload
	v_cvt_f32_i32_e32 v0, v0
	v_fma_mix_f32 v1, v24, v9, v1 op_sel_hi:[1,1,0]
	v_cvt_f16_f32_e32 v37, v0
	v_sub_u32_sdwa v0, v42, v23 dst_sel:DWORD dst_unused:UNUSED_PAD src0_sel:BYTE_0 src1_sel:DWORD
	v_cvt_f32_i32_e32 v0, v0
	v_fma_mix_f32 v1, v37, v9, v1 op_sel:[0,1,0] op_sel_hi:[1,1,0]
	v_cvt_f16_f32_e32 v26, v0
	v_sub_u32_sdwa v0, v42, v23 dst_sel:DWORD dst_unused:UNUSED_PAD src0_sel:BYTE_1 src1_sel:DWORD
	v_cvt_f32_i32_e32 v0, v0
	v_fma_mix_f32 v1, v26, v10, v1 op_sel_hi:[1,1,0]
	v_cvt_f16_f32_e32 v27, v0
	v_sub_u32_sdwa v0, v42, v23 dst_sel:DWORD dst_unused:UNUSED_PAD src0_sel:BYTE_2 src1_sel:DWORD
	v_cvt_f32_i32_e32 v0, v0
	v_fma_mix_f32 v1, v27, v10, v1 op_sel:[0,1,0] op_sel_hi:[1,1,0]
	v_cvt_f16_f32_e32 v28, v0
	v_sub_u32_sdwa v0, v42, v23 dst_sel:DWORD dst_unused:UNUSED_PAD src0_sel:BYTE_3 src1_sel:DWORD
	v_cvt_f32_i32_e32 v0, v0
	v_fma_mix_f32 v1, v28, v11, v1 op_sel_hi:[1,1,0]
	v_cvt_f16_f32_e32 v0, v0
	v_fma_mix_f32 v1, v0, v11, v1 op_sel:[0,1,0] op_sel_hi:[1,1,0]
	v_fma_mixlo_f16 v1, v1, v30, 0 op_sel:[0,1,0] op_sel_hi:[0,1,0]
	v_add_f16_e32 v35, v36, v1
	s_waitcnt vmcnt(0)
	ds_read_b128 v[8:11], v3 offset:272
	s_waitcnt lgkmcnt(0)
	v_fma_mix_f32 v1, v34, v8, 0 op_sel_hi:[1,1,0]
	v_fma_mix_f32 v1, v14, v8, v1 op_sel:[0,1,0] op_sel_hi:[1,1,0]
	v_fma_mix_f32 v1, v21, v9, v1 op_sel_hi:[1,1,0]
	v_fma_mix_f32 v1, v22, v9, v1 op_sel:[0,1,0] op_sel_hi:[1,1,0]
	;; [unrolled: 2-line block ×4, first 2 shown]
	v_fma_mixlo_f16 v1, v1, v29, 0 op_sel_hi:[0,1,0]
	v_add_f16_e32 v1, v2, v1
	buffer_load_dword v2, off, s[28:31], 0 offset:36 ; 4-byte Folded Reload
	s_nop 0
	buffer_store_dword v1, off, s[28:31], 0 offset:32 ; 4-byte Folded Spill
	v_fma_mix_f32 v1, v44, v8, 0 op_sel_hi:[1,1,0]
	v_fma_mix_f32 v1, v46, v8, v1 op_sel:[0,1,0] op_sel_hi:[1,1,0]
	v_fma_mix_f32 v1, v48, v9, v1 op_sel_hi:[1,1,0]
	v_fma_mix_f32 v1, v50, v9, v1 op_sel:[0,1,0] op_sel_hi:[1,1,0]
	;; [unrolled: 2-line block ×4, first 2 shown]
	v_fma_mixlo_f16 v1, v1, v29, 0 op_sel:[0,1,0] op_sel_hi:[0,1,0]
	s_waitcnt vmcnt(1)
	v_add_f16_e32 v1, v2, v1
	buffer_load_dword v2, off, s[28:31], 0 offset:40 ; 4-byte Folded Reload
	s_nop 0
	buffer_store_dword v1, off, s[28:31], 0 offset:36 ; 4-byte Folded Spill
	v_fma_mix_f32 v1, v52, v8, 0 op_sel_hi:[1,1,0]
	v_fma_mix_f32 v1, v54, v8, v1 op_sel:[0,1,0] op_sel_hi:[1,1,0]
	v_fma_mix_f32 v1, v56, v9, v1 op_sel_hi:[1,1,0]
	v_fma_mix_f32 v1, v58, v9, v1 op_sel:[0,1,0] op_sel_hi:[1,1,0]
	v_fma_mix_f32 v1, v59, v10, v1 op_sel_hi:[1,1,0]
	v_fma_mix_f32 v1, v61, v10, v1 op_sel:[0,1,0] op_sel_hi:[1,1,0]
	v_fma_mix_f32 v1, v63, v11, v1 op_sel_hi:[1,1,0]
	v_fma_mix_f32 v1, v16, v11, v1 op_sel:[0,1,0] op_sel_hi:[1,1,0]
	v_fma_mixlo_f16 v1, v1, v30, 0 op_sel_hi:[0,1,0]
	s_waitcnt vmcnt(1)
	v_add_f16_e32 v1, v2, v1
	buffer_store_dword v1, off, s[28:31], 0 offset:40 ; 4-byte Folded Spill
	buffer_load_dword v1, off, s[28:31], 0 offset:44 ; 4-byte Folded Reload
	v_fma_mix_f32 v2, v60, v8, 0 op_sel_hi:[1,1,0]
	v_fma_mix_f32 v2, v62, v8, v2 op_sel:[0,1,0] op_sel_hi:[1,1,0]
	v_fma_mix_f32 v2, v24, v9, v2 op_sel_hi:[1,1,0]
	v_fma_mix_f32 v2, v37, v9, v2 op_sel:[0,1,0] op_sel_hi:[1,1,0]
	;; [unrolled: 2-line block ×4, first 2 shown]
	ds_read_b128 v[8:11], v3 offset:528
	v_fma_mixlo_f16 v2, v2, v30, 0 op_sel:[0,1,0] op_sel_hi:[0,1,0]
	s_waitcnt vmcnt(0)
	v_add_f16_e32 v2, v1, v2
	v_mov_b32_e32 v1, v3
	s_waitcnt lgkmcnt(0)
	v_fma_mix_f32 v3, v34, v8, 0 op_sel_hi:[1,1,0]
	v_fma_mix_f32 v3, v14, v8, v3 op_sel:[0,1,0] op_sel_hi:[1,1,0]
	buffer_load_dword v14, off, s[28:31], 0 offset:28 ; 4-byte Folded Reload
	v_fma_mix_f32 v3, v21, v9, v3 op_sel_hi:[1,1,0]
	v_fma_mix_f32 v3, v22, v9, v3 op_sel:[0,1,0] op_sel_hi:[1,1,0]
	v_fma_mix_f32 v3, v43, v10, v3 op_sel_hi:[1,1,0]
	v_fma_mix_f32 v3, v45, v10, v3 op_sel:[0,1,0] op_sel_hi:[1,1,0]
	;; [unrolled: 2-line block ×3, first 2 shown]
	v_fma_mixlo_f16 v3, v3, v29, 0 op_sel_hi:[0,1,0]
	s_waitcnt vmcnt(0)
	v_add_f16_e32 v21, v14, v3
	buffer_load_dword v14, off, s[28:31], 0 offset:24 ; 4-byte Folded Reload
	v_fma_mix_f32 v3, v44, v8, 0 op_sel_hi:[1,1,0]
	v_fma_mix_f32 v3, v46, v8, v3 op_sel:[0,1,0] op_sel_hi:[1,1,0]
	v_fma_mix_f32 v3, v48, v9, v3 op_sel_hi:[1,1,0]
	v_fma_mix_f32 v3, v50, v9, v3 op_sel:[0,1,0] op_sel_hi:[1,1,0]
	;; [unrolled: 2-line block ×4, first 2 shown]
	v_fma_mixlo_f16 v3, v3, v29, 0 op_sel:[0,1,0] op_sel_hi:[0,1,0]
	s_waitcnt vmcnt(0)
	v_add_f16_e32 v40, v14, v3
	buffer_load_dword v14, off, s[28:31], 0 offset:20 ; 4-byte Folded Reload
	v_fma_mix_f32 v3, v52, v8, 0 op_sel_hi:[1,1,0]
	v_fma_mix_f32 v3, v54, v8, v3 op_sel:[0,1,0] op_sel_hi:[1,1,0]
	v_fma_mix_f32 v3, v56, v9, v3 op_sel_hi:[1,1,0]
	v_fma_mix_f32 v3, v58, v9, v3 op_sel:[0,1,0] op_sel_hi:[1,1,0]
	;; [unrolled: 2-line block ×4, first 2 shown]
	v_fma_mixlo_f16 v3, v3, v30, 0 op_sel_hi:[0,1,0]
	s_waitcnt vmcnt(0)
	v_add_f16_e32 v41, v14, v3
	v_fma_mix_f32 v3, v60, v8, 0 op_sel_hi:[1,1,0]
	v_fma_mix_f32 v3, v62, v8, v3 op_sel:[0,1,0] op_sel_hi:[1,1,0]
	v_fma_mix_f32 v3, v24, v9, v3 op_sel_hi:[1,1,0]
	v_fma_mix_f32 v3, v37, v9, v3 op_sel:[0,1,0] op_sel_hi:[1,1,0]
	;; [unrolled: 2-line block ×3, first 2 shown]
	v_add_co_u32_e32 v8, vcc, s2, v12
	v_fma_mix_f32 v3, v28, v11, v3 op_sel_hi:[1,1,0]
	v_addc_co_u32_e32 v9, vcc, v13, v38, vcc
	v_fma_mix_f32 v0, v0, v11, v3 op_sel:[0,1,0] op_sel_hi:[1,1,0]
	buffer_load_dword v3, off, s[28:31], 0 offset:16 ; 4-byte Folded Reload
	global_load_dwordx4 v[12:15], v[8:9], off
	v_add_co_u32_e32 v22, vcc, s2, v8
	v_addc_co_u32_e32 v23, vcc, v9, v38, vcc
	global_load_dwordx4 v[8:11], v[22:23], off
	v_fma_mixlo_f16 v0, v0, v30, 0 op_sel:[0,1,0] op_sel_hi:[0,1,0]
	s_waitcnt vmcnt(2)
	v_add_f16_e32 v26, v3, v0
	s_waitcnt vmcnt(1)
	v_sub_u32_sdwa v0, v12, v33 dst_sel:DWORD dst_unused:UNUSED_PAD src0_sel:BYTE_0 src1_sel:DWORD
	v_cvt_f32_i32_e32 v0, v0
	buffer_load_dword v3, off, s[28:31], 0 offset:12 ; 4-byte Folded Reload
	v_cvt_f16_f32_e32 v27, v0
	v_sub_u32_sdwa v0, v12, v33 dst_sel:DWORD dst_unused:UNUSED_PAD src0_sel:BYTE_1 src1_sel:DWORD
	v_cvt_f32_i32_e32 v0, v0
	v_cvt_f16_f32_e32 v28, v0
	v_sub_u32_sdwa v0, v12, v33 dst_sel:DWORD dst_unused:UNUSED_PAD src0_sel:BYTE_2 src1_sel:DWORD
	v_cvt_f32_i32_e32 v0, v0
	v_cvt_f16_f32_e32 v42, v0
	v_sub_u32_sdwa v0, v12, v33 dst_sel:DWORD dst_unused:UNUSED_PAD src0_sel:BYTE_3 src1_sel:DWORD
	v_cvt_f32_i32_e32 v0, v0
	v_cvt_f16_f32_e32 v12, v0
	s_waitcnt vmcnt(1)
	v_sub_u32_sdwa v0, v8, v33 dst_sel:DWORD dst_unused:UNUSED_PAD src0_sel:BYTE_0 src1_sel:DWORD
	v_cvt_f32_i32_e32 v0, v0
	v_cvt_f16_f32_e32 v43, v0
	v_sub_u32_sdwa v0, v8, v33 dst_sel:DWORD dst_unused:UNUSED_PAD src0_sel:BYTE_1 src1_sel:DWORD
	v_cvt_f32_i32_e32 v0, v0
	v_cvt_f16_f32_e32 v44, v0
	v_sub_u32_sdwa v0, v8, v33 dst_sel:DWORD dst_unused:UNUSED_PAD src0_sel:BYTE_2 src1_sel:DWORD
	v_cvt_f32_i32_e32 v0, v0
	v_cvt_f16_f32_e32 v45, v0
	v_sub_u32_sdwa v0, v8, v33 dst_sel:DWORD dst_unused:UNUSED_PAD src0_sel:BYTE_3 src1_sel:DWORD
	v_cvt_f32_i32_e32 v0, v0
	v_cvt_f16_f32_e32 v8, v0
	v_sub_u32_sdwa v0, v13, v32 dst_sel:DWORD dst_unused:UNUSED_PAD src0_sel:BYTE_0 src1_sel:DWORD
	v_cvt_f32_i32_e32 v0, v0
	v_cvt_f16_f32_e32 v46, v0
	v_sub_u32_sdwa v0, v13, v32 dst_sel:DWORD dst_unused:UNUSED_PAD src0_sel:BYTE_1 src1_sel:DWORD
	v_cvt_f32_i32_e32 v0, v0
	v_cvt_f16_f32_e32 v47, v0
	v_sub_u32_sdwa v0, v13, v32 dst_sel:DWORD dst_unused:UNUSED_PAD src0_sel:BYTE_2 src1_sel:DWORD
	v_cvt_f32_i32_e32 v0, v0
	v_cvt_f16_f32_e32 v48, v0
	v_sub_u32_sdwa v0, v13, v32 dst_sel:DWORD dst_unused:UNUSED_PAD src0_sel:BYTE_3 src1_sel:DWORD
	v_cvt_f32_i32_e32 v0, v0
	v_cvt_f16_f32_e32 v13, v0
	;; [unrolled: 12-line block ×6, first 2 shown]
	v_sub_u32_sdwa v0, v11, v39 dst_sel:DWORD dst_unused:UNUSED_PAD src0_sel:BYTE_0 src1_sel:DWORD
	v_cvt_f32_i32_e32 v0, v0
	v_cvt_f16_f32_e32 v61, v0
	v_sub_u32_sdwa v0, v11, v39 dst_sel:DWORD dst_unused:UNUSED_PAD src0_sel:BYTE_1 src1_sel:DWORD
	v_cvt_f32_i32_e32 v0, v0
	v_cvt_f16_f32_e32 v62, v0
	v_sub_u32_sdwa v0, v11, v39 dst_sel:DWORD dst_unused:UNUSED_PAD src0_sel:BYTE_2 src1_sel:DWORD
	v_cvt_f32_i32_e32 v0, v0
	v_sub_u32_sdwa v11, v11, v39 dst_sel:DWORD dst_unused:UNUSED_PAD src0_sel:BYTE_3 src1_sel:DWORD
	v_cvt_f16_f32_e32 v63, v0
	v_cvt_f32_i32_e32 v0, v11
	v_cvt_f16_f32_e32 v36, v0
	v_fma_mix_f32 v0, v27, v4, 0 op_sel_hi:[1,1,0]
	v_fma_mix_f32 v0, v28, v4, v0 op_sel:[0,1,0] op_sel_hi:[1,1,0]
	v_fma_mix_f32 v0, v42, v5, v0 op_sel_hi:[1,1,0]
	v_fma_mix_f32 v0, v12, v5, v0 op_sel:[0,1,0] op_sel_hi:[1,1,0]
	;; [unrolled: 2-line block ×4, first 2 shown]
	v_fma_mixlo_f16 v0, v0, v29, 0 op_sel_hi:[0,1,0]
	s_waitcnt vmcnt(0)
	v_add_f16_e32 v11, v3, v0
	buffer_load_dword v3, off, s[28:31], 0 offset:8 ; 4-byte Folded Reload
	v_fma_mix_f32 v0, v46, v4, 0 op_sel_hi:[1,1,0]
	v_fma_mix_f32 v0, v47, v4, v0 op_sel:[0,1,0] op_sel_hi:[1,1,0]
	v_fma_mix_f32 v0, v48, v5, v0 op_sel_hi:[1,1,0]
	v_fma_mix_f32 v0, v13, v5, v0 op_sel:[0,1,0] op_sel_hi:[1,1,0]
	;; [unrolled: 2-line block ×4, first 2 shown]
	v_fma_mixlo_f16 v0, v0, v29, 0 op_sel:[0,1,0] op_sel_hi:[0,1,0]
	v_add_f16_e32 v37, v25, v0
	v_fma_mix_f32 v0, v52, v4, 0 op_sel_hi:[1,1,0]
	v_fma_mix_f32 v0, v53, v4, v0 op_sel:[0,1,0] op_sel_hi:[1,1,0]
	v_fma_mix_f32 v0, v54, v5, v0 op_sel_hi:[1,1,0]
	v_fma_mix_f32 v0, v14, v5, v0 op_sel:[0,1,0] op_sel_hi:[1,1,0]
	;; [unrolled: 2-line block ×4, first 2 shown]
	v_fma_mixlo_f16 v0, v0, v30, 0 op_sel_hi:[0,1,0]
	s_waitcnt vmcnt(0)
	v_add_f16_e32 v34, v3, v0
	v_fma_mix_f32 v0, v58, v4, 0 op_sel_hi:[1,1,0]
	v_fma_mix_f32 v0, v59, v4, v0 op_sel:[0,1,0] op_sel_hi:[1,1,0]
	v_fma_mix_f32 v0, v60, v5, v0 op_sel_hi:[1,1,0]
	v_fma_mix_f32 v0, v15, v5, v0 op_sel:[0,1,0] op_sel_hi:[1,1,0]
	v_fma_mix_f32 v0, v61, v6, v0 op_sel_hi:[1,1,0]
	v_fma_mix_f32 v0, v62, v6, v0 op_sel:[0,1,0] op_sel_hi:[1,1,0]
	v_fma_mix_f32 v0, v63, v7, v0 op_sel_hi:[1,1,0]
	v_fma_mix_f32 v0, v36, v7, v0 op_sel:[0,1,0] op_sel_hi:[1,1,0]
	v_mov_b32_e32 v7, v1
	ds_read_b128 v[3:6], v1 offset:288
	buffer_load_dword v1, off, s[28:31], 0 offset:32 ; 4-byte Folded Reload
	v_fma_mixlo_f16 v0, v0, v30, 0 op_sel:[0,1,0] op_sel_hi:[0,1,0]
	v_add_f16_e32 v35, v35, v0
	s_waitcnt lgkmcnt(0)
	v_fma_mix_f32 v0, v27, v3, 0 op_sel_hi:[1,1,0]
	v_fma_mix_f32 v0, v28, v3, v0 op_sel:[0,1,0] op_sel_hi:[1,1,0]
	v_fma_mix_f32 v0, v42, v4, v0 op_sel_hi:[1,1,0]
	v_fma_mix_f32 v0, v12, v4, v0 op_sel:[0,1,0] op_sel_hi:[1,1,0]
	;; [unrolled: 2-line block ×4, first 2 shown]
	v_fma_mixlo_f16 v0, v0, v29, 0 op_sel_hi:[0,1,0]
	s_waitcnt vmcnt(0)
	v_add_f16_e32 v24, v1, v0
	buffer_load_dword v1, off, s[28:31], 0 offset:36 ; 4-byte Folded Reload
	v_fma_mix_f32 v0, v46, v3, 0 op_sel_hi:[1,1,0]
	v_fma_mix_f32 v0, v47, v3, v0 op_sel:[0,1,0] op_sel_hi:[1,1,0]
	v_fma_mix_f32 v0, v48, v4, v0 op_sel_hi:[1,1,0]
	v_fma_mix_f32 v0, v13, v4, v0 op_sel:[0,1,0] op_sel_hi:[1,1,0]
	;; [unrolled: 2-line block ×4, first 2 shown]
	v_fma_mixlo_f16 v0, v0, v29, 0 op_sel:[0,1,0] op_sel_hi:[0,1,0]
	s_waitcnt vmcnt(0)
	v_add_f16_e32 v25, v1, v0
	buffer_load_dword v1, off, s[28:31], 0 offset:40 ; 4-byte Folded Reload
	v_fma_mix_f32 v0, v52, v3, 0 op_sel_hi:[1,1,0]
	v_fma_mix_f32 v0, v53, v3, v0 op_sel:[0,1,0] op_sel_hi:[1,1,0]
	v_fma_mix_f32 v0, v54, v4, v0 op_sel_hi:[1,1,0]
	v_fma_mix_f32 v0, v14, v4, v0 op_sel:[0,1,0] op_sel_hi:[1,1,0]
	;; [unrolled: 2-line block ×4, first 2 shown]
	v_fma_mixlo_f16 v0, v0, v30, 0 op_sel_hi:[0,1,0]
	s_waitcnt vmcnt(0)
	v_add_f16_e32 v16, v1, v0
	v_fma_mix_f32 v0, v58, v3, 0 op_sel_hi:[1,1,0]
	v_fma_mix_f32 v0, v59, v3, v0 op_sel:[0,1,0] op_sel_hi:[1,1,0]
	v_fma_mix_f32 v0, v60, v4, v0 op_sel_hi:[1,1,0]
	v_fma_mix_f32 v0, v15, v4, v0 op_sel:[0,1,0] op_sel_hi:[1,1,0]
	;; [unrolled: 2-line block ×4, first 2 shown]
	v_fma_mixlo_f16 v0, v0, v30, 0 op_sel:[0,1,0] op_sel_hi:[0,1,0]
	v_add_f16_e32 v0, v2, v0
	ds_read_b128 v[1:4], v7 offset:544
	v_mov_b32_e32 v6, v7
	s_waitcnt lgkmcnt(0)
	v_fma_mix_f32 v5, v27, v1, 0 op_sel_hi:[1,1,0]
	v_fma_mix_f32 v5, v28, v1, v5 op_sel:[0,1,0] op_sel_hi:[1,1,0]
	v_fma_mix_f32 v5, v42, v2, v5 op_sel_hi:[1,1,0]
	v_fma_mix_f32 v5, v12, v2, v5 op_sel:[0,1,0] op_sel_hi:[1,1,0]
	;; [unrolled: 2-line block ×4, first 2 shown]
	v_fma_mixlo_f16 v5, v5, v29, 0 op_sel_hi:[0,1,0]
	v_add_f16_e32 v7, v21, v5
	v_fma_mix_f32 v5, v46, v1, 0 op_sel_hi:[1,1,0]
	v_fma_mix_f32 v5, v47, v1, v5 op_sel:[0,1,0] op_sel_hi:[1,1,0]
	v_fma_mix_f32 v5, v48, v2, v5 op_sel_hi:[1,1,0]
	v_fma_mix_f32 v5, v13, v2, v5 op_sel:[0,1,0] op_sel_hi:[1,1,0]
	v_fma_mix_f32 v5, v49, v3, v5 op_sel_hi:[1,1,0]
	v_fma_mix_f32 v5, v50, v3, v5 op_sel:[0,1,0] op_sel_hi:[1,1,0]
	v_fma_mix_f32 v5, v51, v4, v5 op_sel_hi:[1,1,0]
	v_fma_mix_f32 v5, v9, v4, v5 op_sel:[0,1,0] op_sel_hi:[1,1,0]
	v_fma_mixlo_f16 v5, v5, v29, 0 op_sel:[0,1,0] op_sel_hi:[0,1,0]
	v_add_f16_e32 v5, v40, v5
	buffer_store_dword v5, off, s[28:31], 0 offset:8 ; 4-byte Folded Spill
	v_fma_mix_f32 v5, v52, v1, 0 op_sel_hi:[1,1,0]
	v_fma_mix_f32 v8, v58, v1, 0 op_sel_hi:[1,1,0]
	v_fma_mix_f32 v5, v53, v1, v5 op_sel:[0,1,0] op_sel_hi:[1,1,0]
	v_fma_mix_f32 v1, v59, v1, v8 op_sel:[0,1,0] op_sel_hi:[1,1,0]
	v_fma_mix_f32 v1, v60, v2, v1 op_sel_hi:[1,1,0]
	v_fma_mix_f32 v1, v15, v2, v1 op_sel:[0,1,0] op_sel_hi:[1,1,0]
	v_fma_mix_f32 v5, v54, v2, v5 op_sel_hi:[1,1,0]
	v_fma_mix_f32 v1, v61, v3, v1 op_sel_hi:[1,1,0]
	v_fma_mix_f32 v5, v14, v2, v5 op_sel:[0,1,0] op_sel_hi:[1,1,0]
	v_fma_mix_f32 v1, v62, v3, v1 op_sel:[0,1,0] op_sel_hi:[1,1,0]
	v_fma_mix_f32 v5, v55, v3, v5 op_sel_hi:[1,1,0]
	v_fma_mix_f32 v1, v63, v4, v1 op_sel_hi:[1,1,0]
	v_fma_mix_f32 v5, v56, v3, v5 op_sel:[0,1,0] op_sel_hi:[1,1,0]
	v_fma_mix_f32 v1, v36, v4, v1 op_sel:[0,1,0] op_sel_hi:[1,1,0]
	v_fma_mix_f32 v5, v57, v4, v5 op_sel_hi:[1,1,0]
	v_fma_mixlo_f16 v1, v1, v30, 0 op_sel:[0,1,0] op_sel_hi:[0,1,0]
	v_fma_mix_f32 v5, v10, v4, v5 op_sel:[0,1,0] op_sel_hi:[1,1,0]
	v_add_f16_e32 v4, v26, v1
	v_add_co_u32_e32 v1, vcc, s2, v22
	v_addc_co_u32_e32 v2, vcc, v23, v38, vcc
	global_load_dwordx4 v[49:52], v[1:2], off
	v_add_co_u32_e32 v1, vcc, s2, v1
	v_addc_co_u32_e32 v2, vcc, v2, v38, vcc
	global_load_dwordx4 v[53:56], v[1:2], off
	v_fma_mixlo_f16 v5, v5, v30, 0 op_sel_hi:[0,1,0]
	v_add_f16_e32 v5, v41, v5
	s_waitcnt vmcnt(1)
	v_sub_u32_sdwa v1, v49, v33 dst_sel:DWORD dst_unused:UNUSED_PAD src0_sel:BYTE_0 src1_sel:DWORD
	v_cvt_f32_i32_e32 v1, v1
	v_cvt_f16_f32_e32 v8, v1
	v_sub_u32_sdwa v1, v49, v33 dst_sel:DWORD dst_unused:UNUSED_PAD src0_sel:BYTE_1 src1_sel:DWORD
	v_cvt_f32_i32_e32 v1, v1
	v_cvt_f16_f32_e32 v9, v1
	v_sub_u32_sdwa v1, v49, v33 dst_sel:DWORD dst_unused:UNUSED_PAD src0_sel:BYTE_2 src1_sel:DWORD
	v_cvt_f32_i32_e32 v1, v1
	v_cvt_f16_f32_e32 v10, v1
	v_sub_u32_sdwa v1, v49, v33 dst_sel:DWORD dst_unused:UNUSED_PAD src0_sel:BYTE_3 src1_sel:DWORD
	v_cvt_f32_i32_e32 v1, v1
	v_cvt_f16_f32_e32 v26, v1
	s_waitcnt vmcnt(0)
	v_sub_u32_sdwa v1, v53, v33 dst_sel:DWORD dst_unused:UNUSED_PAD src0_sel:BYTE_0 src1_sel:DWORD
	v_cvt_f32_i32_e32 v1, v1
	v_cvt_f16_f32_e32 v12, v1
	v_sub_u32_sdwa v1, v53, v33 dst_sel:DWORD dst_unused:UNUSED_PAD src0_sel:BYTE_1 src1_sel:DWORD
	v_cvt_f32_i32_e32 v1, v1
	v_cvt_f16_f32_e32 v13, v1
	v_sub_u32_sdwa v1, v53, v33 dst_sel:DWORD dst_unused:UNUSED_PAD src0_sel:BYTE_2 src1_sel:DWORD
	v_cvt_f32_i32_e32 v1, v1
	v_cvt_f16_f32_e32 v27, v1
	v_sub_u32_sdwa v1, v53, v33 dst_sel:DWORD dst_unused:UNUSED_PAD src0_sel:BYTE_3 src1_sel:DWORD
	v_cvt_f32_i32_e32 v1, v1
	v_cvt_f16_f32_e32 v14, v1
	v_sub_u32_sdwa v1, v50, v32 dst_sel:DWORD dst_unused:UNUSED_PAD src0_sel:BYTE_0 src1_sel:DWORD
	v_cvt_f32_i32_e32 v1, v1
	v_cvt_f16_f32_e32 v33, v1
	v_sub_u32_sdwa v1, v50, v32 dst_sel:DWORD dst_unused:UNUSED_PAD src0_sel:BYTE_1 src1_sel:DWORD
	v_cvt_f32_i32_e32 v1, v1
	v_fma_mix_f32 v2, v33, v17, 0 op_sel_hi:[1,1,0]
	v_cvt_f16_f32_e32 v15, v1
	v_sub_u32_sdwa v1, v50, v32 dst_sel:DWORD dst_unused:UNUSED_PAD src0_sel:BYTE_2 src1_sel:DWORD
	v_cvt_f32_i32_e32 v1, v1
	v_fma_mix_f32 v2, v15, v17, v2 op_sel:[0,1,0] op_sel_hi:[1,1,0]
	v_cvt_f16_f32_e32 v28, v1
	v_sub_u32_sdwa v1, v50, v32 dst_sel:DWORD dst_unused:UNUSED_PAD src0_sel:BYTE_3 src1_sel:DWORD
	v_cvt_f32_i32_e32 v1, v1
	v_fma_mix_f32 v2, v28, v18, v2 op_sel_hi:[1,1,0]
	v_cvt_f16_f32_e32 v21, v1
	v_sub_u32_sdwa v1, v54, v32 dst_sel:DWORD dst_unused:UNUSED_PAD src0_sel:BYTE_0 src1_sel:DWORD
	v_cvt_f32_i32_e32 v1, v1
	v_fma_mix_f32 v2, v21, v18, v2 op_sel:[0,1,0] op_sel_hi:[1,1,0]
	v_cvt_f16_f32_e32 v22, v1
	v_sub_u32_sdwa v1, v54, v32 dst_sel:DWORD dst_unused:UNUSED_PAD src0_sel:BYTE_1 src1_sel:DWORD
	v_cvt_f32_i32_e32 v1, v1
	v_fma_mix_f32 v2, v22, v19, v2 op_sel_hi:[1,1,0]
	v_cvt_f16_f32_e32 v40, v1
	v_sub_u32_sdwa v1, v54, v32 dst_sel:DWORD dst_unused:UNUSED_PAD src0_sel:BYTE_2 src1_sel:DWORD
	v_cvt_f32_i32_e32 v1, v1
	v_fma_mix_f32 v2, v40, v19, v2 op_sel:[0,1,0] op_sel_hi:[1,1,0]
	v_cvt_f16_f32_e32 v41, v1
	v_sub_u32_sdwa v1, v54, v32 dst_sel:DWORD dst_unused:UNUSED_PAD src0_sel:BYTE_3 src1_sel:DWORD
	v_cvt_f32_i32_e32 v1, v1
	v_fma_mix_f32 v2, v41, v20, v2 op_sel_hi:[1,1,0]
	v_cvt_f16_f32_e32 v43, v1
	v_sub_u32_sdwa v1, v51, v31 dst_sel:DWORD dst_unused:UNUSED_PAD src0_sel:BYTE_0 src1_sel:DWORD
	v_cvt_f32_i32_e32 v1, v1
	v_fma_mix_f32 v2, v43, v20, v2 op_sel:[0,1,0] op_sel_hi:[1,1,0]
	v_fma_mixlo_f16 v2, v2, v29, 0 op_sel:[0,1,0] op_sel_hi:[0,1,0]
	v_cvt_f16_f32_e32 v32, v1
	v_sub_u32_sdwa v1, v51, v31 dst_sel:DWORD dst_unused:UNUSED_PAD src0_sel:BYTE_1 src1_sel:DWORD
	v_cvt_f32_i32_e32 v1, v1
	v_add_f16_e32 v2, v37, v2
	v_cvt_f16_f32_e32 v42, v1
	v_sub_u32_sdwa v1, v51, v31 dst_sel:DWORD dst_unused:UNUSED_PAD src0_sel:BYTE_2 src1_sel:DWORD
	v_cvt_f32_i32_e32 v1, v1
	v_cvt_f16_f32_e32 v44, v1
	v_sub_u32_sdwa v1, v51, v31 dst_sel:DWORD dst_unused:UNUSED_PAD src0_sel:BYTE_3 src1_sel:DWORD
	v_cvt_f32_i32_e32 v1, v1
	v_cvt_f16_f32_e32 v45, v1
	v_sub_u32_sdwa v1, v55, v31 dst_sel:DWORD dst_unused:UNUSED_PAD src0_sel:BYTE_0 src1_sel:DWORD
	v_cvt_f32_i32_e32 v1, v1
	v_cvt_f16_f32_e32 v46, v1
	v_sub_u32_sdwa v1, v55, v31 dst_sel:DWORD dst_unused:UNUSED_PAD src0_sel:BYTE_1 src1_sel:DWORD
	v_cvt_f32_i32_e32 v1, v1
	v_cvt_f16_f32_e32 v47, v1
	v_sub_u32_sdwa v1, v55, v31 dst_sel:DWORD dst_unused:UNUSED_PAD src0_sel:BYTE_2 src1_sel:DWORD
	v_cvt_f32_i32_e32 v1, v1
	v_cvt_f16_f32_e32 v48, v1
	v_sub_u32_sdwa v1, v55, v31 dst_sel:DWORD dst_unused:UNUSED_PAD src0_sel:BYTE_3 src1_sel:DWORD
	v_cvt_f32_i32_e32 v1, v1
	v_cvt_f16_f32_e32 v49, v1
	v_sub_u32_sdwa v1, v52, v39 dst_sel:DWORD dst_unused:UNUSED_PAD src0_sel:BYTE_0 src1_sel:DWORD
	v_cvt_f32_i32_e32 v1, v1
	v_cvt_f16_f32_e32 v23, v1
	v_sub_u32_sdwa v1, v52, v39 dst_sel:DWORD dst_unused:UNUSED_PAD src0_sel:BYTE_1 src1_sel:DWORD
	v_cvt_f32_i32_e32 v1, v1
	;; [unrolled: 12-line block ×3, first 2 shown]
	v_cvt_f16_f32_e32 v54, v1
	v_sub_u32_sdwa v1, v56, v39 dst_sel:DWORD dst_unused:UNUSED_PAD src0_sel:BYTE_2 src1_sel:DWORD
	v_cvt_f32_i32_e32 v1, v1
	v_cvt_f16_f32_e32 v55, v1
	v_sub_u32_sdwa v1, v56, v39 dst_sel:DWORD dst_unused:UNUSED_PAD src0_sel:BYTE_3 src1_sel:DWORD
	v_cvt_f32_i32_e32 v1, v1
	v_cvt_f16_f32_e32 v56, v1
	v_fma_mix_f32 v1, v8, v17, 0 op_sel_hi:[1,1,0]
	v_fma_mix_f32 v1, v9, v17, v1 op_sel:[0,1,0] op_sel_hi:[1,1,0]
	v_fma_mix_f32 v1, v10, v18, v1 op_sel_hi:[1,1,0]
	v_fma_mix_f32 v1, v26, v18, v1 op_sel:[0,1,0] op_sel_hi:[1,1,0]
	;; [unrolled: 2-line block ×4, first 2 shown]
	v_fma_mixlo_f16 v1, v1, v29, 0 op_sel_hi:[0,1,0]
	v_add_f16_e32 v1, v11, v1
	v_pack_b32_f16 v36, v1, v2
	v_fma_mix_f32 v1, v32, v17, 0 op_sel_hi:[1,1,0]
	v_fma_mix_f32 v2, v23, v17, 0 op_sel_hi:[1,1,0]
	v_fma_mix_f32 v1, v42, v17, v1 op_sel:[0,1,0] op_sel_hi:[1,1,0]
	v_fma_mix_f32 v2, v50, v17, v2 op_sel:[0,1,0] op_sel_hi:[1,1,0]
	v_fma_mix_f32 v1, v44, v18, v1 op_sel_hi:[1,1,0]
	v_fma_mix_f32 v2, v51, v18, v2 op_sel_hi:[1,1,0]
	v_fma_mix_f32 v1, v45, v18, v1 op_sel:[0,1,0] op_sel_hi:[1,1,0]
	v_fma_mix_f32 v2, v52, v18, v2 op_sel:[0,1,0] op_sel_hi:[1,1,0]
	;; [unrolled: 4-line block ×4, first 2 shown]
	ds_read_b128 v[17:20], v6 offset:304
	v_fma_mixlo_f16 v1, v1, v30, 0 op_sel_hi:[0,1,0]
	v_fma_mixlo_f16 v2, v2, v30, 0 op_sel:[0,1,0] op_sel_hi:[0,1,0]
	v_add_f16_e32 v1, v34, v1
	v_add_f16_e32 v2, v35, v2
	v_pack_b32_f16 v11, v1, v2
	s_waitcnt lgkmcnt(0)
	v_fma_mix_f32 v1, v8, v17, 0 op_sel_hi:[1,1,0]
	v_fma_mix_f32 v2, v33, v17, 0 op_sel_hi:[1,1,0]
	v_fma_mix_f32 v1, v9, v17, v1 op_sel:[0,1,0] op_sel_hi:[1,1,0]
	v_fma_mix_f32 v2, v15, v17, v2 op_sel:[0,1,0] op_sel_hi:[1,1,0]
	v_fma_mix_f32 v1, v10, v18, v1 op_sel_hi:[1,1,0]
	v_fma_mix_f32 v2, v28, v18, v2 op_sel_hi:[1,1,0]
	v_fma_mix_f32 v1, v26, v18, v1 op_sel:[0,1,0] op_sel_hi:[1,1,0]
	v_fma_mix_f32 v2, v21, v18, v2 op_sel:[0,1,0] op_sel_hi:[1,1,0]
	;; [unrolled: 4-line block ×4, first 2 shown]
	v_fma_mixlo_f16 v1, v1, v29, 0 op_sel_hi:[0,1,0]
	v_fma_mixlo_f16 v2, v2, v29, 0 op_sel:[0,1,0] op_sel_hi:[0,1,0]
	v_add_f16_e32 v1, v24, v1
	v_add_f16_e32 v2, v25, v2
	v_pack_b32_f16 v24, v1, v2
	v_fma_mix_f32 v1, v32, v17, 0 op_sel_hi:[1,1,0]
	v_fma_mix_f32 v2, v23, v17, 0 op_sel_hi:[1,1,0]
	v_fma_mix_f32 v1, v42, v17, v1 op_sel:[0,1,0] op_sel_hi:[1,1,0]
	v_fma_mix_f32 v2, v50, v17, v2 op_sel:[0,1,0] op_sel_hi:[1,1,0]
	v_fma_mix_f32 v1, v44, v18, v1 op_sel_hi:[1,1,0]
	v_fma_mix_f32 v2, v51, v18, v2 op_sel_hi:[1,1,0]
	v_fma_mix_f32 v1, v45, v18, v1 op_sel:[0,1,0] op_sel_hi:[1,1,0]
	v_fma_mix_f32 v2, v52, v18, v2 op_sel:[0,1,0] op_sel_hi:[1,1,0]
	v_fma_mix_f32 v1, v46, v19, v1 op_sel_hi:[1,1,0]
	v_fma_mix_f32 v2, v53, v19, v2 op_sel_hi:[1,1,0]
	v_fma_mix_f32 v1, v47, v19, v1 op_sel:[0,1,0] op_sel_hi:[1,1,0]
	v_fma_mix_f32 v2, v54, v19, v2 op_sel:[0,1,0] op_sel_hi:[1,1,0]
	v_fma_mix_f32 v1, v48, v20, v1 op_sel_hi:[1,1,0]
	v_fma_mix_f32 v2, v55, v20, v2 op_sel_hi:[1,1,0]
	v_fma_mix_f32 v1, v49, v20, v1 op_sel:[0,1,0] op_sel_hi:[1,1,0]
	v_fma_mix_f32 v2, v56, v20, v2 op_sel:[0,1,0] op_sel_hi:[1,1,0]
	v_fma_mixlo_f16 v1, v1, v30, 0 op_sel_hi:[0,1,0]
	v_fma_mixlo_f16 v2, v2, v30, 0 op_sel:[0,1,0] op_sel_hi:[0,1,0]
	v_add_f16_e32 v1, v16, v1
	v_add_f16_e32 v0, v0, v2
	v_pack_b32_f16 v16, v1, v0
	ds_read_b128 v[0:3], v6 offset:560
	buffer_load_dword v6, off, s[28:31], 0 offset:8 ; 4-byte Folded Reload
	s_waitcnt lgkmcnt(0)
	v_fma_mix_f32 v8, v8, v0, 0 op_sel_hi:[1,1,0]
	v_fma_mix_f32 v8, v9, v0, v8 op_sel:[0,1,0] op_sel_hi:[1,1,0]
	v_fma_mix_f32 v8, v10, v1, v8 op_sel_hi:[1,1,0]
	v_fma_mix_f32 v8, v26, v1, v8 op_sel:[0,1,0] op_sel_hi:[1,1,0]
	;; [unrolled: 2-line block ×4, first 2 shown]
	v_fma_mixlo_f16 v8, v8, v29, 0 op_sel_hi:[0,1,0]
	v_add_f16_e32 v7, v7, v8
	v_fma_mix_f32 v8, v33, v0, 0 op_sel_hi:[1,1,0]
	v_fma_mix_f32 v8, v15, v0, v8 op_sel:[0,1,0] op_sel_hi:[1,1,0]
	v_fma_mix_f32 v8, v28, v1, v8 op_sel_hi:[1,1,0]
	v_fma_mix_f32 v8, v21, v1, v8 op_sel:[0,1,0] op_sel_hi:[1,1,0]
	;; [unrolled: 2-line block ×4, first 2 shown]
	v_fma_mixlo_f16 v8, v8, v29, 0 op_sel:[0,1,0] op_sel_hi:[0,1,0]
	s_waitcnt vmcnt(0)
	v_add_f16_e32 v6, v6, v8
	v_pack_b32_f16 v8, v7, v6
	v_fma_mix_f32 v6, v32, v0, 0 op_sel_hi:[1,1,0]
	v_fma_mix_f32 v6, v42, v0, v6 op_sel:[0,1,0] op_sel_hi:[1,1,0]
	v_fma_mix_f32 v6, v44, v1, v6 op_sel_hi:[1,1,0]
	v_fma_mix_f32 v6, v45, v1, v6 op_sel:[0,1,0] op_sel_hi:[1,1,0]
	;; [unrolled: 2-line block ×4, first 2 shown]
	v_fma_mixlo_f16 v6, v6, v30, 0 op_sel_hi:[0,1,0]
	v_add_f16_e32 v5, v5, v6
	v_fma_mix_f32 v6, v23, v0, 0 op_sel_hi:[1,1,0]
	v_fma_mix_f32 v0, v50, v0, v6 op_sel:[0,1,0] op_sel_hi:[1,1,0]
	v_fma_mix_f32 v0, v51, v1, v0 op_sel_hi:[1,1,0]
	v_fma_mix_f32 v0, v52, v1, v0 op_sel:[0,1,0] op_sel_hi:[1,1,0]
	;; [unrolled: 2-line block ×4, first 2 shown]
	v_fma_mixlo_f16 v0, v0, v30, 0 op_sel:[0,1,0] op_sel_hi:[0,1,0]
	v_add_f16_e32 v0, v4, v0
	v_pack_b32_f16 v34, v5, v0
	buffer_load_dword v4, off, s[28:31], 0  ; 4-byte Folded Reload
	buffer_load_dword v5, off, s[28:31], 0 offset:4 ; 4-byte Folded Reload
	v_mov_b32_e32 v0, s1
	s_waitcnt vmcnt(1)
	v_add_co_u32_e32 v4, vcc, s0, v4
	s_waitcnt vmcnt(0)
	v_addc_co_u32_e32 v5, vcc, v5, v0, vcc
	s_cbranch_scc1 .LBB26_15
; %bb.14:                               ;   in Loop: Header=BB26_11 Depth=1
	buffer_load_dword v1, off, s[28:31], 0 offset:56 ; 4-byte Folded Reload
	buffer_load_dword v3, off, s[28:31], 0 offset:60 ; 4-byte Folded Reload
	;; [unrolled: 1-line block ×4, first 2 shown]
	s_branch .LBB26_11
.LBB26_15:
	buffer_load_dword v0, off, s[28:31], 0 offset:76 ; 4-byte Folded Reload
	buffer_load_dword v1, off, s[28:31], 0 offset:80 ; 4-byte Folded Reload
	s_mul_i32 s7, s7, s16
	v_mov_b32_e32 v3, s15
	s_mov_b64 s[0:1], 0
	s_waitcnt vmcnt(1)
	v_add_u32_e32 v0, s7, v0
	s_waitcnt vmcnt(0)
	v_ashrrev_i32_e32 v1, 31, v0
	v_lshlrev_b64 v[1:2], 1, v[0:1]
	v_add_co_u32_e32 v1, vcc, s14, v1
	v_addc_co_u32_e32 v2, vcc, v3, v2, vcc
	global_load_dword v4, v[1:2], off
.LBB26_16:                              ; =>This Inner Loop Header: Depth=1
	s_waitcnt vmcnt(0)
	v_pk_add_f16 v3, v36, v4
	global_atomic_cmpswap v3, v[1:2], v[3:4], off glc
	s_waitcnt vmcnt(0)
	v_cmp_eq_u32_e32 vcc, v4, v3
	s_or_b64 s[0:1], vcc, s[0:1]
	v_mov_b32_e32 v4, v3
	s_andn2_b64 exec, exec, s[0:1]
	s_cbranch_execnz .LBB26_16
; %bb.17:
	s_or_b64 exec, exec, s[0:1]
	global_load_dword v4, v[1:2], off offset:4
	s_mov_b64 s[0:1], 0
.LBB26_18:                              ; =>This Inner Loop Header: Depth=1
	s_waitcnt vmcnt(0)
	v_pk_add_f16 v3, v11, v4
	global_atomic_cmpswap v3, v[1:2], v[3:4], off offset:4 glc
	s_waitcnt vmcnt(0)
	v_cmp_eq_u32_e32 vcc, v4, v3
	s_or_b64 s[0:1], vcc, s[0:1]
	v_mov_b32_e32 v4, v3
	s_andn2_b64 exec, exec, s[0:1]
	s_cbranch_execnz .LBB26_18
; %bb.19:
	s_or_b64 exec, exec, s[0:1]
	v_add_u32_e32 v0, s16, v0
	v_ashrrev_i32_e32 v1, 31, v0
	v_lshlrev_b64 v[1:2], 1, v[0:1]
	v_mov_b32_e32 v3, s15
	v_add_co_u32_e32 v1, vcc, s14, v1
	v_addc_co_u32_e32 v2, vcc, v3, v2, vcc
	global_load_dword v4, v[1:2], off
	s_mov_b64 s[0:1], 0
.LBB26_20:                              ; =>This Inner Loop Header: Depth=1
	s_waitcnt vmcnt(0)
	v_pk_add_f16 v3, v24, v4
	global_atomic_cmpswap v3, v[1:2], v[3:4], off glc
	s_waitcnt vmcnt(0)
	v_cmp_eq_u32_e32 vcc, v4, v3
	s_or_b64 s[0:1], vcc, s[0:1]
	v_mov_b32_e32 v4, v3
	s_andn2_b64 exec, exec, s[0:1]
	s_cbranch_execnz .LBB26_20
; %bb.21:
	s_or_b64 exec, exec, s[0:1]
	global_load_dword v4, v[1:2], off offset:4
	s_mov_b64 s[0:1], 0
.LBB26_22:                              ; =>This Inner Loop Header: Depth=1
	s_waitcnt vmcnt(0)
	v_pk_add_f16 v3, v16, v4
	global_atomic_cmpswap v3, v[1:2], v[3:4], off offset:4 glc
	s_waitcnt vmcnt(0)
	v_cmp_eq_u32_e32 vcc, v4, v3
	s_or_b64 s[0:1], vcc, s[0:1]
	v_mov_b32_e32 v4, v3
	s_andn2_b64 exec, exec, s[0:1]
	s_cbranch_execnz .LBB26_22
; %bb.23:
	s_or_b64 exec, exec, s[0:1]
	v_add_u32_e32 v0, s16, v0
	v_ashrrev_i32_e32 v1, 31, v0
	v_lshlrev_b64 v[0:1], 1, v[0:1]
	v_mov_b32_e32 v2, s15
	v_add_co_u32_e32 v0, vcc, s14, v0
	v_addc_co_u32_e32 v1, vcc, v2, v1, vcc
	global_load_dword v3, v[0:1], off
	s_mov_b64 s[0:1], 0
.LBB26_24:                              ; =>This Inner Loop Header: Depth=1
	s_waitcnt vmcnt(0)
	v_pk_add_f16 v2, v8, v3
	global_atomic_cmpswap v2, v[0:1], v[2:3], off glc
	s_waitcnt vmcnt(0)
	v_cmp_eq_u32_e32 vcc, v3, v2
	s_or_b64 s[0:1], vcc, s[0:1]
	v_mov_b32_e32 v3, v2
	s_andn2_b64 exec, exec, s[0:1]
	s_cbranch_execnz .LBB26_24
; %bb.25:
	s_or_b64 exec, exec, s[0:1]
	global_load_dword v3, v[0:1], off offset:4
	s_mov_b64 s[0:1], 0
.LBB26_26:                              ; =>This Inner Loop Header: Depth=1
	s_waitcnt vmcnt(0)
	v_pk_add_f16 v2, v34, v3
	global_atomic_cmpswap v2, v[0:1], v[2:3], off offset:4 glc
	s_waitcnt vmcnt(0)
	v_cmp_eq_u32_e32 vcc, v3, v2
	s_or_b64 s[0:1], vcc, s[0:1]
	v_mov_b32_e32 v3, v2
	s_andn2_b64 exec, exec, s[0:1]
	s_cbranch_execnz .LBB26_26
.LBB26_27:
	s_endpgm
	.section	.rodata,"a",@progbits
	.p2align	6, 0x0
	.amdhsa_kernel _ZN4vllm4gptq33gemm_half_q_half_gptq_8bit_kernelILb1ELi3EEEvPK6__halfPKjS6_S4_PS2_iiiibPKi
		.amdhsa_group_segment_fixed_size 768
		.amdhsa_private_segment_fixed_size 92
		.amdhsa_kernarg_size 72
		.amdhsa_user_sgpr_count 6
		.amdhsa_user_sgpr_private_segment_buffer 1
		.amdhsa_user_sgpr_dispatch_ptr 0
		.amdhsa_user_sgpr_queue_ptr 0
		.amdhsa_user_sgpr_kernarg_segment_ptr 1
		.amdhsa_user_sgpr_dispatch_id 0
		.amdhsa_user_sgpr_flat_scratch_init 0
		.amdhsa_user_sgpr_private_segment_size 0
		.amdhsa_uses_dynamic_stack 0
		.amdhsa_system_sgpr_private_segment_wavefront_offset 1
		.amdhsa_system_sgpr_workgroup_id_x 1
		.amdhsa_system_sgpr_workgroup_id_y 1
		.amdhsa_system_sgpr_workgroup_id_z 1
		.amdhsa_system_sgpr_workgroup_info 0
		.amdhsa_system_vgpr_workitem_id 0
		.amdhsa_next_free_vgpr 64
		.amdhsa_next_free_sgpr 32
		.amdhsa_reserve_vcc 1
		.amdhsa_reserve_flat_scratch 0
		.amdhsa_float_round_mode_32 0
		.amdhsa_float_round_mode_16_64 0
		.amdhsa_float_denorm_mode_32 3
		.amdhsa_float_denorm_mode_16_64 3
		.amdhsa_dx10_clamp 1
		.amdhsa_ieee_mode 1
		.amdhsa_fp16_overflow 0
		.amdhsa_exception_fp_ieee_invalid_op 0
		.amdhsa_exception_fp_denorm_src 0
		.amdhsa_exception_fp_ieee_div_zero 0
		.amdhsa_exception_fp_ieee_overflow 0
		.amdhsa_exception_fp_ieee_underflow 0
		.amdhsa_exception_fp_ieee_inexact 0
		.amdhsa_exception_int_div_zero 0
	.end_amdhsa_kernel
	.section	.text._ZN4vllm4gptq33gemm_half_q_half_gptq_8bit_kernelILb1ELi3EEEvPK6__halfPKjS6_S4_PS2_iiiibPKi,"axG",@progbits,_ZN4vllm4gptq33gemm_half_q_half_gptq_8bit_kernelILb1ELi3EEEvPK6__halfPKjS6_S4_PS2_iiiibPKi,comdat
.Lfunc_end26:
	.size	_ZN4vllm4gptq33gemm_half_q_half_gptq_8bit_kernelILb1ELi3EEEvPK6__halfPKjS6_S4_PS2_iiiibPKi, .Lfunc_end26-_ZN4vllm4gptq33gemm_half_q_half_gptq_8bit_kernelILb1ELi3EEEvPK6__halfPKjS6_S4_PS2_iiiibPKi
                                        ; -- End function
	.set _ZN4vllm4gptq33gemm_half_q_half_gptq_8bit_kernelILb1ELi3EEEvPK6__halfPKjS6_S4_PS2_iiiibPKi.num_vgpr, 64
	.set _ZN4vllm4gptq33gemm_half_q_half_gptq_8bit_kernelILb1ELi3EEEvPK6__halfPKjS6_S4_PS2_iiiibPKi.num_agpr, 0
	.set _ZN4vllm4gptq33gemm_half_q_half_gptq_8bit_kernelILb1ELi3EEEvPK6__halfPKjS6_S4_PS2_iiiibPKi.numbered_sgpr, 32
	.set _ZN4vllm4gptq33gemm_half_q_half_gptq_8bit_kernelILb1ELi3EEEvPK6__halfPKjS6_S4_PS2_iiiibPKi.num_named_barrier, 0
	.set _ZN4vllm4gptq33gemm_half_q_half_gptq_8bit_kernelILb1ELi3EEEvPK6__halfPKjS6_S4_PS2_iiiibPKi.private_seg_size, 92
	.set _ZN4vllm4gptq33gemm_half_q_half_gptq_8bit_kernelILb1ELi3EEEvPK6__halfPKjS6_S4_PS2_iiiibPKi.uses_vcc, 1
	.set _ZN4vllm4gptq33gemm_half_q_half_gptq_8bit_kernelILb1ELi3EEEvPK6__halfPKjS6_S4_PS2_iiiibPKi.uses_flat_scratch, 0
	.set _ZN4vllm4gptq33gemm_half_q_half_gptq_8bit_kernelILb1ELi3EEEvPK6__halfPKjS6_S4_PS2_iiiibPKi.has_dyn_sized_stack, 0
	.set _ZN4vllm4gptq33gemm_half_q_half_gptq_8bit_kernelILb1ELi3EEEvPK6__halfPKjS6_S4_PS2_iiiibPKi.has_recursion, 0
	.set _ZN4vllm4gptq33gemm_half_q_half_gptq_8bit_kernelILb1ELi3EEEvPK6__halfPKjS6_S4_PS2_iiiibPKi.has_indirect_call, 0
	.section	.AMDGPU.csdata,"",@progbits
; Kernel info:
; codeLenInByte = 8400
; TotalNumSgprs: 36
; NumVgprs: 64
; ScratchSize: 92
; MemoryBound: 0
; FloatMode: 240
; IeeeMode: 1
; LDSByteSize: 768 bytes/workgroup (compile time only)
; SGPRBlocks: 4
; VGPRBlocks: 15
; NumSGPRsForWavesPerEU: 36
; NumVGPRsForWavesPerEU: 64
; Occupancy: 4
; WaveLimiterHint : 0
; COMPUTE_PGM_RSRC2:SCRATCH_EN: 1
; COMPUTE_PGM_RSRC2:USER_SGPR: 6
; COMPUTE_PGM_RSRC2:TRAP_HANDLER: 0
; COMPUTE_PGM_RSRC2:TGID_X_EN: 1
; COMPUTE_PGM_RSRC2:TGID_Y_EN: 1
; COMPUTE_PGM_RSRC2:TGID_Z_EN: 1
; COMPUTE_PGM_RSRC2:TIDIG_COMP_CNT: 0
	.section	.text._ZN4vllm4gptq33gemm_half_q_half_gptq_2bit_kernelILb1ELi4EEEvPK6__halfPKjS6_S4_PS2_iiiibPKi,"axG",@progbits,_ZN4vllm4gptq33gemm_half_q_half_gptq_2bit_kernelILb1ELi4EEEvPK6__halfPKjS6_S4_PS2_iiiibPKi,comdat
	.protected	_ZN4vllm4gptq33gemm_half_q_half_gptq_2bit_kernelILb1ELi4EEEvPK6__halfPKjS6_S4_PS2_iiiibPKi ; -- Begin function _ZN4vllm4gptq33gemm_half_q_half_gptq_2bit_kernelILb1ELi4EEEvPK6__halfPKjS6_S4_PS2_iiiibPKi
	.globl	_ZN4vllm4gptq33gemm_half_q_half_gptq_2bit_kernelILb1ELi4EEEvPK6__halfPKjS6_S4_PS2_iiiibPKi
	.p2align	8
	.type	_ZN4vllm4gptq33gemm_half_q_half_gptq_2bit_kernelILb1ELi4EEEvPK6__halfPKjS6_S4_PS2_iiiibPKi,@function
_ZN4vllm4gptq33gemm_half_q_half_gptq_2bit_kernelILb1ELi4EEEvPK6__halfPKjS6_S4_PS2_iiiibPKi: ; @_ZN4vllm4gptq33gemm_half_q_half_gptq_2bit_kernelILb1ELi4EEEvPK6__halfPKjS6_S4_PS2_iiiibPKi
; %bb.0:
	s_mov_b64 s[30:31], s[2:3]
	s_load_dwordx4 s[16:19], s[4:5], 0x2c
	s_mov_b64 s[28:29], s[0:1]
	s_add_u32 s28, s28, s9
	s_addc_u32 s29, s29, 0
	s_lshl_b32 s24, s8, 7
	s_add_i32 s0, s24, 0x80
	v_cvt_f64_u32_e32 v[1:2], s0
	s_waitcnt lgkmcnt(0)
	v_cvt_f64_i32_e32 v[3:4], s17
	s_load_dwordx8 s[8:15], s[4:5], 0x8
	s_lshl_b32 s7, s7, 2
	v_min_f64 v[1:2], v[1:2], v[3:4]
	v_cvt_i32_f64_e32 v2, v[1:2]
	v_add_u32_e32 v1, s24, v0
	v_readfirstlane_b32 s25, v2
	v_cmp_lt_u32_e32 vcc, v1, v2
	s_and_saveexec_b64 s[2:3], vcc
	s_cbranch_execz .LBB27_10
; %bb.1:
	s_load_dwordx2 s[0:1], s[4:5], 0x40
	s_load_dwordx2 s[20:21], s[4:5], 0x0
	v_mov_b32_e32 v2, 0
	v_lshlrev_b64 v[3:4], 2, v[1:2]
	s_waitcnt lgkmcnt(0)
	v_mov_b32_e32 v5, s1
	v_add_co_u32_e32 v3, vcc, s0, v3
	s_cmp_lg_u64 s[0:1], 0
	v_addc_co_u32_e32 v4, vcc, v5, v4, vcc
	v_mov_b32_e32 v6, v2
	s_cselect_b64 s[4:5], -1, 0
	s_cmp_eq_u64 s[0:1], 0
	v_mov_b32_e32 v5, v1
	s_cbranch_scc1 .LBB27_3
; %bb.2:
	global_load_dword v5, v[3:4], off
	s_waitcnt vmcnt(0)
	v_ashrrev_i32_e32 v6, 31, v5
.LBB27_3:
	s_mul_i32 s22, s7, s17
	s_ashr_i32 s23, s22, 31
	s_lshl_b64 s[0:1], s[22:23], 1
	s_add_u32 s0, s20, s0
	v_lshlrev_b64 v[5:6], 1, v[5:6]
	s_addc_u32 s1, s21, s1
	v_mov_b32_e32 v7, s1
	v_add_co_u32_e32 v5, vcc, s0, v5
	v_addc_co_u32_e32 v6, vcc, v7, v6, vcc
	global_load_ushort v5, v[5:6], off
	v_lshlrev_b32_e32 v7, 1, v0
	v_cndmask_b32_e64 v6, 0, 1, s[4:5]
	v_cmp_ne_u32_e64 s[0:1], 1, v6
	s_andn2_b64 vcc, exec, s[4:5]
	s_waitcnt vmcnt(0)
	ds_write_b16 v7, v5
	v_mov_b32_e32 v6, v2
	v_mov_b32_e32 v5, v1
	s_cbranch_vccnz .LBB27_5
; %bb.4:
	global_load_dword v5, v[3:4], off
	s_waitcnt vmcnt(0)
	v_ashrrev_i32_e32 v6, 31, v5
.LBB27_5:
	s_add_i32 s4, s22, s17
	s_ashr_i32 s5, s4, 31
	s_lshl_b64 s[22:23], s[4:5], 1
	s_add_u32 s5, s20, s22
	v_lshlrev_b64 v[5:6], 1, v[5:6]
	s_addc_u32 s22, s21, s23
	v_mov_b32_e32 v8, s22
	v_add_co_u32_e32 v5, vcc, s5, v5
	v_addc_co_u32_e32 v6, vcc, v8, v6, vcc
	global_load_ushort v5, v[5:6], off
	s_and_b64 vcc, exec, s[0:1]
	s_waitcnt vmcnt(0)
	ds_write_b16 v7, v5 offset:256
	v_mov_b32_e32 v6, v2
	v_mov_b32_e32 v5, v1
	s_cbranch_vccnz .LBB27_7
; %bb.6:
	global_load_dword v5, v[3:4], off
	s_waitcnt vmcnt(0)
	v_ashrrev_i32_e32 v6, 31, v5
.LBB27_7:
	s_add_i32 s4, s4, s17
	s_ashr_i32 s5, s4, 31
	s_lshl_b64 s[22:23], s[4:5], 1
	s_add_u32 s5, s20, s22
	v_lshlrev_b64 v[5:6], 1, v[5:6]
	s_addc_u32 s22, s21, s23
	v_mov_b32_e32 v8, s22
	v_add_co_u32_e32 v5, vcc, s5, v5
	v_addc_co_u32_e32 v6, vcc, v8, v6, vcc
	global_load_ushort v5, v[5:6], off
	s_and_b64 vcc, exec, s[0:1]
	s_waitcnt vmcnt(0)
	ds_write_b16 v7, v5 offset:512
	s_cbranch_vccnz .LBB27_9
; %bb.8:
	global_load_dword v1, v[3:4], off
	s_waitcnt vmcnt(0)
	v_ashrrev_i32_e32 v2, 31, v1
.LBB27_9:
	s_add_i32 s0, s4, s17
	s_ashr_i32 s1, s0, 31
	s_lshl_b64 s[0:1], s[0:1], 1
	s_add_u32 s0, s20, s0
	v_lshlrev_b64 v[1:2], 1, v[1:2]
	s_addc_u32 s1, s21, s1
	v_mov_b32_e32 v3, s1
	v_add_co_u32_e32 v1, vcc, s0, v1
	v_addc_co_u32_e32 v2, vcc, v3, v2, vcc
	global_load_ushort v1, v[1:2], off
	s_waitcnt vmcnt(0)
	ds_write_b16 v7, v1 offset:768
.LBB27_10:
	s_or_b64 exec, exec, s[2:3]
	v_lshlrev_b32_e32 v1, 2, v0
	v_lshl_add_u32 v2, s6, 9, v1
	v_mov_b32_e32 v1, v2
	buffer_store_dword v1, off, s[28:31], 0 offset:16 ; 4-byte Folded Spill
	s_nop 0
	buffer_store_dword v2, off, s[28:31], 0 offset:20 ; 4-byte Folded Spill
	v_cmp_gt_i32_e32 vcc, s16, v2
	s_and_saveexec_b64 s[0:1], vcc
	s_cbranch_execz .LBB27_32
; %bb.11:
	s_abs_i32 s0, s18
	v_cvt_f32_u32_e32 v1, s0
	s_mov_b32 s2, 0
	v_mov_b32_e32 v5, 0
	v_mov_b32_e32 v19, 0
	v_rcp_iflag_f32_e32 v1, v1
	v_mov_b32_e32 v17, 0
	v_mov_b32_e32 v16, 0
	s_cmp_ge_i32 s24, s25
	v_mul_f32_e32 v1, 0x4f7ffffe, v1
	v_cvt_u32_f32_e32 v1, v1
	v_mov_b32_e32 v15, 0
	v_mov_b32_e32 v14, 0
	;; [unrolled: 1-line block ×3, first 2 shown]
	v_readfirstlane_b32 s1, v1
	v_mov_b32_e32 v12, 0
	s_waitcnt vmcnt(0) lgkmcnt(0)
	s_barrier
	s_cbranch_scc1 .LBB27_16
; %bb.12:
	buffer_load_dword v2, off, s[28:31], 0 offset:16 ; 4-byte Folded Reload
	buffer_load_dword v3, off, s[28:31], 0 offset:20 ; 4-byte Folded Reload
	s_sub_i32 s6, 0, s0
	s_mul_i32 s6, s6, s1
	s_mul_hi_u32 s6, s1, s6
	s_abs_i32 s5, s17
	s_add_i32 s1, s1, s6
	s_ashr_i32 s3, s17, 31
	s_ashr_i32 s4, s18, 31
	s_mul_hi_u32 s1, s5, s1
	s_xor_b32 s3, s3, s4
	s_mul_i32 s4, s1, s0
	s_sub_i32 s4, s5, s4
	s_add_i32 s5, s1, 1
	s_sub_i32 s6, s4, s0
	s_cmp_ge_u32 s4, s0
	s_cselect_b32 s1, s5, s1
	s_cselect_b32 s4, s6, s4
	s_add_i32 s5, s1, 1
	s_cmp_ge_u32 s4, s0
	s_cselect_b32 s0, s5, s1
	s_xor_b32 s0, s0, s3
	s_sub_i32 s3, s0, s3
	v_cvt_f32_u32_e32 v1, s3
	s_bitcmp1_b32 s19, 0
	s_cselect_b64 s[0:1], -1, 0
	s_sub_i32 s4, 0, s3
	v_rcp_iflag_f32_e32 v1, v1
	s_xor_b64 s[0:1], s[0:1], -1
	v_mov_b32_e32 v5, s11
	v_mov_b32_e32 v12, 0
	v_mul_f32_e32 v1, 0x4f7ffffe, v1
	v_cvt_u32_f32_e32 v1, v1
	s_movk_i32 s18, 0x2c00
	s_movk_i32 s19, 0x2400
	s_mov_b32 s20, 0x7060302
	v_readfirstlane_b32 s5, v1
	s_mul_i32 s4, s4, s5
	s_mul_hi_u32 s4, s5, s4
	s_add_i32 s5, s5, s4
	s_mul_hi_u32 s4, s24, s5
	s_mul_i32 s5, s4, s3
	s_sub_i32 s5, s24, s5
	s_add_i32 s6, s4, 1
	s_sub_i32 s17, s5, s3
	s_cmp_ge_u32 s5, s3
	s_cselect_b32 s4, s6, s4
	s_cselect_b32 s5, s17, s5
	s_add_i32 s6, s4, 1
	s_cmp_ge_u32 s5, s3
	s_cselect_b32 s4, s6, s4
	s_mul_i32 s5, s4, s16
	s_ashr_i32 s6, s5, 31
	s_lshr_b32 s6, s6, 28
	s_add_i32 s21, s3, s24
	s_ashr_i32 s17, s16, 31
	v_mov_b32_e32 v13, 0
	v_mov_b32_e32 v14, 0
	;; [unrolled: 1-line block ×6, first 2 shown]
	s_waitcnt vmcnt(1)
	v_mov_b32_e32 v8, v2
	v_ashrrev_i32_e32 v9, 31, v8
	v_lshrrev_b32_e32 v2, 28, v9
	v_add_u32_e32 v2, v8, v2
	v_add_u32_e32 v1, s5, v8
	s_add_i32 s5, s5, s6
	s_waitcnt vmcnt(0)
	v_ashrrev_i32_e32 v3, 4, v2
	s_ashr_i32 s5, s5, 4
	buffer_store_dword v3, off, s[28:31], 0 offset:24 ; 4-byte Folded Spill
	v_add_u32_e32 v3, s5, v3
	v_ashrrev_i32_e32 v4, 31, v3
	v_lshlrev_b64 v[3:4], 2, v[3:4]
	v_ashrrev_i32_e32 v2, 31, v1
	v_add_co_u32_e32 v3, vcc, s10, v3
	v_lshlrev_b64 v[1:2], 1, v[1:2]
	v_addc_co_u32_e32 v4, vcc, v5, v4, vcc
	global_load_dword v3, v[3:4], off
	v_mov_b32_e32 v4, s13
	v_add_co_u32_e32 v1, vcc, s12, v1
	v_addc_co_u32_e32 v2, vcc, v4, v2, vcc
	global_load_dwordx2 v[6:7], v[1:2], off
	v_cndmask_b32_e64 v4, 0, 1, s[0:1]
	s_lshr_b32 s0, s24, 4
	s_mul_i32 s0, s16, s0
	v_lshlrev_b32_e32 v2, 3, v0
	v_mov_b32_e32 v0, v8
	s_ashr_i32 s1, s0, 31
	buffer_store_dword v0, off, s[28:31], 0 offset:16 ; 4-byte Folded Spill
	s_nop 0
	buffer_store_dword v1, off, s[28:31], 0 offset:20 ; 4-byte Folded Spill
	s_lshl_b64 s[0:1], s[0:1], 2
	v_lshlrev_b64 v[0:1], 2, v[8:9]
	s_add_u32 s8, s8, s0
	s_addc_u32 s9, s9, s1
	buffer_store_dword v4, off, s[28:31], 0 offset:12 ; 4-byte Folded Spill
	v_mov_b32_e32 v4, s9
	v_add_co_u32_e32 v0, vcc, s8, v0
	v_addc_co_u32_e32 v1, vcc, v4, v1, vcc
	v_and_b32_e32 v5, 24, v2
	v_add_co_u32_e32 v8, vcc, 8, v0
	s_mov_b32 s5, 0x10001
	s_movk_i32 s6, 0x3400
	s_lshl_b64 s[0:1], s[16:17], 2
	v_addc_co_u32_e32 v9, vcc, 0, v1, vcc
	buffer_store_dword v5, off, s[28:31], 0 offset:28 ; 4-byte Folded Spill
	s_waitcnt vmcnt(5)
	v_lshrrev_b32_e32 v0, v2, v3
	v_bfe_u32 v4, v3, v5, 2
	v_bfe_u32 v21, v0, 6, 2
	;; [unrolled: 1-line block ×4, first 2 shown]
	v_mov_b32_e32 v5, 0
	s_cmp_lg_u32 s24, s21
	s_cbranch_scc1 .LBB27_14
.LBB27_13:
	buffer_load_dword v0, off, s[28:31], 0 offset:24 ; 4-byte Folded Reload
	s_add_i32 s4, s4, 1
	s_mul_i32 s8, s4, s16
	s_ashr_i32 s9, s8, 31
	s_lshr_b32 s9, s9, 28
	s_add_i32 s9, s8, s9
	s_ashr_i32 s9, s9, 4
	v_mov_b32_e32 v2, s11
	v_mov_b32_e32 v3, s13
	s_add_i32 s21, s21, s3
	s_waitcnt vmcnt(0)
	v_add_u32_e32 v0, s9, v0
	v_ashrrev_i32_e32 v1, 31, v0
	v_lshlrev_b64 v[0:1], 2, v[0:1]
	v_add_co_u32_e32 v0, vcc, s10, v0
	v_addc_co_u32_e32 v1, vcc, v2, v1, vcc
	global_load_dword v2, v[0:1], off
	s_nop 0
	buffer_load_dword v0, off, s[28:31], 0 offset:16 ; 4-byte Folded Reload
	buffer_load_dword v1, off, s[28:31], 0 offset:20 ; 4-byte Folded Reload
	s_waitcnt vmcnt(1)
	v_add_u32_e32 v0, s8, v0
	s_waitcnt vmcnt(0)
	v_ashrrev_i32_e32 v1, 31, v0
	v_lshlrev_b64 v[0:1], 1, v[0:1]
	v_add_co_u32_e32 v0, vcc, s12, v0
	v_addc_co_u32_e32 v1, vcc, v3, v1, vcc
	global_load_dwordx2 v[6:7], v[0:1], off
	s_nop 0
	buffer_load_dword v1, off, s[28:31], 0 offset:28 ; 4-byte Folded Reload
	s_waitcnt vmcnt(0)
	v_lshrrev_b32_e32 v0, v1, v2
	v_bfe_u32 v4, v2, v1, 2
	v_bfe_u32 v11, v0, 2, 2
	;; [unrolled: 1-line block ×4, first 2 shown]
.LBB27_14:                              ; =>This Inner Loop Header: Depth=1
	buffer_load_dword v20, off, s[28:31], 0 offset:12 ; 4-byte Folded Reload
	global_load_dwordx4 v[0:3], v[8:9], off offset:-8
	v_mov_b32_e32 v22, v21
	s_waitcnt vmcnt(2)
	buffer_store_dword v11, off, s[28:31], 0 offset:8 ; 4-byte Folded Spill
	buffer_store_dword v10, off, s[28:31], 0 offset:4 ; 4-byte Folded Spill
	buffer_store_dword v4, off, s[28:31], 0 ; 4-byte Folded Spill
	v_mov_b32_e32 v33, s2
	ds_read2_b32 v[27:28], v33 offset1:1
	s_add_i32 s2, s2, 32
	s_add_i32 s24, s24, 16
	v_add_co_u32_e32 v8, vcc, s0, v8
	s_cmp_ge_i32 s24, s25
	s_waitcnt vmcnt(4)
	v_add_u32_e32 v18, v4, v20
	v_add_u32_e32 v11, v11, v20
	;; [unrolled: 1-line block ×4, first 2 shown]
	v_cvt_f32_u32_e32 v21, v18
	v_mov_b32_e32 v20, 0xe400e400
	v_cvt_f32_u32_e32 v23, v11
	v_cvt_f32_u32_e32 v24, v10
	v_mad_u32_u24 v39, v18, s5, v20
	v_mad_u32_u24 v18, v10, s5, v20
	v_cvt_f32_u32_e32 v10, v4
	v_cvt_f16_f32_e32 v25, v21
	v_cvt_f16_f32_e32 v34, v23
	;; [unrolled: 1-line block ×4, first 2 shown]
	v_mad_u32_u24 v38, v11, s5, v20
	v_mad_u32_u24 v11, v4, s5, v20
	v_sub_f16_e32 v21, 0xdc00, v25
	s_waitcnt vmcnt(3)
	v_and_b32_e32 v23, 0x30003, v0
	v_and_b32_e32 v29, 0xc000c, v0
	v_and_b32_e32 v40, 0x300030, v0
	v_and_b32_e32 v41, 0xc000c0, v0
	v_lshrrev_b32_e32 v10, 8, v0
	v_and_b32_e32 v30, 0x30003, v1
	v_and_b32_e32 v31, 0xc000c, v1
	v_and_b32_e32 v51, 0x300030, v1
	v_and_b32_e32 v59, 0xc000c0, v1
	v_lshrrev_b32_e32 v4, 8, v1
	;; [unrolled: 5-line block ×4, first 2 shown]
	v_sub_f16_e32 v3, 0xdc00, v34
	v_sub_f16_e32 v42, 0xdc00, v24
	;; [unrolled: 1-line block ×3, first 2 shown]
	v_mul_u32_u24_e32 v48, 0x10001, v21
	v_mul_u32_u24_e32 v46, 0x10001, v3
	v_mul_u32_u24_e32 v47, 0x10001, v42
	v_or_b32_e32 v3, 0x64006400, v23
	v_or_b32_e32 v21, 0x64006400, v29
	;; [unrolled: 1-line block ×6, first 2 shown]
	v_mul_u32_u24_e32 v58, 0x10001, v43
	v_or_b32_e32 v32, 0x64006400, v36
	v_or_b32_e32 v43, 0x64006400, v37
	v_pk_add_f16 v2, v39, v3
	v_pk_add_f16 v36, v38, v23
	v_pk_fma_f16 v37, v29, s6, v46 op_sel_hi:[1,0,1]
	v_pk_add_f16 v31, v18, v30
	v_pk_add_f16 v29, v11, v42
	v_pk_fma_f16 v3, v21, s6, v48 op_sel_hi:[1,0,1]
	v_pk_fma_f16 v32, v32, s6, v47 op_sel_hi:[1,0,1]
	;; [unrolled: 1-line block ×3, first 2 shown]
	s_waitcnt lgkmcnt(0)
	v_pk_fma_f16 v21, v2, v27, 0
	v_pk_fma_f16 v23, v36, v27, 0
	;; [unrolled: 1-line block ×6, first 2 shown]
	v_sub_f16_e32 v27, 0xd400, v25
	v_sub_f16_e32 v42, 0xd400, v24
	;; [unrolled: 1-line block ×3, first 2 shown]
	v_pk_fma_f16 v21, v3, v28, v21
	v_pk_fma_f16 v23, v37, v28, v23
	v_sub_f16_e32 v25, 0xcc00, v25
	v_sub_f16_e32 v28, 0xd400, v34
	v_mul_u32_u24_e32 v57, 0x10001, v27
	v_mul_u32_u24_e32 v52, 0x10001, v24
	v_or_b32_e32 v24, 0x64006400, v40
	v_mul_u32_u24_e32 v56, 0x10001, v25
	v_mul_u32_u24_e32 v55, 0x10001, v28
	v_or_b32_e32 v25, 0x64006400, v41
	v_pk_fma_f16 v44, v24, s18, v57 op_sel_hi:[1,0,1]
	v_or_b32_e32 v24, 0x64006400, v51
	v_pk_fma_f16 v45, v25, s19, v56 op_sel_hi:[1,0,1]
	;; [unrolled: 2-line block ×3, first 2 shown]
	v_or_b32_e32 v24, 0x64006400, v60
	ds_read2_b32 v[59:60], v33 offset0:2 offset1:3
	v_sub_f16_e32 v34, 0xcc00, v34
	v_sub_f16_e32 v43, 0xd400, v35
	v_mul_u32_u24_e32 v53, 0x10001, v42
	v_mul_u32_u24_e32 v54, 0x10001, v34
	;; [unrolled: 1-line block ×3, first 2 shown]
	v_pk_fma_f16 v34, v24, s18, v53 op_sel_hi:[1,0,1]
	v_or_b32_e32 v24, 0x64006400, v62
	v_sub_f16_e32 v35, 0xcc00, v35
	v_pk_fma_f16 v41, v25, s19, v54 op_sel_hi:[1,0,1]
	v_or_b32_e32 v25, 0x64006400, v61
	v_pk_fma_f16 v27, v24, s18, v42 op_sel_hi:[1,0,1]
	s_waitcnt lgkmcnt(0)
	v_pk_fma_f16 v24, v34, v59, v49
	v_and_b32_e32 v49, 0x30003, v10
	v_mul_u32_u24_e32 v43, 0x10001, v35
	v_pk_fma_f16 v35, v25, s19, v52 op_sel_hi:[1,0,1]
	v_or_b32_e32 v25, 0x64006400, v63
	v_or_b32_e32 v49, 0x64006400, v49
	v_pk_fma_f16 v28, v25, s19, v43 op_sel_hi:[1,0,1]
	v_pk_fma_f16 v25, v27, v59, v50
	v_pk_add_f16 v50, v39, v49
	v_and_b32_e32 v39, 0xc000c, v10
	v_or_b32_e32 v39, 0x64006400, v39
	v_pk_fma_f16 v51, v39, s6, v48 op_sel_hi:[1,0,1]
	v_and_b32_e32 v39, 0x30003, v4
	v_or_b32_e32 v39, 0x64006400, v39
	v_pk_add_f16 v48, v38, v39
	v_and_b32_e32 v38, 0xc000c, v4
	v_or_b32_e32 v38, 0x64006400, v38
	v_pk_fma_f16 v49, v38, s6, v46 op_sel_hi:[1,0,1]
	v_and_b32_e32 v38, 0x30003, v1
	v_or_b32_e32 v38, 0x64006400, v38
	;; [unrolled: 6-line block ×3, first 2 shown]
	v_pk_add_f16 v38, v11, v18
	v_and_b32_e32 v11, 0xc000c, v0
	v_or_b32_e32 v11, 0x64006400, v11
	v_pk_fma_f16 v21, v44, v59, v21
	v_pk_fma_f16 v23, v40, v59, v23
	v_pk_fma_f16 v39, v11, s6, v58 op_sel_hi:[1,0,1]
	ds_read2_b32 v[58:59], v33 offset0:4 offset1:5
	v_pk_fma_f16 v21, v45, v60, v21
	v_pk_fma_f16 v24, v35, v60, v24
	;; [unrolled: 1-line block ×4, first 2 shown]
	s_waitcnt lgkmcnt(0)
	v_pk_fma_f16 v11, v50, v58, v21
	v_pk_fma_f16 v21, v46, v58, v24
	;; [unrolled: 1-line block ×5, first 2 shown]
	v_and_b32_e32 v21, 0x300030, v10
	v_and_b32_e32 v10, 0xc000c0, v10
	v_pk_fma_f16 v18, v48, v58, v23
	v_or_b32_e32 v10, 0x64006400, v10
	v_pk_fma_f16 v11, v51, v59, v11
	v_pk_fma_f16 v18, v49, v59, v18
	v_pk_fma_f16 v59, v10, s19, v56 op_sel_hi:[1,0,1]
	v_and_b32_e32 v10, 0x300030, v4
	v_and_b32_e32 v4, 0xc000c0, v4
	v_or_b32_e32 v21, 0x64006400, v21
	v_or_b32_e32 v4, 0x64006400, v4
	v_pk_fma_f16 v58, v21, s18, v57 op_sel_hi:[1,0,1]
	v_pk_fma_f16 v57, v4, s19, v54 op_sel_hi:[1,0,1]
	v_and_b32_e32 v4, 0x300030, v1
	v_and_b32_e32 v1, 0xc000c0, v1
	v_or_b32_e32 v10, 0x64006400, v10
	v_or_b32_e32 v1, 0x64006400, v1
	v_pk_fma_f16 v56, v10, s18, v55 op_sel_hi:[1,0,1]
	;; [unrolled: 6-line block ×3, first 2 shown]
	v_pk_fma_f16 v43, v0, s19, v43 op_sel_hi:[1,0,1]
	ds_read2_b32 v[0:1], v33 offset0:6 offset1:7
	v_or_b32_e32 v4, 0x64006400, v4
	v_pk_fma_f16 v54, v4, s18, v53 op_sel_hi:[1,0,1]
	s_waitcnt lgkmcnt(0)
	v_pk_fma_f16 v4, v58, v0, v11
	v_pk_fma_f16 v62, v59, v1, v4
	v_pk_fma_f16 v4, v56, v0, v18
	v_pk_fma_f16 v63, v57, v1, v4
	v_pk_fma_f16 v4, v54, v0, v60
	v_pk_fma_f16 v0, v42, v0, v61
	v_pk_fma_f16 v52, v55, v1, v4
	v_pk_fma_f16 v53, v43, v1, v0
	ds_read2_b32 v[0:1], v33 offset0:64 offset1:65
	s_waitcnt lgkmcnt(0)
	v_pk_fma_f16 v4, v2, v0, 0
	v_pk_fma_f16 v10, v36, v0, 0
	v_pk_fma_f16 v11, v31, v0, 0
	v_pk_fma_f16 v0, v29, v0, 0
	v_pk_fma_f16 v4, v3, v1, v4
	v_pk_fma_f16 v10, v37, v1, v10
	v_pk_fma_f16 v11, v32, v1, v11
	v_pk_fma_f16 v18, v30, v1, v0
	ds_read2_b32 v[0:1], v33 offset0:66 offset1:67
	;; [unrolled: 10-line block ×8, first 2 shown]
	s_waitcnt lgkmcnt(0)
	v_pk_fma_f16 v4, v58, v0, v4
	v_pk_fma_f16 v26, v59, v1, v4
	;; [unrolled: 1-line block ×6, first 2 shown]
	ds_read2_b32 v[24:25], v33 offset0:192 offset1:193
	ds_read2_b32 v[10:11], v33 offset0:194 offset1:195
	v_pk_fma_f16 v18, v55, v1, v4
	v_pk_fma_f16 v4, v43, v1, v0
	s_waitcnt lgkmcnt(1)
	v_pk_fma_f16 v0, v2, v24, 0
	v_pk_fma_f16 v0, v3, v25, v0
	ds_read2_b32 v[2:3], v33 offset0:196 offset1:197
	s_waitcnt lgkmcnt(1)
	v_pk_fma_f16 v0, v44, v10, v0
	v_pk_fma_f16 v0, v45, v11, v0
	;; [unrolled: 1-line block ×4, first 2 shown]
	s_waitcnt lgkmcnt(0)
	v_pk_fma_f16 v0, v50, v2, v0
	v_pk_fma_f16 v44, v51, v3, v0
	ds_read2_b32 v[0:1], v33 offset0:198 offset1:199
	v_pk_fma_f16 v36, v40, v10, v36
	v_pack_b32_f16 v37, v62, v63
	v_perm_b32 v40, v63, v62, s20
	v_pk_fma_f16 v36, v41, v11, v36
	v_pk_add_f16 v37, v37, v40
	v_pk_fma_f16 v36, v48, v2, v36
	v_pk_fma_f16 v5, v37, v6, v5
	v_pack_b32_f16 v37, v21, v23
	v_perm_b32 v21, v23, v21, s20
	v_pk_fma_f16 v36, v49, v3, v36
	v_pk_add_f16 v21, v37, v21
	s_waitcnt lgkmcnt(0)
	v_pk_fma_f16 v33, v58, v0, v44
	v_pk_fma_f16 v36, v56, v0, v36
	;; [unrolled: 1-line block ×3, first 2 shown]
	v_pack_b32_f16 v21, v26, v20
	v_perm_b32 v20, v20, v26, s20
	v_pk_fma_f16 v33, v59, v1, v33
	v_pk_fma_f16 v36, v57, v1, v36
	v_pk_add_f16 v20, v21, v20
	v_pk_fma_f16 v15, v20, v6, v15
	v_pack_b32_f16 v20, v33, v36
	v_perm_b32 v21, v36, v33, s20
	v_pk_add_f16 v20, v20, v21
	v_pk_fma_f16 v13, v20, v6, v13
	v_pk_fma_f16 v20, v31, v24, 0
	;; [unrolled: 1-line block ×17, first 2 shown]
	v_pack_b32_f16 v1, v52, v53
	v_perm_b32 v2, v53, v52, s20
	v_pk_add_f16 v1, v1, v2
	v_pk_fma_f16 v19, v1, v7, v19
	v_pack_b32_f16 v1, v60, v61
	v_perm_b32 v2, v61, v60, s20
	v_pk_add_f16 v1, v1, v2
	v_pk_fma_f16 v16, v1, v7, v16
	;; [unrolled: 4-line block ×4, first 2 shown]
	v_mov_b32_e32 v0, s1
	v_addc_co_u32_e32 v9, vcc, v9, v0, vcc
	s_cbranch_scc1 .LBB27_16
; %bb.15:                               ;   in Loop: Header=BB27_14 Depth=1
	buffer_load_dword v4, off, s[28:31], 0  ; 4-byte Folded Reload
	buffer_load_dword v10, off, s[28:31], 0 offset:4 ; 4-byte Folded Reload
	buffer_load_dword v11, off, s[28:31], 0 offset:8 ; 4-byte Folded Reload
	v_mov_b32_e32 v21, v22
	s_cmp_lg_u32 s24, s21
	s_cbranch_scc0 .LBB27_13
	s_branch .LBB27_14
.LBB27_16:
	buffer_load_dword v0, off, s[28:31], 0 offset:16 ; 4-byte Folded Reload
	buffer_load_dword v1, off, s[28:31], 0 offset:20 ; 4-byte Folded Reload
	s_mul_i32 s7, s7, s16
	v_mov_b32_e32 v3, s15
	s_mov_b64 s[0:1], 0
	s_waitcnt vmcnt(1)
	v_add_u32_e32 v0, s7, v0
	s_waitcnt vmcnt(0)
	v_ashrrev_i32_e32 v1, 31, v0
	v_lshlrev_b64 v[1:2], 1, v[0:1]
	v_add_co_u32_e32 v1, vcc, s14, v1
	v_addc_co_u32_e32 v2, vcc, v3, v2, vcc
	global_load_dword v4, v[1:2], off
.LBB27_17:                              ; =>This Inner Loop Header: Depth=1
	s_waitcnt vmcnt(0)
	v_pk_add_f16 v3, v5, v4
	global_atomic_cmpswap v3, v[1:2], v[3:4], off glc
	s_waitcnt vmcnt(0)
	v_cmp_eq_u32_e32 vcc, v4, v3
	s_or_b64 s[0:1], vcc, s[0:1]
	v_mov_b32_e32 v4, v3
	s_andn2_b64 exec, exec, s[0:1]
	s_cbranch_execnz .LBB27_17
; %bb.18:
	s_or_b64 exec, exec, s[0:1]
	global_load_dword v4, v[1:2], off offset:4
	s_mov_b64 s[0:1], 0
.LBB27_19:                              ; =>This Inner Loop Header: Depth=1
	s_waitcnt vmcnt(0)
	v_pk_add_f16 v3, v19, v4
	global_atomic_cmpswap v3, v[1:2], v[3:4], off offset:4 glc
	s_waitcnt vmcnt(0)
	v_cmp_eq_u32_e32 vcc, v4, v3
	s_or_b64 s[0:1], vcc, s[0:1]
	v_mov_b32_e32 v4, v3
	s_andn2_b64 exec, exec, s[0:1]
	s_cbranch_execnz .LBB27_19
; %bb.20:
	s_or_b64 exec, exec, s[0:1]
	v_add_u32_e32 v0, s16, v0
	v_ashrrev_i32_e32 v1, 31, v0
	v_lshlrev_b64 v[1:2], 1, v[0:1]
	v_mov_b32_e32 v3, s15
	v_add_co_u32_e32 v1, vcc, s14, v1
	v_addc_co_u32_e32 v2, vcc, v3, v2, vcc
	global_load_dword v4, v[1:2], off
	s_mov_b64 s[0:1], 0
.LBB27_21:                              ; =>This Inner Loop Header: Depth=1
	s_waitcnt vmcnt(0)
	v_pk_add_f16 v3, v17, v4
	global_atomic_cmpswap v3, v[1:2], v[3:4], off glc
	s_waitcnt vmcnt(0)
	v_cmp_eq_u32_e32 vcc, v4, v3
	s_or_b64 s[0:1], vcc, s[0:1]
	v_mov_b32_e32 v4, v3
	s_andn2_b64 exec, exec, s[0:1]
	s_cbranch_execnz .LBB27_21
; %bb.22:
	s_or_b64 exec, exec, s[0:1]
	global_load_dword v4, v[1:2], off offset:4
	s_mov_b64 s[0:1], 0
.LBB27_23:                              ; =>This Inner Loop Header: Depth=1
	s_waitcnt vmcnt(0)
	v_pk_add_f16 v3, v16, v4
	global_atomic_cmpswap v3, v[1:2], v[3:4], off offset:4 glc
	s_waitcnt vmcnt(0)
	v_cmp_eq_u32_e32 vcc, v4, v3
	s_or_b64 s[0:1], vcc, s[0:1]
	v_mov_b32_e32 v4, v3
	s_andn2_b64 exec, exec, s[0:1]
	s_cbranch_execnz .LBB27_23
; %bb.24:
	s_or_b64 exec, exec, s[0:1]
	v_add_u32_e32 v0, s16, v0
	v_ashrrev_i32_e32 v1, 31, v0
	v_lshlrev_b64 v[1:2], 1, v[0:1]
	v_mov_b32_e32 v3, s15
	v_add_co_u32_e32 v1, vcc, s14, v1
	v_addc_co_u32_e32 v2, vcc, v3, v2, vcc
	global_load_dword v4, v[1:2], off
	s_mov_b64 s[0:1], 0
	;; [unrolled: 34-line block ×3, first 2 shown]
.LBB27_29:                              ; =>This Inner Loop Header: Depth=1
	s_waitcnt vmcnt(0)
	v_pk_add_f16 v2, v13, v3
	global_atomic_cmpswap v2, v[0:1], v[2:3], off glc
	s_waitcnt vmcnt(0)
	v_cmp_eq_u32_e32 vcc, v3, v2
	s_or_b64 s[0:1], vcc, s[0:1]
	v_mov_b32_e32 v3, v2
	s_andn2_b64 exec, exec, s[0:1]
	s_cbranch_execnz .LBB27_29
; %bb.30:
	s_or_b64 exec, exec, s[0:1]
	global_load_dword v3, v[0:1], off offset:4
	s_mov_b64 s[0:1], 0
.LBB27_31:                              ; =>This Inner Loop Header: Depth=1
	s_waitcnt vmcnt(0)
	v_pk_add_f16 v2, v12, v3
	global_atomic_cmpswap v2, v[0:1], v[2:3], off offset:4 glc
	s_waitcnt vmcnt(0)
	v_cmp_eq_u32_e32 vcc, v3, v2
	s_or_b64 s[0:1], vcc, s[0:1]
	v_mov_b32_e32 v3, v2
	s_andn2_b64 exec, exec, s[0:1]
	s_cbranch_execnz .LBB27_31
.LBB27_32:
	s_endpgm
	.section	.rodata,"a",@progbits
	.p2align	6, 0x0
	.amdhsa_kernel _ZN4vllm4gptq33gemm_half_q_half_gptq_2bit_kernelILb1ELi4EEEvPK6__halfPKjS6_S4_PS2_iiiibPKi
		.amdhsa_group_segment_fixed_size 1024
		.amdhsa_private_segment_fixed_size 36
		.amdhsa_kernarg_size 72
		.amdhsa_user_sgpr_count 6
		.amdhsa_user_sgpr_private_segment_buffer 1
		.amdhsa_user_sgpr_dispatch_ptr 0
		.amdhsa_user_sgpr_queue_ptr 0
		.amdhsa_user_sgpr_kernarg_segment_ptr 1
		.amdhsa_user_sgpr_dispatch_id 0
		.amdhsa_user_sgpr_flat_scratch_init 0
		.amdhsa_user_sgpr_private_segment_size 0
		.amdhsa_uses_dynamic_stack 0
		.amdhsa_system_sgpr_private_segment_wavefront_offset 1
		.amdhsa_system_sgpr_workgroup_id_x 1
		.amdhsa_system_sgpr_workgroup_id_y 1
		.amdhsa_system_sgpr_workgroup_id_z 1
		.amdhsa_system_sgpr_workgroup_info 0
		.amdhsa_system_vgpr_workitem_id 0
		.amdhsa_next_free_vgpr 64
		.amdhsa_next_free_sgpr 32
		.amdhsa_reserve_vcc 1
		.amdhsa_reserve_flat_scratch 0
		.amdhsa_float_round_mode_32 0
		.amdhsa_float_round_mode_16_64 0
		.amdhsa_float_denorm_mode_32 3
		.amdhsa_float_denorm_mode_16_64 3
		.amdhsa_dx10_clamp 1
		.amdhsa_ieee_mode 1
		.amdhsa_fp16_overflow 0
		.amdhsa_exception_fp_ieee_invalid_op 0
		.amdhsa_exception_fp_denorm_src 0
		.amdhsa_exception_fp_ieee_div_zero 0
		.amdhsa_exception_fp_ieee_overflow 0
		.amdhsa_exception_fp_ieee_underflow 0
		.amdhsa_exception_fp_ieee_inexact 0
		.amdhsa_exception_int_div_zero 0
	.end_amdhsa_kernel
	.section	.text._ZN4vllm4gptq33gemm_half_q_half_gptq_2bit_kernelILb1ELi4EEEvPK6__halfPKjS6_S4_PS2_iiiibPKi,"axG",@progbits,_ZN4vllm4gptq33gemm_half_q_half_gptq_2bit_kernelILb1ELi4EEEvPK6__halfPKjS6_S4_PS2_iiiibPKi,comdat
.Lfunc_end27:
	.size	_ZN4vllm4gptq33gemm_half_q_half_gptq_2bit_kernelILb1ELi4EEEvPK6__halfPKjS6_S4_PS2_iiiibPKi, .Lfunc_end27-_ZN4vllm4gptq33gemm_half_q_half_gptq_2bit_kernelILb1ELi4EEEvPK6__halfPKjS6_S4_PS2_iiiibPKi
                                        ; -- End function
	.set _ZN4vllm4gptq33gemm_half_q_half_gptq_2bit_kernelILb1ELi4EEEvPK6__halfPKjS6_S4_PS2_iiiibPKi.num_vgpr, 64
	.set _ZN4vllm4gptq33gemm_half_q_half_gptq_2bit_kernelILb1ELi4EEEvPK6__halfPKjS6_S4_PS2_iiiibPKi.num_agpr, 0
	.set _ZN4vllm4gptq33gemm_half_q_half_gptq_2bit_kernelILb1ELi4EEEvPK6__halfPKjS6_S4_PS2_iiiibPKi.numbered_sgpr, 32
	.set _ZN4vllm4gptq33gemm_half_q_half_gptq_2bit_kernelILb1ELi4EEEvPK6__halfPKjS6_S4_PS2_iiiibPKi.num_named_barrier, 0
	.set _ZN4vllm4gptq33gemm_half_q_half_gptq_2bit_kernelILb1ELi4EEEvPK6__halfPKjS6_S4_PS2_iiiibPKi.private_seg_size, 36
	.set _ZN4vllm4gptq33gemm_half_q_half_gptq_2bit_kernelILb1ELi4EEEvPK6__halfPKjS6_S4_PS2_iiiibPKi.uses_vcc, 1
	.set _ZN4vllm4gptq33gemm_half_q_half_gptq_2bit_kernelILb1ELi4EEEvPK6__halfPKjS6_S4_PS2_iiiibPKi.uses_flat_scratch, 0
	.set _ZN4vllm4gptq33gemm_half_q_half_gptq_2bit_kernelILb1ELi4EEEvPK6__halfPKjS6_S4_PS2_iiiibPKi.has_dyn_sized_stack, 0
	.set _ZN4vllm4gptq33gemm_half_q_half_gptq_2bit_kernelILb1ELi4EEEvPK6__halfPKjS6_S4_PS2_iiiibPKi.has_recursion, 0
	.set _ZN4vllm4gptq33gemm_half_q_half_gptq_2bit_kernelILb1ELi4EEEvPK6__halfPKjS6_S4_PS2_iiiibPKi.has_indirect_call, 0
	.section	.AMDGPU.csdata,"",@progbits
; Kernel info:
; codeLenInByte = 4684
; TotalNumSgprs: 36
; NumVgprs: 64
; ScratchSize: 36
; MemoryBound: 0
; FloatMode: 240
; IeeeMode: 1
; LDSByteSize: 1024 bytes/workgroup (compile time only)
; SGPRBlocks: 4
; VGPRBlocks: 15
; NumSGPRsForWavesPerEU: 36
; NumVGPRsForWavesPerEU: 64
; Occupancy: 4
; WaveLimiterHint : 0
; COMPUTE_PGM_RSRC2:SCRATCH_EN: 1
; COMPUTE_PGM_RSRC2:USER_SGPR: 6
; COMPUTE_PGM_RSRC2:TRAP_HANDLER: 0
; COMPUTE_PGM_RSRC2:TGID_X_EN: 1
; COMPUTE_PGM_RSRC2:TGID_Y_EN: 1
; COMPUTE_PGM_RSRC2:TGID_Z_EN: 1
; COMPUTE_PGM_RSRC2:TIDIG_COMP_CNT: 0
	.section	.text._ZN4vllm4gptq33gemm_half_q_half_gptq_3bit_kernelILb1ELi4EEEvPK6__halfPKjS6_S4_PS2_iiiibPKi,"axG",@progbits,_ZN4vllm4gptq33gemm_half_q_half_gptq_3bit_kernelILb1ELi4EEEvPK6__halfPKjS6_S4_PS2_iiiibPKi,comdat
	.protected	_ZN4vllm4gptq33gemm_half_q_half_gptq_3bit_kernelILb1ELi4EEEvPK6__halfPKjS6_S4_PS2_iiiibPKi ; -- Begin function _ZN4vllm4gptq33gemm_half_q_half_gptq_3bit_kernelILb1ELi4EEEvPK6__halfPKjS6_S4_PS2_iiiibPKi
	.globl	_ZN4vllm4gptq33gemm_half_q_half_gptq_3bit_kernelILb1ELi4EEEvPK6__halfPKjS6_S4_PS2_iiiibPKi
	.p2align	8
	.type	_ZN4vllm4gptq33gemm_half_q_half_gptq_3bit_kernelILb1ELi4EEEvPK6__halfPKjS6_S4_PS2_iiiibPKi,@function
_ZN4vllm4gptq33gemm_half_q_half_gptq_3bit_kernelILb1ELi4EEEvPK6__halfPKjS6_S4_PS2_iiiibPKi: ; @_ZN4vllm4gptq33gemm_half_q_half_gptq_3bit_kernelILb1ELi4EEEvPK6__halfPKjS6_S4_PS2_iiiibPKi
; %bb.0:
	s_mov_b64 s[42:43], s[2:3]
	s_load_dwordx4 s[16:19], s[4:5], 0x2c
	s_mov_b64 s[40:41], s[0:1]
	s_add_u32 s40, s40, s9
	s_addc_u32 s41, s41, 0
	s_lshl_b32 s25, s8, 7
	s_add_i32 s0, s25, 0x80
	v_cvt_f64_u32_e32 v[1:2], s0
	s_waitcnt lgkmcnt(0)
	v_cvt_f64_i32_e32 v[3:4], s17
	s_load_dwordx8 s[8:15], s[4:5], 0x8
	s_lshl_b32 s24, s7, 2
	v_min_f64 v[1:2], v[1:2], v[3:4]
	v_cvt_i32_f64_e32 v2, v[1:2]
	v_add_u32_e32 v1, s25, v0
	v_readfirstlane_b32 s26, v2
	v_cmp_lt_u32_e32 vcc, v1, v2
	s_and_saveexec_b64 s[2:3], vcc
	s_cbranch_execz .LBB28_10
; %bb.1:
	s_load_dwordx2 s[0:1], s[4:5], 0x40
	s_load_dwordx2 s[20:21], s[4:5], 0x0
	v_mov_b32_e32 v2, 0
	v_lshlrev_b64 v[3:4], 2, v[1:2]
	s_waitcnt lgkmcnt(0)
	v_mov_b32_e32 v5, s1
	v_add_co_u32_e32 v3, vcc, s0, v3
	s_cmp_lg_u64 s[0:1], 0
	v_addc_co_u32_e32 v4, vcc, v5, v4, vcc
	v_mov_b32_e32 v6, v2
	s_cselect_b64 s[4:5], -1, 0
	s_cmp_eq_u64 s[0:1], 0
	v_mov_b32_e32 v5, v1
	s_cbranch_scc1 .LBB28_3
; %bb.2:
	global_load_dword v5, v[3:4], off
	s_waitcnt vmcnt(0)
	v_ashrrev_i32_e32 v6, 31, v5
.LBB28_3:
	s_mul_i32 s22, s24, s17
	s_ashr_i32 s23, s22, 31
	s_lshl_b64 s[0:1], s[22:23], 1
	s_add_u32 s0, s20, s0
	v_lshlrev_b64 v[5:6], 1, v[5:6]
	s_addc_u32 s1, s21, s1
	v_mov_b32_e32 v7, s1
	v_add_co_u32_e32 v5, vcc, s0, v5
	v_addc_co_u32_e32 v6, vcc, v7, v6, vcc
	global_load_ushort v5, v[5:6], off
	v_lshlrev_b32_e32 v7, 1, v0
	v_cndmask_b32_e64 v6, 0, 1, s[4:5]
	v_cmp_ne_u32_e64 s[0:1], 1, v6
	s_andn2_b64 vcc, exec, s[4:5]
	s_waitcnt vmcnt(0)
	ds_write_b16 v7, v5
	v_mov_b32_e32 v6, v2
	v_mov_b32_e32 v5, v1
	s_cbranch_vccnz .LBB28_5
; %bb.4:
	global_load_dword v5, v[3:4], off
	s_waitcnt vmcnt(0)
	v_ashrrev_i32_e32 v6, 31, v5
.LBB28_5:
	s_add_i32 s4, s22, s17
	s_ashr_i32 s5, s4, 31
	s_lshl_b64 s[22:23], s[4:5], 1
	s_add_u32 s5, s20, s22
	v_lshlrev_b64 v[5:6], 1, v[5:6]
	s_addc_u32 s7, s21, s23
	v_mov_b32_e32 v8, s7
	v_add_co_u32_e32 v5, vcc, s5, v5
	v_addc_co_u32_e32 v6, vcc, v8, v6, vcc
	global_load_ushort v5, v[5:6], off
	s_and_b64 vcc, exec, s[0:1]
	s_waitcnt vmcnt(0)
	ds_write_b16 v7, v5 offset:256
	v_mov_b32_e32 v6, v2
	v_mov_b32_e32 v5, v1
	s_cbranch_vccnz .LBB28_7
; %bb.6:
	global_load_dword v5, v[3:4], off
	s_waitcnt vmcnt(0)
	v_ashrrev_i32_e32 v6, 31, v5
.LBB28_7:
	s_add_i32 s4, s4, s17
	s_ashr_i32 s5, s4, 31
	s_lshl_b64 s[22:23], s[4:5], 1
	s_add_u32 s5, s20, s22
	v_lshlrev_b64 v[5:6], 1, v[5:6]
	s_addc_u32 s7, s21, s23
	v_mov_b32_e32 v8, s7
	v_add_co_u32_e32 v5, vcc, s5, v5
	v_addc_co_u32_e32 v6, vcc, v8, v6, vcc
	global_load_ushort v5, v[5:6], off
	s_and_b64 vcc, exec, s[0:1]
	s_waitcnt vmcnt(0)
	ds_write_b16 v7, v5 offset:512
	s_cbranch_vccnz .LBB28_9
; %bb.8:
	global_load_dword v1, v[3:4], off
	s_waitcnt vmcnt(0)
	v_ashrrev_i32_e32 v2, 31, v1
.LBB28_9:
	s_add_i32 s0, s4, s17
	s_ashr_i32 s1, s0, 31
	s_lshl_b64 s[0:1], s[0:1], 1
	s_add_u32 s0, s20, s0
	v_lshlrev_b64 v[1:2], 1, v[1:2]
	s_addc_u32 s1, s21, s1
	v_mov_b32_e32 v3, s1
	v_add_co_u32_e32 v1, vcc, s0, v1
	v_addc_co_u32_e32 v2, vcc, v3, v2, vcc
	global_load_ushort v1, v[1:2], off
	s_waitcnt vmcnt(0)
	ds_write_b16 v7, v1 offset:768
.LBB28_10:
	s_or_b64 exec, exec, s[2:3]
	v_lshlrev_b32_e32 v0, 2, v0
	v_lshl_add_u32 v2, s6, 9, v0
	v_mov_b32_e32 v1, v2
	buffer_store_dword v1, off, s[40:43], 0 offset:232 ; 4-byte Folded Spill
	s_nop 0
	buffer_store_dword v2, off, s[40:43], 0 offset:236 ; 4-byte Folded Spill
	v_cmp_gt_i32_e32 vcc, s16, v2
	s_and_saveexec_b64 s[0:1], vcc
	s_cbranch_execz .LBB28_64
; %bb.11:
	s_abs_i32 s0, s18
	v_cvt_f32_u32_e32 v1, s0
	s_sub_i32 s3, 0, s0
	s_abs_i32 s2, s17
	s_xor_b32 s1, s17, s18
	v_rcp_iflag_f32_e32 v1, v1
	s_ashr_i32 s1, s1, 31
	v_and_b32_e32 v0, 28, v0
	v_cmp_lt_u32_e32 vcc, 4, v0
	v_mul_f32_e32 v1, 0x4f7ffffe, v1
	v_cvt_u32_f32_e32 v1, v1
	s_waitcnt vmcnt(0) lgkmcnt(0)
	s_barrier
	v_readfirstlane_b32 s4, v1
	s_mul_i32 s3, s3, s4
	s_mul_hi_u32 s3, s4, s3
	s_add_i32 s4, s4, s3
	s_mul_hi_u32 s3, s2, s4
	s_mul_i32 s4, s3, s0
	s_sub_i32 s2, s2, s4
	s_add_i32 s5, s3, 1
	s_sub_i32 s4, s2, s0
	s_cmp_ge_u32 s2, s0
	s_cselect_b32 s3, s5, s3
	s_cselect_b32 s2, s4, s2
	s_add_i32 s4, s3, 1
	s_cmp_ge_u32 s2, s0
	s_cselect_b32 s0, s4, s3
	s_xor_b32 s0, s0, s1
	s_sub_i32 s27, s0, s1
	v_cvt_f32_u32_e32 v1, s27
	s_sub_i32 s0, 0, s27
                                        ; implicit-def: $vgpr3
	v_rcp_iflag_f32_e32 v1, v1
	v_mul_f32_e32 v1, 0x4f7ffffe, v1
	v_cvt_u32_f32_e32 v1, v1
	v_readfirstlane_b32 s1, v1
	s_mul_i32 s0, s0, s1
	s_mul_hi_u32 s0, s1, s0
	s_add_i32 s1, s1, s0
	s_mul_hi_u32 s0, s25, s1
	s_mul_i32 s1, s0, s27
	s_sub_i32 s1, s25, s1
	s_add_i32 s2, s0, 1
	s_sub_i32 s3, s1, s27
	s_cmp_ge_u32 s1, s27
	s_cselect_b32 s0, s2, s0
	s_cselect_b32 s1, s3, s1
	s_add_i32 s2, s0, 1
	s_cmp_ge_u32 s1, s27
	s_cselect_b32 s28, s2, s0
                                        ; implicit-def: $vgpr1
	s_and_saveexec_b64 s[0:1], vcc
	s_xor_b64 s[2:3], exec, s[0:1]
	s_cbranch_execz .LBB28_25
; %bb.12:
	v_cmp_ne_u32_e64 s[0:1], 8, v0
                                        ; implicit-def: $vgpr3
                                        ; implicit-def: $vgpr1
	s_and_saveexec_b64 s[4:5], s[0:1]
	s_xor_b64 s[4:5], exec, s[4:5]
	s_cbranch_execz .LBB28_22
; %bb.13:
	v_cmp_lt_u32_e64 s[0:1], 16, v0
                                        ; implicit-def: $vgpr3
                                        ; implicit-def: $vgpr1
	s_and_saveexec_b64 s[6:7], s[0:1]
	s_xor_b64 s[6:7], exec, s[6:7]
	s_cbranch_execz .LBB28_19
; %bb.14:
	buffer_load_dword v1, off, s[40:43], 0 offset:232 ; 4-byte Folded Reload
	buffer_load_dword v2, off, s[40:43], 0 offset:236 ; 4-byte Folded Reload
	s_mul_i32 s17, s28, s16
	s_ashr_i32 s0, s17, 31
	s_lshr_b32 s0, s0, 27
	s_add_i32 s0, s17, s0
	s_ashr_i32 s0, s0, 5
	v_mov_b32_e32 v3, s11
	s_waitcnt vmcnt(1)
	v_lshl_add_u32 v1, v1, 1, v1
	s_waitcnt vmcnt(0)
	v_ashrrev_i32_e32 v2, 31, v1
	v_lshrrev_b32_e32 v2, 27, v2
	v_add_u32_e32 v1, v1, v2
	v_ashrrev_i32_e32 v1, 5, v1
	v_mad_u64_u32 v[1:2], s[0:1], s0, 3, v[1:2]
	v_ashrrev_i32_e32 v2, 31, v1
	v_lshlrev_b64 v[1:2], 2, v[1:2]
	v_add_co_u32_e64 v1, s[0:1], s10, v1
	v_addc_co_u32_e64 v2, s[0:1], v3, v2, s[0:1]
	global_load_dword v4, v[1:2], off
	v_cmp_ne_u32_e64 s[0:1], 20, v0
                                        ; implicit-def: $vgpr3
	s_and_saveexec_b64 s[20:21], s[0:1]
	s_xor_b64 s[0:1], exec, s[20:21]
	s_cbranch_execz .LBB28_16
; %bb.15:
	v_not_b32_e32 v1, 63
	v_mad_u32_u24 v1, v0, 3, v1
	s_waitcnt vmcnt(0)
	v_lshrrev_b32_e32 v3, v1, v4
                                        ; implicit-def: $vgpr1_vgpr2
                                        ; implicit-def: $vgpr4
.LBB28_16:
	s_andn2_saveexec_b64 s[0:1], s[0:1]
	s_cbranch_execz .LBB28_18
; %bb.17:
	global_load_dword v1, v[1:2], off offset:4
	s_waitcnt vmcnt(0)
	v_alignbit_b32 v1, v1, v4, 28
	v_and_b32_e32 v3, 0xfff, v1
.LBB28_18:
	s_or_b64 exec, exec, s[0:1]
	v_mov_b32_e32 v1, s17
.LBB28_19:
	s_andn2_saveexec_b64 s[6:7], s[6:7]
	s_cbranch_execz .LBB28_21
; %bb.20:
	buffer_load_dword v1, off, s[40:43], 0 offset:232 ; 4-byte Folded Reload
	buffer_load_dword v2, off, s[40:43], 0 offset:236 ; 4-byte Folded Reload
	s_mul_i32 s17, s28, s16
	s_ashr_i32 s0, s17, 31
	s_lshr_b32 s0, s0, 27
	s_add_i32 s0, s17, s0
	s_ashr_i32 s0, s0, 5
	v_mov_b32_e32 v3, s11
	s_waitcnt vmcnt(1)
	v_lshl_add_u32 v1, v1, 1, v1
	s_waitcnt vmcnt(0)
	v_ashrrev_i32_e32 v2, 31, v1
	v_lshrrev_b32_e32 v2, 27, v2
	v_add_u32_e32 v1, v1, v2
	v_ashrrev_i32_e32 v1, 5, v1
	v_mad_u64_u32 v[1:2], s[0:1], s0, 3, v[1:2]
	v_ashrrev_i32_e32 v2, 31, v1
	v_lshlrev_b64 v[1:2], 2, v[1:2]
	v_add_co_u32_e64 v1, s[0:1], s10, v1
	v_addc_co_u32_e64 v2, s[0:1], v3, v2, s[0:1]
	global_load_dword v1, v[1:2], off
	v_not_b32_e32 v2, 31
	v_mad_u32_u24 v2, v0, 3, v2
	s_waitcnt vmcnt(0)
	v_lshrrev_b32_e32 v3, v2, v1
	v_mov_b32_e32 v1, s17
.LBB28_21:
	s_or_b64 exec, exec, s[6:7]
.LBB28_22:
	s_andn2_saveexec_b64 s[4:5], s[4:5]
	s_cbranch_execz .LBB28_24
; %bb.23:
	buffer_load_dword v1, off, s[40:43], 0 offset:232 ; 4-byte Folded Reload
	buffer_load_dword v2, off, s[40:43], 0 offset:236 ; 4-byte Folded Reload
	s_mul_i32 s6, s28, s16
	s_ashr_i32 s0, s6, 31
	s_lshr_b32 s0, s0, 27
	s_add_i32 s0, s6, s0
	s_ashr_i32 s0, s0, 5
	v_mov_b32_e32 v3, s11
	s_waitcnt vmcnt(1)
	v_lshl_add_u32 v1, v1, 1, v1
	s_waitcnt vmcnt(0)
	v_ashrrev_i32_e32 v2, 31, v1
	v_lshrrev_b32_e32 v2, 27, v2
	v_add_u32_e32 v1, v1, v2
	v_ashrrev_i32_e32 v1, 5, v1
	v_mad_u64_u32 v[1:2], s[0:1], s0, 3, v[1:2]
	v_ashrrev_i32_e32 v2, 31, v1
	v_lshlrev_b64 v[1:2], 2, v[1:2]
	v_add_co_u32_e64 v1, s[0:1], s10, v1
	v_addc_co_u32_e64 v2, s[0:1], v3, v2, s[0:1]
	global_load_dwordx2 v[1:2], v[1:2], off
	s_mov_b32 s0, 0x2010007
	s_waitcnt vmcnt(0)
	v_perm_b32 v1, v1, v2, s0
	v_and_b32_e32 v3, 0xfff, v1
	v_mov_b32_e32 v1, s6
.LBB28_24:
	s_or_b64 exec, exec, s[4:5]
.LBB28_25:
	s_or_saveexec_b64 s[2:3], s[2:3]
	buffer_load_dword v4, off, s[40:43], 0 offset:232 ; 4-byte Folded Reload
	buffer_load_dword v5, off, s[40:43], 0 offset:236 ; 4-byte Folded Reload
	s_waitcnt vmcnt(0)
	v_mul_u32_u24_e32 v5, 3, v0
	buffer_store_dword v5, off, s[40:43], 0 offset:248 ; 4-byte Folded Spill
	v_lshl_add_u32 v2, v4, 1, v4
	v_ashrrev_i32_e32 v4, 31, v2
	s_xor_b64 exec, exec, s[2:3]
	s_cbranch_execz .LBB28_27
; %bb.26:
	s_mul_i32 s4, s28, s16
	s_ashr_i32 s0, s4, 31
	s_lshr_b32 s0, s0, 27
	v_lshrrev_b32_e32 v1, 27, v4
	s_add_i32 s0, s4, s0
	v_add_u32_e32 v1, v2, v1
	s_ashr_i32 s0, s0, 5
	v_ashrrev_i32_e32 v1, 5, v1
	v_mad_u64_u32 v[5:6], s[0:1], s0, 3, v[1:2]
	v_mov_b32_e32 v1, s11
	v_mul_u32_u24_e32 v3, 3, v0
	v_ashrrev_i32_e32 v6, 31, v5
	v_lshlrev_b64 v[5:6], 2, v[5:6]
	v_add_co_u32_e64 v5, s[0:1], s10, v5
	v_addc_co_u32_e64 v6, s[0:1], v1, v6, s[0:1]
	global_load_dword v1, v[5:6], off
	s_waitcnt vmcnt(0)
	v_lshrrev_b32_e32 v3, v3, v1
	v_mov_b32_e32 v1, s4
.LBB28_27:
	s_or_b64 exec, exec, s[2:3]
	s_mov_b32 s29, 0
	v_mov_b32_e32 v31, 0
	s_cmp_ge_i32 s25, s26
	v_mov_b32_e32 v10, 0
	v_mov_b32_e32 v30, 0
	;; [unrolled: 1-line block ×7, first 2 shown]
	s_cbranch_scc1 .LBB28_48
; %bb.28:
	buffer_load_dword v5, off, s[40:43], 0 offset:232 ; 4-byte Folded Reload
	buffer_load_dword v6, off, s[40:43], 0 offset:236 ; 4-byte Folded Reload
	s_add_i32 s30, s27, s25
	v_cmp_lt_u32_e64 s[2:3], 16, v0
	v_cmp_ne_u32_e64 s[4:5], 20, v0
	s_mul_hi_i32 s31, s16, 12
	s_mul_i32 s33, s16, 12
	s_mov_b32 s34, 0x10001
	s_mov_b32 s35, 0x64006400
	s_movk_i32 s36, 0x3000
	s_movk_i32 s37, 0x2400
	s_mov_b32 s38, 0x7060302
	v_mov_b32_e32 v23, 0
	v_mov_b32_e32 v24, 0
	;; [unrolled: 1-line block ×6, first 2 shown]
	s_waitcnt vmcnt(1)
	v_mov_b32_e32 v7, v5
	v_add_u32_e32 v5, v1, v7
	s_waitcnt vmcnt(0)
	v_ashrrev_i32_e32 v6, 31, v5
	v_lshlrev_b64 v[5:6], 1, v[5:6]
	v_mov_b32_e32 v1, s13
	v_add_co_u32_e64 v5, s[0:1], s12, v5
	v_addc_co_u32_e64 v6, s[0:1], v1, v6, s[0:1]
	global_load_dwordx2 v[5:6], v[5:6], off
	s_lshr_b32 s0, s25, 5
	s_mul_i32 s0, s0, s16
	s_mul_i32 s6, s0, 3
	s_ashr_i32 s7, s6, 31
	s_bitcmp1_b32 s19, 0
	s_cselect_b64 s[0:1], -1, 0
	s_xor_b64 s[0:1], s[0:1], -1
	v_cndmask_b32_e64 v1, 0, 1, s[0:1]
	v_cmp_ne_u32_e64 s[0:1], 8, v0
	v_ashrrev_i32_e32 v8, 31, v7
	s_ashr_i32 s17, s16, 31
	s_lshl_b64 s[6:7], s[6:7], 2
	s_add_u32 s6, s8, s6
	s_addc_u32 s7, s9, s7
	s_lshl_b64 s[8:9], s[16:17], 2
	s_mov_b32 s17, 0x2010007
	s_waitcnt vmcnt(0)
	buffer_store_dword v5, off, s[40:43], 0 offset:204 ; 4-byte Folded Spill
	s_nop 0
	buffer_store_dword v6, off, s[40:43], 0 offset:208 ; 4-byte Folded Spill
	buffer_store_dword v1, off, s[40:43], 0 offset:228 ; 4-byte Folded Spill
	v_bfe_u32 v1, v3, 9, 3
	buffer_store_dword v1, off, s[40:43], 0 offset:212 ; 4-byte Folded Spill
	v_bfe_u32 v1, v3, 6, 3
	;; [unrolled: 2-line block ×3, first 2 shown]
	buffer_store_dword v1, off, s[40:43], 0 offset:220 ; 4-byte Folded Spill
	v_and_b32_e32 v1, 7, v3
	buffer_store_dword v1, off, s[40:43], 0 offset:224 ; 4-byte Folded Spill
	v_lshrrev_b32_e32 v1, 27, v4
	v_add_u32_e32 v1, v2, v1
	v_ashrrev_i32_e32 v1, 5, v1
	buffer_store_dword v1, off, s[40:43], 0 offset:240 ; 4-byte Folded Spill
	s_nop 0
	buffer_store_dword v2, off, s[40:43], 0 offset:244 ; 4-byte Folded Spill
	v_not_b32_e32 v1, 63
	v_mad_u32_u24 v1, v0, 3, v1
	buffer_store_dword v1, off, s[40:43], 0 offset:256 ; 4-byte Folded Spill
	v_not_b32_e32 v1, 31
	v_mad_u32_u24 v0, v0, 3, v1
	buffer_store_dword v0, off, s[40:43], 0 offset:252 ; 4-byte Folded Spill
	v_mov_b32_e32 v0, v7
	buffer_store_dword v0, off, s[40:43], 0 offset:232 ; 4-byte Folded Spill
	s_nop 0
	buffer_store_dword v1, off, s[40:43], 0 offset:236 ; 4-byte Folded Spill
	v_lshlrev_b64 v[0:1], 2, v[7:8]
	v_mov_b32_e32 v2, s7
	v_add_co_u32_e64 v11, s[6:7], s6, v0
	v_addc_co_u32_e64 v12, s[6:7], v2, v1, s[6:7]
	v_mov_b32_e32 v7, 0
	v_mov_b32_e32 v8, 0
	s_branch .LBB28_31
.LBB28_29:                              ;   in Loop: Header=BB28_31 Depth=1
	s_or_b64 exec, exec, s[6:7]
	buffer_load_dword v1, off, s[40:43], 0 offset:232 ; 4-byte Folded Reload
	buffer_load_dword v2, off, s[40:43], 0 offset:236 ; 4-byte Folded Reload
	v_mov_b32_e32 v3, s13
	s_add_i32 s30, s30, s27
	s_waitcnt vmcnt(1)
	v_add_u32_e32 v1, s39, v1
	s_waitcnt vmcnt(0)
	v_ashrrev_i32_e32 v2, 31, v1
	v_lshlrev_b64 v[1:2], 1, v[1:2]
	v_add_co_u32_e64 v1, s[6:7], s12, v1
	v_addc_co_u32_e64 v2, s[6:7], v3, v2, s[6:7]
	global_load_dwordx2 v[1:2], v[1:2], off
	s_waitcnt vmcnt(0)
	buffer_store_dword v1, off, s[40:43], 0 offset:204 ; 4-byte Folded Spill
	s_nop 0
	buffer_store_dword v2, off, s[40:43], 0 offset:208 ; 4-byte Folded Spill
	v_and_b32_e32 v1, 7, v0
	buffer_store_dword v1, off, s[40:43], 0 offset:224 ; 4-byte Folded Spill
	v_bfe_u32 v1, v0, 3, 3
	buffer_store_dword v1, off, s[40:43], 0 offset:220 ; 4-byte Folded Spill
	v_bfe_u32 v1, v0, 6, 3
	v_bfe_u32 v0, v0, 9, 3
	buffer_store_dword v1, off, s[40:43], 0 offset:216 ; 4-byte Folded Spill
	buffer_store_dword v0, off, s[40:43], 0 offset:212 ; 4-byte Folded Spill
.LBB28_30:                              ;   in Loop: Header=BB28_31 Depth=1
	buffer_store_dword v31, off, s[40:43], 0 offset:52 ; 4-byte Folded Spill
	buffer_store_dword v10, off, s[40:43], 0 offset:48 ; 4-byte Folded Spill
	;; [unrolled: 1-line block ×8, first 2 shown]
	buffer_store_dword v11, off, s[40:43], 0 ; 4-byte Folded Spill
	s_nop 0
	buffer_store_dword v12, off, s[40:43], 0 offset:4 ; 4-byte Folded Spill
	buffer_load_dword v0, off, s[40:43], 0  ; 4-byte Folded Reload
	buffer_load_dword v1, off, s[40:43], 0 offset:4 ; 4-byte Folded Reload
	v_mov_b32_e32 v2, s9
	v_mov_b32_e32 v15, 0xe400e400
	s_add_i32 s25, s25, 32
	s_waitcnt vmcnt(0)
	global_load_dwordx4 v[9:12], v[0:1], off
	s_nop 0
	buffer_load_dword v0, off, s[40:43], 0  ; 4-byte Folded Reload
	buffer_load_dword v1, off, s[40:43], 0 offset:4 ; 4-byte Folded Reload
	buffer_load_dword v3, off, s[40:43], 0  ; 4-byte Folded Reload
	buffer_load_dword v4, off, s[40:43], 0 offset:4 ; 4-byte Folded Reload
	s_waitcnt vmcnt(3)
	v_add_co_u32_e64 v0, s[6:7], s8, v0
	s_waitcnt vmcnt(0)
	v_addc_co_u32_e64 v1, s[6:7], v4, v2, s[6:7]
	global_load_dwordx4 v[20:23], v[0:1], off
	v_add_co_u32_e64 v7, s[6:7], s8, v0
	v_addc_co_u32_e64 v8, s[6:7], v1, v2, s[6:7]
	v_lshrrev_b32_e32 v0, 15, v9
	v_and_b32_e32 v4, 0x70007, v9
	v_and_b32_e32 v13, 0x380038, v9
	v_lshrrev_b32_e32 v2, 6, v9
	buffer_store_dword v0, off, s[40:43], 0 offset:80 ; 4-byte Folded Spill
	v_and_b32_e32 v16, 0x70007, v10
	v_and_b32_e32 v17, 0x380038, v10
	v_lshrrev_b32_e32 v1, 6, v10
	v_lshrrev_b32_e32 v0, 15, v10
	global_load_dwordx4 v[7:10], v[7:8], off
	v_and_b32_e32 v24, 0x70007, v11
	buffer_store_dword v0, off, s[40:43], 0 offset:76 ; 4-byte Folded Spill
	v_lshrrev_b32_e32 v0, 15, v11
	buffer_store_dword v0, off, s[40:43], 0 offset:72 ; 4-byte Folded Spill
	v_lshrrev_b32_e32 v0, 15, v12
	buffer_store_dword v0, off, s[40:43], 0 offset:68 ; 4-byte Folded Spill
	v_and_b32_e32 v25, 0x380038, v11
	v_lshrrev_b32_e32 v6, 6, v11
	v_and_b32_e32 v37, 0x380038, v12
	v_and_b32_e32 v34, 0x70007, v12
	v_or_b32_e32 v4, 0x64006400, v4
	v_lshrrev_b32_e32 v5, 6, v12
	s_waitcnt vmcnt(5)
	v_lshrrev_b32_e32 v0, 14, v20
	buffer_store_dword v0, off, s[40:43], 0 offset:96 ; 4-byte Folded Spill
	v_lshrrev_b32_e32 v0, 14, v21
	buffer_store_dword v0, off, s[40:43], 0 offset:92 ; 4-byte Folded Spill
	;; [unrolled: 2-line block ×3, first 2 shown]
	v_and_b32_e32 v0, 0x380038, v23
	buffer_store_dword v0, off, s[40:43], 0 offset:148 ; 4-byte Folded Spill
	v_lshrrev_b32_e32 v0, 14, v23
	buffer_store_dword v0, off, s[40:43], 0 offset:84 ; 4-byte Folded Spill
	v_and_b32_e32 v31, 0x70007, v23
	v_lshrrev_b32_e32 v18, 6, v23
	v_and_b32_e32 v39, 0x70007, v20
	v_and_b32_e32 v26, 0x380038, v20
	s_waitcnt vmcnt(8)
	v_and_b32_e32 v50, 0x70007, v7
	v_and_b32_e32 v0, 0x380038, v7
	v_lshrrev_b32_e32 v44, 6, v7
	v_lshrrev_b32_e32 v3, 13, v7
	;; [unrolled: 1-line block ×3, first 2 shown]
	buffer_store_dword v7, off, s[40:43], 0 offset:140 ; 4-byte Folded Spill
	v_and_b32_e32 v7, 0x380038, v9
	buffer_store_dword v7, off, s[40:43], 0 offset:156 ; 4-byte Folded Spill
	v_lshrrev_b32_e32 v7, 13, v9
	buffer_store_dword v7, off, s[40:43], 0 offset:136 ; 4-byte Folded Spill
	v_lshrrev_b32_e32 v7, 13, v10
	buffer_store_dword v3, off, s[40:43], 0 offset:144 ; 4-byte Folded Spill
	buffer_store_dword v7, off, s[40:43], 0 offset:152 ; 4-byte Folded Spill
	buffer_load_dword v14, off, s[40:43], 0 offset:228 ; 4-byte Folded Reload
	s_nop 0
	buffer_load_dword v7, off, s[40:43], 0 offset:224 ; 4-byte Folded Reload
	v_and_b32_e32 v3, 0x70007, v8
	v_and_b32_e32 v58, 0x380038, v8
	v_lshrrev_b32_e32 v52, 6, v8
	v_and_b32_e32 v53, 0x70007, v9
	v_lshrrev_b32_e32 v42, 6, v9
	v_and_b32_e32 v9, 0x70007, v10
	v_and_b32_e32 v41, 0x380038, v10
	v_lshrrev_b32_e32 v59, 6, v10
	v_lshrrev_b32_e32 v46, 6, v20
	v_and_b32_e32 v38, 0x70007, v21
	v_and_b32_e32 v30, 0x380038, v21
	v_lshrrev_b32_e32 v20, 6, v21
	v_and_b32_e32 v61, 0x70007, v22
	v_and_b32_e32 v21, 0x380038, v22
	v_lshrrev_b32_e32 v19, 6, v22
	v_or_b32_e32 v0, 0x64006400, v0
	s_waitcnt vmcnt(0)
	v_add_u32_e32 v7, v7, v14
	v_cvt_f32_u32_e32 v8, v7
	v_mad_u32_u24 v36, v7, s34, v15
	buffer_load_dword v7, off, s[40:43], 0 offset:220 ; 4-byte Folded Reload
	v_pk_add_f16 v4, v36, v4
	v_cvt_f16_f32_e32 v23, v8
	s_waitcnt vmcnt(0)
	v_add_u32_e32 v7, v7, v14
	v_cvt_f32_u32_e32 v10, v7
	v_mad_u32_u24 v35, v7, s34, v15
	buffer_load_dword v7, off, s[40:43], 0 offset:216 ; 4-byte Folded Reload
	v_cvt_f16_f32_e32 v22, v10
	s_waitcnt vmcnt(0)
	v_add_u32_e32 v7, v7, v14
	v_cvt_f32_u32_e32 v11, v7
	v_mad_u32_u24 v63, v7, s34, v15
	buffer_load_dword v7, off, s[40:43], 0 offset:212 ; 4-byte Folded Reload
	s_waitcnt vmcnt(0)
	v_add_u32_e32 v7, v7, v14
	v_cvt_f32_u32_e32 v14, v7
	v_mad_u32_u24 v62, v7, s34, v15
	v_cvt_f16_f32_e32 v15, v11
	v_sub_f16_e32 v7, 0xd800, v23
	v_cvt_f16_f32_e32 v14, v14
	v_mul_u32_u24_e32 v29, 0x10001, v7
	v_sub_f16_e32 v7, 0xd800, v22
	v_mul_u32_u24_e32 v28, 0x10001, v7
	v_sub_f16_e32 v7, 0xd800, v15
	;; [unrolled: 2-line block ×3, first 2 shown]
	v_mul_u32_u24_e32 v10, 0x10001, v7
	v_or_b32_e32 v7, 0x64006400, v13
	v_or_b32_e32 v13, 0x64006400, v17
	v_pk_fma_f16 v40, v13, s36, v28 op_sel_hi:[1,0,1]
	v_or_b32_e32 v13, 0x64006400, v25
	v_pk_fma_f16 v45, v13, s36, v11 op_sel_hi:[1,0,1]
	;; [unrolled: 2-line block ×3, first 2 shown]
	v_mov_b32_e32 v13, s29
	ds_read2_b32 v[48:49], v13 offset1:1
	v_pk_fma_f16 v8, v7, s36, v29 op_sel_hi:[1,0,1]
	v_or_b32_e32 v7, 0x64006400, v16
	v_pk_add_f16 v17, v35, v7
	v_or_b32_e32 v7, 0x64006400, v24
	v_pk_add_f16 v43, v63, v7
	;; [unrolled: 2-line block ×3, first 2 shown]
	s_waitcnt lgkmcnt(0)
	v_pk_fma_f16 v7, v4, v48, 0
	v_pk_fma_f16 v16, v17, v48, 0
	;; [unrolled: 1-line block ×8, first 2 shown]
	ds_read2_b32 v[48:49], v13 offset0:64 offset1:65
	s_add_i32 s29, s29, 64
	s_cmp_ge_i32 s25, s26
	s_waitcnt lgkmcnt(0)
	v_pk_fma_f16 v51, v4, v48, 0
	v_pk_fma_f16 v32, v8, v49, v51
	;; [unrolled: 1-line block ×3, first 2 shown]
	buffer_store_dword v32, off, s[40:43], 0 offset:120 ; 4-byte Folded Spill
	v_pk_fma_f16 v32, v40, v49, v51
	v_pk_fma_f16 v51, v43, v48, 0
	buffer_store_dword v32, off, s[40:43], 0 offset:124 ; 4-byte Folded Spill
	v_pk_fma_f16 v32, v45, v49, v51
	v_pk_fma_f16 v48, v34, v48, 0
	buffer_store_dword v32, off, s[40:43], 0 offset:128 ; 4-byte Folded Spill
	v_pk_fma_f16 v32, v37, v49, v48
	ds_read2_b32 v[48:49], v13 offset0:128 offset1:129
	buffer_store_dword v32, off, s[40:43], 0 offset:132 ; 4-byte Folded Spill
	s_waitcnt lgkmcnt(0)
	v_pk_fma_f16 v51, v4, v48, 0
	v_pk_fma_f16 v51, v8, v49, v51
	buffer_store_dword v51, off, s[40:43], 0 offset:104 ; 4-byte Folded Spill
	v_pk_fma_f16 v51, v17, v48, 0
	v_pk_fma_f16 v51, v40, v49, v51
	buffer_store_dword v51, off, s[40:43], 0 offset:108 ; 4-byte Folded Spill
	v_pk_fma_f16 v51, v43, v48, 0
	v_pk_fma_f16 v48, v34, v48, 0
	;; [unrolled: 1-line block ×4, first 2 shown]
	buffer_store_dword v48, off, s[40:43], 0 offset:116 ; 4-byte Folded Spill
	ds_read2_b32 v[48:49], v13 offset0:192 offset1:193
	buffer_store_dword v51, off, s[40:43], 0 offset:112 ; 4-byte Folded Spill
	s_waitcnt lgkmcnt(0)
	v_pk_fma_f16 v4, v4, v48, 0
	v_pk_fma_f16 v4, v8, v49, v4
	buffer_store_dword v4, off, s[40:43], 0 offset:100 ; 4-byte Folded Spill
	v_pk_fma_f16 v4, v17, v48, 0
	v_pk_fma_f16 v4, v40, v49, v4
	buffer_store_dword v4, off, s[40:43], 0 offset:64 ; 4-byte Folded Spill
	;; [unrolled: 3-line block ×4, first 2 shown]
	v_and_b32_e32 v4, 0x70007, v2
	v_or_b32_e32 v4, 0x64006400, v4
	v_pk_add_f16 v12, v36, v4
	v_and_b32_e32 v4, 0x70007, v1
	v_and_b32_e32 v8, 0x380038, v2
	v_or_b32_e32 v4, 0x64006400, v4
	v_and_b32_e32 v34, 0x380038, v1
	ds_read2_b32 v[48:49], v13 offset0:2 offset1:3
	v_or_b32_e32 v17, 0x64006400, v8
	v_or_b32_e32 v34, 0x64006400, v34
	v_pk_add_f16 v8, v35, v4
	v_and_b32_e32 v4, 0x70007, v6
	v_pk_fma_f16 v33, v17, s36, v29 op_sel_hi:[1,0,1]
	v_pk_fma_f16 v17, v34, s36, v28 op_sel_hi:[1,0,1]
	v_or_b32_e32 v4, 0x64006400, v4
	v_and_b32_e32 v34, 0x380038, v6
	v_or_b32_e32 v34, 0x64006400, v34
	v_pk_add_f16 v27, v63, v4
	v_and_b32_e32 v4, 0x70007, v5
	v_pk_fma_f16 v32, v34, s36, v11 op_sel_hi:[1,0,1]
	v_or_b32_e32 v4, 0x64006400, v4
	v_and_b32_e32 v34, 0x380038, v5
	v_or_b32_e32 v34, 0x64006400, v34
	v_pk_add_f16 v40, v62, v4
	s_waitcnt lgkmcnt(0)
	v_pk_fma_f16 v4, v12, v48, v7
	v_pk_fma_f16 v43, v34, s36, v10 op_sel_hi:[1,0,1]
	v_pk_fma_f16 v34, v33, v49, v4
	v_pk_fma_f16 v4, v8, v48, v16
	;; [unrolled: 1-line block ×6, first 2 shown]
	buffer_store_dword v40, off, s[40:43], 0 offset:8 ; 4-byte Folded Spill
	v_pk_fma_f16 v40, v43, v49, v4
	v_sub_f16_e32 v4, 0xcc00, v23
	v_mul_u32_u24_e32 v54, 0x10001, v4
	v_sub_f16_e32 v4, 0xcc00, v22
	v_and_b32_e32 v1, 0x1c001c0, v1
	v_mul_u32_u24_e32 v51, 0x10001, v4
	v_sub_f16_e32 v4, 0xcc00, v15
	v_or_b32_e32 v1, 0x64006400, v1
	v_mul_u32_u24_e32 v57, 0x10001, v4
	v_sub_f16_e32 v4, 0xcc00, v14
	v_pk_fma_f16 v14, v1, s37, v51 op_sel_hi:[1,0,1]
	v_and_b32_e32 v1, 0x1c001c0, v6
	v_mul_u32_u24_e32 v56, 0x10001, v4
	v_and_b32_e32 v2, 0x1c001c0, v2
	v_or_b32_e32 v4, 0x64006400, v39
	v_or_b32_e32 v1, 0x64006400, v1
	buffer_store_dword v27, off, s[40:43], 0 offset:16 ; 4-byte Folded Spill
	v_or_b32_e32 v2, 0x64006400, v2
	v_pk_add_f16 v7, v36, v4
	v_or_b32_e32 v4, 0x64006400, v38
	v_or_b32_e32 v6, 0x64006400, v61
	v_pk_fma_f16 v27, v1, s37, v57 op_sel_hi:[1,0,1]
	v_and_b32_e32 v1, 0x1c001c0, v5
	v_or_b32_e32 v5, 0x64006400, v31
	buffer_store_dword v32, off, s[40:43], 0 offset:20 ; 4-byte Folded Spill
	v_pk_fma_f16 v16, v2, s37, v54 op_sel_hi:[1,0,1]
	v_pk_add_f16 v32, v35, v4
	v_pk_add_f16 v2, v63, v6
	;; [unrolled: 1-line block ×3, first 2 shown]
	ds_read2_b32 v[5:6], v13 offset0:4 offset1:5
	v_or_b32_e32 v1, 0x64006400, v1
	v_pk_fma_f16 v22, v1, s37, v56 op_sel_hi:[1,0,1]
	buffer_store_dword v14, off, s[40:43], 0 offset:200 ; 4-byte Folded Spill
	buffer_store_dword v8, off, s[40:43], 0 offset:192 ; 4-byte Folded Spill
	s_waitcnt lgkmcnt(0)
	v_pk_fma_f16 v1, v16, v5, v34
	v_pk_fma_f16 v14, v14, v5, v37
	;; [unrolled: 1-line block ×5, first 2 shown]
	v_mov_b32_e32 v24, v2
	v_mov_b32_e32 v2, v22
	v_pk_fma_f16 v22, v4, v6, v5
	v_mov_b32_e32 v8, v4
	buffer_load_dword v4, off, s[40:43], 0 offset:148 ; 4-byte Folded Reload
	v_pk_fma_f16 v1, v7, v6, v1
	v_pk_fma_f16 v14, v32, v6, v14
	v_and_b32_e32 v6, 0x70007, v46
	v_or_b32_e32 v6, 0x64006400, v6
	v_or_b32_e32 v5, 0x64006400, v26
	v_pk_add_f16 v26, v36, v6
	v_and_b32_e32 v6, 0x70007, v20
	v_or_b32_e32 v6, 0x64006400, v6
	buffer_store_dword v33, off, s[40:43], 0 offset:188 ; 4-byte Folded Spill
	v_pk_fma_f16 v33, v5, s36, v29 op_sel_hi:[1,0,1]
	v_or_b32_e32 v5, 0x64006400, v30
	v_pk_add_f16 v30, v35, v6
	v_and_b32_e32 v6, 0x70007, v19
	v_or_b32_e32 v6, 0x64006400, v6
	v_pk_fma_f16 v25, v5, s36, v28 op_sel_hi:[1,0,1]
	v_or_b32_e32 v5, 0x64006400, v21
	v_pk_add_f16 v21, v63, v6
	v_and_b32_e32 v6, 0x70007, v18
	v_pk_fma_f16 v23, v5, s36, v11 op_sel_hi:[1,0,1]
	v_or_b32_e32 v6, 0x64006400, v6
	buffer_store_dword v17, off, s[40:43], 0 offset:196 ; 4-byte Folded Spill
	v_pk_add_f16 v17, v62, v6
	v_mov_b32_e32 v31, v26
	v_pk_fma_f16 v45, v0, s36, v29 op_sel_hi:[1,0,1]
	v_or_b32_e32 v0, 0x64006400, v3
	v_or_b32_e32 v3, 0x64006400, v58
	buffer_store_dword v43, off, s[40:43], 0 offset:12 ; 4-byte Folded Spill
	s_waitcnt vmcnt(3)
	v_or_b32_e32 v5, 0x64006400, v4
	v_pk_fma_f16 v4, v5, s36, v10 op_sel_hi:[1,0,1]
	ds_read2_b32 v[5:6], v13 offset0:6 offset1:7
	s_waitcnt lgkmcnt(0)
	v_pk_fma_f16 v14, v25, v5, v14
	v_pk_fma_f16 v38, v30, v6, v14
	;; [unrolled: 1-line block ×4, first 2 shown]
	v_and_b32_e32 v14, 0x380038, v20
	v_and_b32_e32 v15, 0x1c001c0, v20
	v_pk_fma_f16 v1, v33, v5, v1
	v_pk_fma_f16 v5, v4, v5, v22
	v_or_b32_e32 v14, 0x64006400, v14
	v_or_b32_e32 v15, 0x64006400, v15
	v_pk_fma_f16 v49, v17, v6, v5
	v_and_b32_e32 v5, 0x380038, v46
	v_pk_fma_f16 v20, v14, s36, v28 op_sel_hi:[1,0,1]
	v_pk_fma_f16 v37, v15, s37, v51 op_sel_hi:[1,0,1]
	v_and_b32_e32 v14, 0x380038, v19
	v_and_b32_e32 v15, 0x1c001c0, v19
	v_or_b32_e32 v5, 0x64006400, v5
	v_or_b32_e32 v14, 0x64006400, v14
	;; [unrolled: 1-line block ×3, first 2 shown]
	v_pk_fma_f16 v55, v5, s36, v29 op_sel_hi:[1,0,1]
	v_pk_fma_f16 v34, v14, s36, v11 op_sel_hi:[1,0,1]
	;; [unrolled: 1-line block ×3, first 2 shown]
	v_and_b32_e32 v14, 0x380038, v18
	v_and_b32_e32 v15, 0x1c001c0, v18
	v_or_b32_e32 v14, 0x64006400, v14
	v_or_b32_e32 v15, 0x64006400, v15
	v_pk_fma_f16 v1, v26, v6, v1
	v_mov_b32_e32 v26, v25
	v_mov_b32_e32 v25, v23
	;; [unrolled: 1-line block ×4, first 2 shown]
	v_pk_fma_f16 v4, v14, s36, v10 op_sel_hi:[1,0,1]
	v_pk_fma_f16 v19, v15, s37, v56 op_sel_hi:[1,0,1]
	ds_read2_b32 v[14:15], v13 offset0:8 offset1:9
	v_and_b32_e32 v6, 0x1c001c0, v46
	v_or_b32_e32 v6, 0x64006400, v6
	v_pk_fma_f16 v60, v6, s37, v54 op_sel_hi:[1,0,1]
	v_mov_b32_e32 v22, v5
	s_waitcnt lgkmcnt(0)
	v_pk_fma_f16 v18, v20, v14, v38
	v_pk_fma_f16 v1, v55, v14, v1
	v_mov_b32_e32 v38, v20
	v_pk_fma_f16 v20, v37, v15, v18
	v_pk_fma_f16 v18, v34, v14, v48
	;; [unrolled: 1-line block ×6, first 2 shown]
	v_or_b32_e32 v15, 0x64006400, v50
	v_pk_add_f16 v50, v35, v0
	buffer_load_dword v0, off, s[40:43], 0 offset:156 ; 4-byte Folded Reload
	v_mov_b32_e32 v5, v19
	v_pk_fma_f16 v49, v3, s36, v28 op_sel_hi:[1,0,1]
	v_or_b32_e32 v3, 0x64006400, v53
	v_pk_add_f16 v40, v63, v3
	v_or_b32_e32 v3, 0x64006400, v9
	v_or_b32_e32 v9, 0x64006400, v41
	v_pk_add_f16 v43, v36, v15
	v_pk_fma_f16 v9, v9, s36, v10 op_sel_hi:[1,0,1]
	s_waitcnt vmcnt(0)
	v_or_b32_e32 v18, 0x64006400, v0
	v_pk_fma_f16 v39, v18, s36, v11 op_sel_hi:[1,0,1]
	ds_read2_b32 v[18:19], v13 offset0:10 offset1:11
	v_pk_add_f16 v0, v62, v3
	v_mov_b32_e32 v15, v0
	s_waitcnt lgkmcnt(0)
	v_pk_fma_f16 v3, v50, v18, v20
	v_pk_fma_f16 v20, v49, v19, v3
	;; [unrolled: 1-line block ×7, first 2 shown]
	v_and_b32_e32 v3, 0x380038, v44
	v_or_b32_e32 v3, 0x64006400, v3
	v_pk_fma_f16 v41, v3, s36, v29 op_sel_hi:[1,0,1]
	v_and_b32_e32 v3, 0x380038, v52
	v_or_b32_e32 v3, 0x64006400, v3
	v_pk_fma_f16 v46, v3, s36, v28 op_sel_hi:[1,0,1]
	v_and_b32_e32 v3, 0x380038, v42
	v_or_b32_e32 v3, 0x64006400, v3
	v_mov_b32_e32 v0, v59
	v_pk_fma_f16 v61, v3, s36, v11 op_sel_hi:[1,0,1]
	v_and_b32_e32 v3, 0x380038, v0
	v_or_b32_e32 v3, 0x64006400, v3
	v_pk_fma_f16 v6, v3, s36, v10 op_sel_hi:[1,0,1]
	v_and_b32_e32 v3, 0x70007, v44
	v_or_b32_e32 v3, 0x64006400, v3
	v_pk_add_f16 v48, v36, v3
	v_and_b32_e32 v3, 0x70007, v52
	v_or_b32_e32 v3, 0x64006400, v3
	v_mov_b32_e32 v14, v9
	v_pk_add_f16 v28, v35, v3
	v_and_b32_e32 v3, 0x70007, v42
	v_and_b32_e32 v9, 0x70007, v0
	v_or_b32_e32 v3, 0x64006400, v3
	v_or_b32_e32 v9, 0x64006400, v9
	v_pk_add_f16 v47, v63, v3
	v_pk_add_f16 v3, v62, v9
	ds_read2_b32 v[9:10], v13 offset0:12 offset1:13
	v_pk_fma_f16 v1, v45, v19, v1
	v_mov_b32_e32 v29, v3
	s_waitcnt lgkmcnt(0)
	v_pk_fma_f16 v1, v48, v9, v1
	v_pk_fma_f16 v11, v28, v9, v20
	;; [unrolled: 1-line block ×5, first 2 shown]
	buffer_load_dword v9, off, s[40:43], 0 offset:96 ; 4-byte Folded Reload
	buffer_load_dword v3, off, s[40:43], 0 offset:144 ; 4-byte Folded Reload
	v_pk_fma_f16 v1, v41, v10, v1
	v_pk_fma_f16 v11, v46, v10, v11
	;; [unrolled: 1-line block ×3, first 2 shown]
	buffer_load_dword v10, off, s[40:43], 0 offset:80 ; 4-byte Folded Reload
	s_waitcnt vmcnt(2)
	v_and_b32_e32 v9, 0x20002, v9
	s_waitcnt vmcnt(0)
	v_and_or_b32 v9, v10, s34, v9
	v_and_b32_e32 v10, 0x40004, v3
	v_or3_b32 v9, v9, v10, s35
	v_and_b32_e32 v10, 0x1c001c0, v44
	v_or_b32_e32 v10, 0x64006400, v10
	v_pk_fma_f16 v53, v10, s37, v54 op_sel_hi:[1,0,1]
	v_pk_add_f16 v54, v36, v9
	buffer_load_dword v9, off, s[40:43], 0 offset:92 ; 4-byte Folded Reload
	buffer_load_dword v3, off, s[40:43], 0 offset:140 ; 4-byte Folded Reload
	;; [unrolled: 1-line block ×3, first 2 shown]
	s_waitcnt vmcnt(2)
	v_and_b32_e32 v9, 0x20002, v9
	s_waitcnt vmcnt(0)
	v_and_or_b32 v9, v10, s34, v9
	v_and_b32_e32 v10, 0x40004, v3
	v_or3_b32 v9, v9, v10, s35
	v_and_b32_e32 v10, 0x1c001c0, v52
	v_or_b32_e32 v10, 0x64006400, v10
	v_pk_add_f16 v52, v35, v9
	buffer_load_dword v9, off, s[40:43], 0 offset:88 ; 4-byte Folded Reload
	buffer_load_dword v3, off, s[40:43], 0 offset:136 ; 4-byte Folded Reload
	v_pk_fma_f16 v51, v10, s37, v51 op_sel_hi:[1,0,1]
	buffer_load_dword v10, off, s[40:43], 0 offset:72 ; 4-byte Folded Reload
	s_waitcnt vmcnt(2)
	v_and_b32_e32 v9, 0x20002, v9
	s_waitcnt vmcnt(0)
	v_and_or_b32 v9, v10, s34, v9
	v_and_b32_e32 v10, 0x40004, v3
	v_or3_b32 v9, v9, v10, s35
	v_and_b32_e32 v10, 0x1c001c0, v42
	v_or_b32_e32 v10, 0x64006400, v10
	v_pk_add_f16 v42, v63, v9
	buffer_load_dword v9, off, s[40:43], 0 offset:84 ; 4-byte Folded Reload
	buffer_load_dword v3, off, s[40:43], 0 offset:152 ; 4-byte Folded Reload
	v_pk_fma_f16 v44, v10, s37, v57 op_sel_hi:[1,0,1]
	buffer_load_dword v10, off, s[40:43], 0 offset:68 ; 4-byte Folded Reload
	v_mov_b32_e32 v57, v12
	s_waitcnt vmcnt(2)
	v_and_b32_e32 v9, 0x20002, v9
	s_waitcnt vmcnt(0)
	v_and_or_b32 v9, v10, s34, v9
	v_and_b32_e32 v10, 0x40004, v3
	v_or3_b32 v9, v9, v10, s35
	v_and_b32_e32 v10, 0x1c001c0, v0
	v_or_b32_e32 v10, 0x64006400, v10
	v_pk_fma_f16 v36, v10, s37, v56 op_sel_hi:[1,0,1]
	v_pk_add_f16 v35, v62, v9
	ds_read2_b32 v[9:10], v13 offset0:14 offset1:15
	buffer_load_dword v3, off, s[40:43], 0 offset:188 ; 4-byte Folded Reload
	s_waitcnt lgkmcnt(0)
	v_pk_fma_f16 v1, v53, v9, v1
	v_pk_fma_f16 v0, v54, v10, v1
	;; [unrolled: 1-line block ×3, first 2 shown]
	buffer_store_dword v0, off, s[40:43], 0 offset:88 ; 4-byte Folded Spill
	v_pk_fma_f16 v0, v52, v10, v1
	v_pk_fma_f16 v1, v44, v9, v19
	;; [unrolled: 1-line block ×3, first 2 shown]
	buffer_store_dword v1, off, s[40:43], 0 offset:68 ; 4-byte Folded Spill
	v_pk_fma_f16 v1, v36, v9, v18
	v_pk_fma_f16 v1, v35, v10, v1
	buffer_store_dword v0, off, s[40:43], 0 offset:92 ; 4-byte Folded Spill
	buffer_store_dword v1, off, s[40:43], 0 offset:72 ; 4-byte Folded Spill
	ds_read2_b32 v[9:10], v13 offset0:66 offset1:67
	buffer_load_dword v1, off, s[40:43], 0 offset:120 ; 4-byte Folded Reload
	buffer_load_dword v62, off, s[40:43], 0 offset:192 ; 4-byte Folded Reload
	;; [unrolled: 1-line block ×11, first 2 shown]
	v_mov_b32_e32 v0, v14
	v_mov_b32_e32 v14, v29
	buffer_store_dword v21, off, s[40:43], 0 offset:172 ; 4-byte Folded Spill
	buffer_store_dword v0, off, s[40:43], 0 offset:160 ; 4-byte Folded Spill
	buffer_store_dword v6, off, s[40:43], 0 offset:148 ; 4-byte Folded Spill
	buffer_store_dword v8, off, s[40:43], 0 offset:184 ; 4-byte Folded Spill
	buffer_store_dword v17, off, s[40:43], 0 offset:176 ; 4-byte Folded Spill
	buffer_store_dword v2, off, s[40:43], 0 offset:180 ; 4-byte Folded Spill
	buffer_store_dword v5, off, s[40:43], 0 offset:168 ; 4-byte Folded Spill
	buffer_store_dword v4, off, s[40:43], 0 offset:164 ; 4-byte Folded Spill
	buffer_store_dword v14, off, s[40:43], 0 offset:156 ; 4-byte Folded Spill
	s_waitcnt vmcnt(19) lgkmcnt(0)
	v_pk_fma_f16 v1, v57, v9, v1
	s_waitcnt vmcnt(17)
	v_pk_fma_f16 v11, v62, v9, v11
	v_pk_fma_f16 v1, v3, v10, v1
	s_waitcnt vmcnt(14)
	v_pk_fma_f16 v12, v19, v9, v12
	;; [unrolled: 3-line block ×4, first 2 shown]
	ds_read2_b32 v[9:10], v13 offset0:68 offset1:69
	s_waitcnt lgkmcnt(0)
	v_pk_fma_f16 v1, v16, v9, v1
	s_waitcnt vmcnt(9)
	v_pk_fma_f16 v11, v59, v9, v11
	v_pk_fma_f16 v12, v27, v9, v12
	v_pk_fma_f16 v9, v2, v9, v18
	v_pk_fma_f16 v1, v7, v10, v1
	v_pk_fma_f16 v11, v32, v10, v11
	v_pk_fma_f16 v12, v24, v10, v12
	v_pk_fma_f16 v18, v8, v10, v9
	ds_read2_b32 v[9:10], v13 offset0:70 offset1:71
	s_waitcnt lgkmcnt(0)
	v_pk_fma_f16 v1, v33, v9, v1
	v_pk_fma_f16 v11, v26, v9, v11
	v_pk_fma_f16 v12, v25, v9, v12
	v_pk_fma_f16 v9, v21, v9, v18
	v_pk_fma_f16 v1, v31, v10, v1
	v_pk_fma_f16 v11, v30, v10, v11
	v_pk_fma_f16 v12, v23, v10, v12
	v_pk_fma_f16 v18, v17, v10, v9
	ds_read2_b32 v[9:10], v13 offset0:72 offset1:73
	s_waitcnt lgkmcnt(0)
	v_pk_fma_f16 v1, v55, v9, v1
	;; [unrolled: 10-line block ×5, first 2 shown]
	v_pk_fma_f16 v11, v51, v9, v11
	v_pk_fma_f16 v29, v54, v10, v1
	;; [unrolled: 1-line block ×5, first 2 shown]
	buffer_store_dword v11, off, s[40:43], 0 offset:76 ; 4-byte Folded Spill
	v_pk_fma_f16 v9, v36, v9, v18
	buffer_load_dword v11, off, s[40:43], 0 offset:104 ; 4-byte Folded Reload
	buffer_load_dword v12, off, s[40:43], 0 offset:108 ; 4-byte Folded Reload
	;; [unrolled: 1-line block ×3, first 2 shown]
	v_pk_fma_f16 v9, v35, v10, v9
	buffer_store_dword v9, off, s[40:43], 0 offset:80 ; 4-byte Folded Spill
	ds_read2_b32 v[9:10], v13 offset0:130 offset1:131
	s_waitcnt vmcnt(3) lgkmcnt(0)
	v_pk_fma_f16 v11, v57, v9, v11
	s_waitcnt vmcnt(2)
	v_pk_fma_f16 v12, v62, v9, v12
	s_waitcnt vmcnt(1)
	v_pk_fma_f16 v18, v19, v9, v18
	buffer_load_dword v19, off, s[40:43], 0 offset:116 ; 4-byte Folded Reload
	v_pk_fma_f16 v11, v3, v10, v11
	v_pk_fma_f16 v12, v63, v10, v12
	;; [unrolled: 1-line block ×3, first 2 shown]
	s_waitcnt vmcnt(0)
	v_pk_fma_f16 v9, v58, v9, v19
	v_pk_fma_f16 v19, v20, v10, v9
	ds_read2_b32 v[9:10], v13 offset0:132 offset1:133
	v_mov_b32_e32 v58, v59
	v_mov_b32_e32 v20, v33
	s_waitcnt lgkmcnt(0)
	v_pk_fma_f16 v11, v16, v9, v11
	v_pk_fma_f16 v12, v59, v9, v12
	;; [unrolled: 1-line block ×8, first 2 shown]
	ds_read2_b32 v[9:10], v13 offset0:134 offset1:135
	v_mov_b32_e32 v59, v24
	v_mov_b32_e32 v24, v26
	;; [unrolled: 1-line block ×3, first 2 shown]
	s_waitcnt lgkmcnt(0)
	v_pk_fma_f16 v11, v33, v9, v11
	v_pk_fma_f16 v12, v26, v9, v12
	;; [unrolled: 1-line block ×8, first 2 shown]
	ds_read2_b32 v[9:10], v13 offset0:136 offset1:137
	v_mov_b32_e32 v26, v25
	v_mov_b32_e32 v25, v23
	v_mov_b32_e32 v23, v37
	v_mov_b32_e32 v31, v38
	s_waitcnt lgkmcnt(0)
	v_pk_fma_f16 v11, v55, v9, v11
	v_pk_fma_f16 v12, v38, v9, v12
	;; [unrolled: 1-line block ×8, first 2 shown]
	ds_read2_b32 v[9:10], v13 offset0:138 offset1:139
	v_mov_b32_e32 v38, v39
	v_mov_b32_e32 v33, v40
	s_waitcnt lgkmcnt(0)
	v_pk_fma_f16 v11, v43, v9, v11
	v_pk_fma_f16 v12, v50, v9, v12
	;; [unrolled: 1-line block ×8, first 2 shown]
	ds_read2_b32 v[9:10], v13 offset0:140 offset1:141
	v_mov_b32_e32 v39, v15
	s_waitcnt lgkmcnt(0)
	v_pk_fma_f16 v11, v48, v9, v11
	v_pk_fma_f16 v12, v28, v9, v12
	;; [unrolled: 1-line block ×8, first 2 shown]
	ds_read2_b32 v[9:10], v13 offset0:142 offset1:143
	buffer_load_dword v6, off, s[40:43], 0 offset:64 ; 4-byte Folded Reload
	s_waitcnt lgkmcnt(0)
	v_pk_fma_f16 v11, v53, v9, v11
	v_pk_fma_f16 v56, v54, v10, v11
	;; [unrolled: 1-line block ×7, first 2 shown]
	buffer_load_dword v9, off, s[40:43], 0 offset:100 ; 4-byte Folded Reload
	v_pk_fma_f16 v37, v42, v10, v11
	ds_read2_b32 v[11:12], v13 offset0:194 offset1:195
	ds_read2_b32 v[17:18], v13 offset0:202 offset1:203
	buffer_store_dword v0, off, s[40:43], 0 offset:84 ; 4-byte Folded Spill
	s_waitcnt vmcnt(2) lgkmcnt(1)
	v_pk_fma_f16 v6, v62, v11, v6
	v_pk_fma_f16 v6, v63, v12, v6
	s_waitcnt vmcnt(1)
	v_pk_fma_f16 v8, v57, v11, v9
	ds_read2_b32 v[9:10], v13 offset0:196 offset1:197
	v_pk_fma_f16 v8, v3, v12, v8
	s_waitcnt lgkmcnt(0)
	v_pk_fma_f16 v8, v16, v9, v8
	v_pk_fma_f16 v16, v7, v10, v8
	ds_read2_b32 v[7:8], v13 offset0:198 offset1:199
	s_waitcnt lgkmcnt(0)
	v_pk_fma_f16 v16, v20, v7, v16
	ds_read2_b32 v[19:20], v13 offset0:200 offset1:201
	v_pk_fma_f16 v16, v2, v8, v16
	v_pk_fma_f16 v2, v58, v9, v6
	;; [unrolled: 1-line block ×4, first 2 shown]
	s_waitcnt lgkmcnt(0)
	v_pk_fma_f16 v5, v55, v19, v16
	ds_read2_b32 v[15:16], v13 offset0:204 offset1:205
	v_pk_fma_f16 v5, v60, v20, v5
	v_pk_fma_f16 v5, v43, v17, v5
	ds_read2_b32 v[13:14], v13 offset0:206 offset1:207
	buffer_load_dword v3, off, s[40:43], 0 offset:88 ; 4-byte Folded Reload
	buffer_load_dword v4, off, s[40:43], 0 offset:92 ; 4-byte Folded Reload
	v_pk_fma_f16 v5, v45, v18, v5
	s_waitcnt lgkmcnt(1)
	v_pk_fma_f16 v5, v48, v15, v5
	v_pk_fma_f16 v2, v30, v8, v2
	;; [unrolled: 1-line block ×4, first 2 shown]
	buffer_load_dword v31, off, s[40:43], 0 offset:52 ; 4-byte Folded Reload
	buffer_load_dword v40, off, s[40:43], 0 offset:204 ; 4-byte Folded Reload
	;; [unrolled: 1-line block ×5, first 2 shown]
	v_pk_fma_f16 v2, v23, v20, v2
	buffer_load_dword v23, off, s[40:43], 0 offset:28 ; 4-byte Folded Reload
	v_pk_fma_f16 v2, v50, v17, v2
	v_pk_fma_f16 v0, v49, v18, v2
	;; [unrolled: 1-line block ×4, first 2 shown]
	s_waitcnt lgkmcnt(0)
	v_pk_fma_f16 v5, v53, v13, v5
	v_pk_fma_f16 v0, v51, v13, v0
	;; [unrolled: 1-line block ×4, first 2 shown]
	s_waitcnt vmcnt(6)
	v_pack_b32_f16 v2, v3, v4
	v_perm_b32 v4, v4, v3, s38
	v_pk_add_f16 v2, v2, v4
	s_waitcnt vmcnt(4)
	v_pk_fma_f16 v31, v2, v40, v31
	v_pack_b32_f16 v2, v29, v1
	v_perm_b32 v1, v1, v29, s38
	v_pk_add_f16 v1, v2, v1
	s_waitcnt vmcnt(2)
	v_pk_fma_f16 v30, v1, v40, v30
	;; [unrolled: 5-line block ×4, first 2 shown]
	buffer_load_dword v0, off, s[40:43], 0 offset:60 ; 4-byte Folded Reload
	buffer_load_dword v1, off, s[40:43], 0 offset:16 ; 4-byte Folded Reload
	s_waitcnt vmcnt(0)
	v_pk_fma_f16 v0, v1, v11, v0
	buffer_load_dword v1, off, s[40:43], 0 offset:20 ; 4-byte Folded Reload
	s_waitcnt vmcnt(0)
	v_pk_fma_f16 v0, v1, v12, v0
	buffer_load_dword v1, off, s[40:43], 0 offset:56 ; 4-byte Folded Reload
	buffer_load_dword v2, off, s[40:43], 0 offset:8 ; 4-byte Folded Reload
	v_pk_fma_f16 v0, v27, v9, v0
	v_pk_fma_f16 v0, v59, v10, v0
	v_pk_fma_f16 v0, v26, v7, v0
	v_pk_fma_f16 v0, v25, v8, v0
	v_pk_fma_f16 v0, v34, v19, v0
	v_pk_fma_f16 v0, v22, v20, v0
	v_pk_fma_f16 v0, v33, v17, v0
	v_pk_fma_f16 v0, v38, v18, v0
	v_pk_fma_f16 v0, v47, v15, v0
	v_pk_fma_f16 v0, v61, v16, v0
	v_pk_fma_f16 v0, v44, v13, v0
	v_pk_fma_f16 v0, v42, v14, v0
	s_waitcnt vmcnt(0)
	v_pk_fma_f16 v1, v2, v11, v1
	buffer_load_dword v2, off, s[40:43], 0 offset:12 ; 4-byte Folded Reload
	s_waitcnt vmcnt(0)
	v_pk_fma_f16 v1, v2, v12, v1
	buffer_load_dword v11, off, s[40:43], 0 ; 4-byte Folded Reload
	buffer_load_dword v12, off, s[40:43], 0 offset:4 ; 4-byte Folded Reload
	buffer_load_dword v2, off, s[40:43], 0 offset:180 ; 4-byte Folded Reload
	s_waitcnt vmcnt(2)
	v_add_co_u32_e64 v11, s[6:7], s33, v11
	s_waitcnt vmcnt(0)
	v_pk_fma_f16 v1, v2, v9, v1
	buffer_load_dword v2, off, s[40:43], 0 offset:184 ; 4-byte Folded Reload
	s_waitcnt vmcnt(0)
	v_pk_fma_f16 v1, v2, v10, v1
	buffer_load_dword v2, off, s[40:43], 0 offset:172 ; 4-byte Folded Reload
	;; [unrolled: 3-line block ×6, first 2 shown]
	v_pk_fma_f16 v1, v39, v17, v1
	s_waitcnt vmcnt(0)
	v_pk_fma_f16 v1, v2, v18, v1
	buffer_load_dword v2, off, s[40:43], 0 offset:156 ; 4-byte Folded Reload
	s_waitcnt vmcnt(0)
	v_pk_fma_f16 v1, v2, v15, v1
	buffer_load_dword v2, off, s[40:43], 0 offset:148 ; 4-byte Folded Reload
	buffer_load_dword v3, off, s[40:43], 0 offset:68 ; 4-byte Folded Reload
	;; [unrolled: 1-line block ×4, first 2 shown]
	s_waitcnt vmcnt(3)
	v_pk_fma_f16 v1, v2, v16, v1
	s_waitcnt vmcnt(1)
	v_pack_b32_f16 v2, v3, v4
	v_perm_b32 v3, v4, v3, s38
	v_pk_add_f16 v2, v2, v3
	buffer_load_dword v3, off, s[40:43], 0 offset:76 ; 4-byte Folded Reload
	buffer_load_dword v4, off, s[40:43], 0 offset:80 ; 4-byte Folded Reload
	s_waitcnt vmcnt(2)
	v_pk_fma_f16 v10, v2, v41, v10
	buffer_load_dword v9, off, s[40:43], 0 offset:40 ; 4-byte Folded Reload
	buffer_load_dword v7, off, s[40:43], 0 offset:24 ; 4-byte Folded Reload
	v_pk_fma_f16 v1, v36, v13, v1
	v_pk_fma_f16 v1, v35, v14, v1
	s_waitcnt vmcnt(2)
	v_pack_b32_f16 v2, v3, v4
	v_perm_b32 v3, v4, v3, s38
	v_pk_add_f16 v2, v2, v3
	buffer_load_dword v3, off, s[40:43], 0 offset:84 ; 4-byte Folded Reload
	buffer_load_dword v8, off, s[40:43], 0 offset:32 ; 4-byte Folded Reload
	s_waitcnt vmcnt(3)
	v_pk_fma_f16 v9, v2, v41, v9
	s_waitcnt vmcnt(1)
	v_pack_b32_f16 v2, v37, v3
	v_perm_b32 v3, v3, v37, s38
	v_pk_add_f16 v2, v2, v3
	s_waitcnt vmcnt(0)
	v_pk_fma_f16 v8, v2, v41, v8
	v_pack_b32_f16 v2, v0, v1
	v_perm_b32 v0, v1, v0, s38
	v_pk_add_f16 v0, v2, v0
	v_pk_fma_f16 v7, v0, v41, v7
	v_mov_b32_e32 v0, s31
	v_addc_co_u32_e64 v12, s[6:7], v12, v0, s[6:7]
	s_cbranch_scc1 .LBB28_48
.LBB28_31:                              ; =>This Inner Loop Header: Depth=1
	s_cmp_lg_u32 s25, s30
	s_cbranch_scc1 .LBB28_30
; %bb.32:                               ;   in Loop: Header=BB28_31 Depth=1
	buffer_load_dword v0, off, s[40:43], 0 offset:240 ; 4-byte Folded Reload
	buffer_load_dword v1, off, s[40:43], 0 offset:244 ; 4-byte Folded Reload
	s_add_i32 s28, s28, 1
	s_mul_i32 s39, s28, s16
	s_ashr_i32 s6, s39, 31
	s_lshr_b32 s6, s6, 27
	s_add_i32 s6, s39, s6
	s_ashr_i32 s6, s6, 5
	v_mov_b32_e32 v2, s11
	s_waitcnt vmcnt(0)
	v_mad_u64_u32 v[0:1], s[6:7], s6, 3, v[0:1]
	v_ashrrev_i32_e32 v1, 31, v0
	v_lshlrev_b64 v[0:1], 2, v[0:1]
	v_add_co_u32_e64 v5, s[6:7], s10, v0
	v_addc_co_u32_e64 v6, s[6:7], v2, v1, s[6:7]
	global_load_dword v1, v[5:6], off
                                        ; implicit-def: $vgpr0
	s_and_saveexec_b64 s[6:7], vcc
	s_xor_b64 s[6:7], exec, s[6:7]
	s_cbranch_execz .LBB28_46
; %bb.33:                               ;   in Loop: Header=BB28_31 Depth=1
                                        ; implicit-def: $vgpr0
	s_and_saveexec_b64 s[18:19], s[0:1]
	s_xor_b64 s[18:19], exec, s[18:19]
	s_cbranch_execz .LBB28_43
; %bb.34:                               ;   in Loop: Header=BB28_31 Depth=1
                                        ; implicit-def: $vgpr0
	s_and_saveexec_b64 s[20:21], s[2:3]
	s_xor_b64 s[20:21], exec, s[20:21]
	s_cbranch_execz .LBB28_40
; %bb.35:                               ;   in Loop: Header=BB28_31 Depth=1
                                        ; implicit-def: $vgpr0
	s_and_saveexec_b64 s[22:23], s[4:5]
	s_xor_b64 s[22:23], exec, s[22:23]
	s_cbranch_execz .LBB28_37
; %bb.36:                               ;   in Loop: Header=BB28_31 Depth=1
	buffer_load_dword v0, off, s[40:43], 0 offset:256 ; 4-byte Folded Reload
                                        ; implicit-def: $vgpr5_vgpr6
	s_waitcnt vmcnt(0)
	v_lshrrev_b32_e32 v0, v0, v1
                                        ; implicit-def: $vgpr1
.LBB28_37:                              ;   in Loop: Header=BB28_31 Depth=1
	s_andn2_saveexec_b64 s[22:23], s[22:23]
	s_cbranch_execz .LBB28_39
; %bb.38:                               ;   in Loop: Header=BB28_31 Depth=1
	global_load_dword v0, v[5:6], off offset:4
	s_waitcnt vmcnt(0)
	v_alignbit_b32 v0, v0, v1, 28
	v_and_b32_e32 v0, 0xfff, v0
.LBB28_39:                              ;   in Loop: Header=BB28_31 Depth=1
	s_or_b64 exec, exec, s[22:23]
                                        ; implicit-def: $vgpr1
.LBB28_40:                              ;   in Loop: Header=BB28_31 Depth=1
	s_andn2_saveexec_b64 s[20:21], s[20:21]
	s_cbranch_execz .LBB28_42
; %bb.41:                               ;   in Loop: Header=BB28_31 Depth=1
	buffer_load_dword v0, off, s[40:43], 0 offset:252 ; 4-byte Folded Reload
	s_waitcnt vmcnt(0)
	v_lshrrev_b32_e32 v0, v0, v1
.LBB28_42:                              ;   in Loop: Header=BB28_31 Depth=1
	s_or_b64 exec, exec, s[20:21]
                                        ; implicit-def: $vgpr5_vgpr6
                                        ; implicit-def: $vgpr1
.LBB28_43:                              ;   in Loop: Header=BB28_31 Depth=1
	s_andn2_saveexec_b64 s[18:19], s[18:19]
	s_cbranch_execz .LBB28_45
; %bb.44:                               ;   in Loop: Header=BB28_31 Depth=1
	global_load_dword v0, v[5:6], off offset:4
	s_waitcnt vmcnt(0)
	v_perm_b32 v0, v1, v0, s17
	v_and_b32_e32 v0, 0xfff, v0
.LBB28_45:                              ;   in Loop: Header=BB28_31 Depth=1
	s_or_b64 exec, exec, s[18:19]
                                        ; implicit-def: $vgpr1
.LBB28_46:                              ;   in Loop: Header=BB28_31 Depth=1
	s_andn2_saveexec_b64 s[6:7], s[6:7]
	s_cbranch_execz .LBB28_29
; %bb.47:                               ;   in Loop: Header=BB28_31 Depth=1
	buffer_load_dword v0, off, s[40:43], 0 offset:248 ; 4-byte Folded Reload
	s_waitcnt vmcnt(0)
	v_lshrrev_b32_e32 v0, v0, v1
	s_branch .LBB28_29
.LBB28_48:
	buffer_load_dword v0, off, s[40:43], 0 offset:232 ; 4-byte Folded Reload
	buffer_load_dword v1, off, s[40:43], 0 offset:236 ; 4-byte Folded Reload
	s_mul_i32 s24, s24, s16
	v_mov_b32_e32 v3, s15
	s_mov_b64 s[0:1], 0
	s_waitcnt vmcnt(1)
	v_add_u32_e32 v0, s24, v0
	s_waitcnt vmcnt(0)
	v_ashrrev_i32_e32 v1, 31, v0
	v_lshlrev_b64 v[1:2], 1, v[0:1]
	v_add_co_u32_e32 v1, vcc, s14, v1
	v_addc_co_u32_e32 v2, vcc, v3, v2, vcc
	global_load_dword v4, v[1:2], off
.LBB28_49:                              ; =>This Inner Loop Header: Depth=1
	s_waitcnt vmcnt(0)
	v_pk_add_f16 v3, v31, v4
	global_atomic_cmpswap v3, v[1:2], v[3:4], off glc
	s_waitcnt vmcnt(0)
	v_cmp_eq_u32_e32 vcc, v4, v3
	s_or_b64 s[0:1], vcc, s[0:1]
	v_mov_b32_e32 v4, v3
	s_andn2_b64 exec, exec, s[0:1]
	s_cbranch_execnz .LBB28_49
; %bb.50:
	s_or_b64 exec, exec, s[0:1]
	global_load_dword v4, v[1:2], off offset:4
	s_mov_b64 s[0:1], 0
.LBB28_51:                              ; =>This Inner Loop Header: Depth=1
	s_waitcnt vmcnt(0)
	v_pk_add_f16 v3, v10, v4
	global_atomic_cmpswap v3, v[1:2], v[3:4], off offset:4 glc
	s_waitcnt vmcnt(0)
	v_cmp_eq_u32_e32 vcc, v4, v3
	s_or_b64 s[0:1], vcc, s[0:1]
	v_mov_b32_e32 v4, v3
	s_andn2_b64 exec, exec, s[0:1]
	s_cbranch_execnz .LBB28_51
; %bb.52:
	s_or_b64 exec, exec, s[0:1]
	v_add_u32_e32 v0, s16, v0
	v_ashrrev_i32_e32 v1, 31, v0
	v_lshlrev_b64 v[1:2], 1, v[0:1]
	v_mov_b32_e32 v3, s15
	v_add_co_u32_e32 v1, vcc, s14, v1
	v_addc_co_u32_e32 v2, vcc, v3, v2, vcc
	global_load_dword v4, v[1:2], off
	s_mov_b64 s[0:1], 0
.LBB28_53:                              ; =>This Inner Loop Header: Depth=1
	s_waitcnt vmcnt(0)
	v_pk_add_f16 v3, v30, v4
	global_atomic_cmpswap v3, v[1:2], v[3:4], off glc
	s_waitcnt vmcnt(0)
	v_cmp_eq_u32_e32 vcc, v4, v3
	s_or_b64 s[0:1], vcc, s[0:1]
	v_mov_b32_e32 v4, v3
	s_andn2_b64 exec, exec, s[0:1]
	s_cbranch_execnz .LBB28_53
; %bb.54:
	s_or_b64 exec, exec, s[0:1]
	global_load_dword v4, v[1:2], off offset:4
	s_mov_b64 s[0:1], 0
.LBB28_55:                              ; =>This Inner Loop Header: Depth=1
	s_waitcnt vmcnt(0)
	v_pk_add_f16 v3, v9, v4
	global_atomic_cmpswap v3, v[1:2], v[3:4], off offset:4 glc
	s_waitcnt vmcnt(0)
	v_cmp_eq_u32_e32 vcc, v4, v3
	s_or_b64 s[0:1], vcc, s[0:1]
	v_mov_b32_e32 v4, v3
	s_andn2_b64 exec, exec, s[0:1]
	s_cbranch_execnz .LBB28_55
; %bb.56:
	s_or_b64 exec, exec, s[0:1]
	v_add_u32_e32 v0, s16, v0
	v_ashrrev_i32_e32 v1, 31, v0
	v_lshlrev_b64 v[1:2], 1, v[0:1]
	v_mov_b32_e32 v3, s15
	v_add_co_u32_e32 v1, vcc, s14, v1
	v_addc_co_u32_e32 v2, vcc, v3, v2, vcc
	global_load_dword v4, v[1:2], off
	s_mov_b64 s[0:1], 0
	;; [unrolled: 34-line block ×3, first 2 shown]
.LBB28_61:                              ; =>This Inner Loop Header: Depth=1
	s_waitcnt vmcnt(0)
	v_pk_add_f16 v2, v23, v3
	global_atomic_cmpswap v2, v[0:1], v[2:3], off glc
	s_waitcnt vmcnt(0)
	v_cmp_eq_u32_e32 vcc, v3, v2
	s_or_b64 s[0:1], vcc, s[0:1]
	v_mov_b32_e32 v3, v2
	s_andn2_b64 exec, exec, s[0:1]
	s_cbranch_execnz .LBB28_61
; %bb.62:
	s_or_b64 exec, exec, s[0:1]
	global_load_dword v3, v[0:1], off offset:4
	s_mov_b64 s[0:1], 0
.LBB28_63:                              ; =>This Inner Loop Header: Depth=1
	s_waitcnt vmcnt(0)
	v_pk_add_f16 v2, v7, v3
	global_atomic_cmpswap v2, v[0:1], v[2:3], off offset:4 glc
	s_waitcnt vmcnt(0)
	v_cmp_eq_u32_e32 vcc, v3, v2
	s_or_b64 s[0:1], vcc, s[0:1]
	v_mov_b32_e32 v3, v2
	s_andn2_b64 exec, exec, s[0:1]
	s_cbranch_execnz .LBB28_63
.LBB28_64:
	s_endpgm
	.section	.rodata,"a",@progbits
	.p2align	6, 0x0
	.amdhsa_kernel _ZN4vllm4gptq33gemm_half_q_half_gptq_3bit_kernelILb1ELi4EEEvPK6__halfPKjS6_S4_PS2_iiiibPKi
		.amdhsa_group_segment_fixed_size 1024
		.amdhsa_private_segment_fixed_size 264
		.amdhsa_kernarg_size 72
		.amdhsa_user_sgpr_count 6
		.amdhsa_user_sgpr_private_segment_buffer 1
		.amdhsa_user_sgpr_dispatch_ptr 0
		.amdhsa_user_sgpr_queue_ptr 0
		.amdhsa_user_sgpr_kernarg_segment_ptr 1
		.amdhsa_user_sgpr_dispatch_id 0
		.amdhsa_user_sgpr_flat_scratch_init 0
		.amdhsa_user_sgpr_private_segment_size 0
		.amdhsa_uses_dynamic_stack 0
		.amdhsa_system_sgpr_private_segment_wavefront_offset 1
		.amdhsa_system_sgpr_workgroup_id_x 1
		.amdhsa_system_sgpr_workgroup_id_y 1
		.amdhsa_system_sgpr_workgroup_id_z 1
		.amdhsa_system_sgpr_workgroup_info 0
		.amdhsa_system_vgpr_workitem_id 0
		.amdhsa_next_free_vgpr 64
		.amdhsa_next_free_sgpr 44
		.amdhsa_reserve_vcc 1
		.amdhsa_reserve_flat_scratch 0
		.amdhsa_float_round_mode_32 0
		.amdhsa_float_round_mode_16_64 0
		.amdhsa_float_denorm_mode_32 3
		.amdhsa_float_denorm_mode_16_64 3
		.amdhsa_dx10_clamp 1
		.amdhsa_ieee_mode 1
		.amdhsa_fp16_overflow 0
		.amdhsa_exception_fp_ieee_invalid_op 0
		.amdhsa_exception_fp_denorm_src 0
		.amdhsa_exception_fp_ieee_div_zero 0
		.amdhsa_exception_fp_ieee_overflow 0
		.amdhsa_exception_fp_ieee_underflow 0
		.amdhsa_exception_fp_ieee_inexact 0
		.amdhsa_exception_int_div_zero 0
	.end_amdhsa_kernel
	.section	.text._ZN4vllm4gptq33gemm_half_q_half_gptq_3bit_kernelILb1ELi4EEEvPK6__halfPKjS6_S4_PS2_iiiibPKi,"axG",@progbits,_ZN4vllm4gptq33gemm_half_q_half_gptq_3bit_kernelILb1ELi4EEEvPK6__halfPKjS6_S4_PS2_iiiibPKi,comdat
.Lfunc_end28:
	.size	_ZN4vllm4gptq33gemm_half_q_half_gptq_3bit_kernelILb1ELi4EEEvPK6__halfPKjS6_S4_PS2_iiiibPKi, .Lfunc_end28-_ZN4vllm4gptq33gemm_half_q_half_gptq_3bit_kernelILb1ELi4EEEvPK6__halfPKjS6_S4_PS2_iiiibPKi
                                        ; -- End function
	.set _ZN4vllm4gptq33gemm_half_q_half_gptq_3bit_kernelILb1ELi4EEEvPK6__halfPKjS6_S4_PS2_iiiibPKi.num_vgpr, 64
	.set _ZN4vllm4gptq33gemm_half_q_half_gptq_3bit_kernelILb1ELi4EEEvPK6__halfPKjS6_S4_PS2_iiiibPKi.num_agpr, 0
	.set _ZN4vllm4gptq33gemm_half_q_half_gptq_3bit_kernelILb1ELi4EEEvPK6__halfPKjS6_S4_PS2_iiiibPKi.numbered_sgpr, 44
	.set _ZN4vllm4gptq33gemm_half_q_half_gptq_3bit_kernelILb1ELi4EEEvPK6__halfPKjS6_S4_PS2_iiiibPKi.num_named_barrier, 0
	.set _ZN4vllm4gptq33gemm_half_q_half_gptq_3bit_kernelILb1ELi4EEEvPK6__halfPKjS6_S4_PS2_iiiibPKi.private_seg_size, 264
	.set _ZN4vllm4gptq33gemm_half_q_half_gptq_3bit_kernelILb1ELi4EEEvPK6__halfPKjS6_S4_PS2_iiiibPKi.uses_vcc, 1
	.set _ZN4vllm4gptq33gemm_half_q_half_gptq_3bit_kernelILb1ELi4EEEvPK6__halfPKjS6_S4_PS2_iiiibPKi.uses_flat_scratch, 0
	.set _ZN4vllm4gptq33gemm_half_q_half_gptq_3bit_kernelILb1ELi4EEEvPK6__halfPKjS6_S4_PS2_iiiibPKi.has_dyn_sized_stack, 0
	.set _ZN4vllm4gptq33gemm_half_q_half_gptq_3bit_kernelILb1ELi4EEEvPK6__halfPKjS6_S4_PS2_iiiibPKi.has_recursion, 0
	.set _ZN4vllm4gptq33gemm_half_q_half_gptq_3bit_kernelILb1ELi4EEEvPK6__halfPKjS6_S4_PS2_iiiibPKi.has_indirect_call, 0
	.section	.AMDGPU.csdata,"",@progbits
; Kernel info:
; codeLenInByte = 9224
; TotalNumSgprs: 48
; NumVgprs: 64
; ScratchSize: 264
; MemoryBound: 0
; FloatMode: 240
; IeeeMode: 1
; LDSByteSize: 1024 bytes/workgroup (compile time only)
; SGPRBlocks: 5
; VGPRBlocks: 15
; NumSGPRsForWavesPerEU: 48
; NumVGPRsForWavesPerEU: 64
; Occupancy: 4
; WaveLimiterHint : 0
; COMPUTE_PGM_RSRC2:SCRATCH_EN: 1
; COMPUTE_PGM_RSRC2:USER_SGPR: 6
; COMPUTE_PGM_RSRC2:TRAP_HANDLER: 0
; COMPUTE_PGM_RSRC2:TGID_X_EN: 1
; COMPUTE_PGM_RSRC2:TGID_Y_EN: 1
; COMPUTE_PGM_RSRC2:TGID_Z_EN: 1
; COMPUTE_PGM_RSRC2:TIDIG_COMP_CNT: 0
	.section	.text._ZN4vllm4gptq33gemm_half_q_half_gptq_4bit_kernelILb1ELi4EEEvPK6__halfPKjS6_S4_PS2_iiiibPKi,"axG",@progbits,_ZN4vllm4gptq33gemm_half_q_half_gptq_4bit_kernelILb1ELi4EEEvPK6__halfPKjS6_S4_PS2_iiiibPKi,comdat
	.protected	_ZN4vllm4gptq33gemm_half_q_half_gptq_4bit_kernelILb1ELi4EEEvPK6__halfPKjS6_S4_PS2_iiiibPKi ; -- Begin function _ZN4vllm4gptq33gemm_half_q_half_gptq_4bit_kernelILb1ELi4EEEvPK6__halfPKjS6_S4_PS2_iiiibPKi
	.globl	_ZN4vllm4gptq33gemm_half_q_half_gptq_4bit_kernelILb1ELi4EEEvPK6__halfPKjS6_S4_PS2_iiiibPKi
	.p2align	8
	.type	_ZN4vllm4gptq33gemm_half_q_half_gptq_4bit_kernelILb1ELi4EEEvPK6__halfPKjS6_S4_PS2_iiiibPKi,@function
_ZN4vllm4gptq33gemm_half_q_half_gptq_4bit_kernelILb1ELi4EEEvPK6__halfPKjS6_S4_PS2_iiiibPKi: ; @_ZN4vllm4gptq33gemm_half_q_half_gptq_4bit_kernelILb1ELi4EEEvPK6__halfPKjS6_S4_PS2_iiiibPKi
; %bb.0:
	s_load_dwordx4 s[16:19], s[4:5], 0x2c
	s_lshl_b32 s24, s8, 7
	s_add_i32 s0, s24, 0x80
	v_cvt_f64_u32_e32 v[1:2], s0
	s_load_dwordx8 s[8:15], s[4:5], 0x8
	s_waitcnt lgkmcnt(0)
	v_cvt_f64_i32_e32 v[3:4], s17
	s_lshl_b32 s7, s7, 2
	v_min_f64 v[1:2], v[1:2], v[3:4]
	v_cvt_i32_f64_e32 v2, v[1:2]
	v_add_u32_e32 v1, s24, v0
	v_readfirstlane_b32 s25, v2
	v_cmp_lt_u32_e32 vcc, v1, v2
	s_and_saveexec_b64 s[2:3], vcc
	s_cbranch_execz .LBB29_10
; %bb.1:
	s_load_dwordx2 s[0:1], s[4:5], 0x40
	s_load_dwordx2 s[20:21], s[4:5], 0x0
	v_mov_b32_e32 v2, 0
	v_lshlrev_b64 v[3:4], 2, v[1:2]
	s_waitcnt lgkmcnt(0)
	v_mov_b32_e32 v5, s1
	v_add_co_u32_e32 v3, vcc, s0, v3
	s_cmp_lg_u64 s[0:1], 0
	v_addc_co_u32_e32 v4, vcc, v5, v4, vcc
	v_mov_b32_e32 v6, v2
	s_cselect_b64 s[4:5], -1, 0
	s_cmp_eq_u64 s[0:1], 0
	v_mov_b32_e32 v5, v1
	s_cbranch_scc1 .LBB29_3
; %bb.2:
	global_load_dword v5, v[3:4], off
	s_waitcnt vmcnt(0)
	v_ashrrev_i32_e32 v6, 31, v5
.LBB29_3:
	s_mul_i32 s22, s7, s17
	s_ashr_i32 s23, s22, 31
	s_lshl_b64 s[0:1], s[22:23], 1
	s_add_u32 s0, s20, s0
	v_lshlrev_b64 v[5:6], 1, v[5:6]
	s_addc_u32 s1, s21, s1
	v_mov_b32_e32 v7, s1
	v_add_co_u32_e32 v5, vcc, s0, v5
	v_addc_co_u32_e32 v6, vcc, v7, v6, vcc
	global_load_ushort v5, v[5:6], off
	v_lshlrev_b32_e32 v7, 1, v0
	v_cndmask_b32_e64 v6, 0, 1, s[4:5]
	v_cmp_ne_u32_e64 s[0:1], 1, v6
	s_andn2_b64 vcc, exec, s[4:5]
	s_waitcnt vmcnt(0)
	ds_write_b16 v7, v5
	v_mov_b32_e32 v6, v2
	v_mov_b32_e32 v5, v1
	s_cbranch_vccnz .LBB29_5
; %bb.4:
	global_load_dword v5, v[3:4], off
	s_waitcnt vmcnt(0)
	v_ashrrev_i32_e32 v6, 31, v5
.LBB29_5:
	s_add_i32 s4, s22, s17
	s_ashr_i32 s5, s4, 31
	s_lshl_b64 s[22:23], s[4:5], 1
	s_add_u32 s5, s20, s22
	v_lshlrev_b64 v[5:6], 1, v[5:6]
	s_addc_u32 s22, s21, s23
	v_mov_b32_e32 v8, s22
	v_add_co_u32_e32 v5, vcc, s5, v5
	v_addc_co_u32_e32 v6, vcc, v8, v6, vcc
	global_load_ushort v5, v[5:6], off
	s_and_b64 vcc, exec, s[0:1]
	s_waitcnt vmcnt(0)
	ds_write_b16 v7, v5 offset:256
	v_mov_b32_e32 v6, v2
	v_mov_b32_e32 v5, v1
	s_cbranch_vccnz .LBB29_7
; %bb.6:
	global_load_dword v5, v[3:4], off
	s_waitcnt vmcnt(0)
	v_ashrrev_i32_e32 v6, 31, v5
.LBB29_7:
	s_add_i32 s4, s4, s17
	s_ashr_i32 s5, s4, 31
	s_lshl_b64 s[22:23], s[4:5], 1
	s_add_u32 s5, s20, s22
	v_lshlrev_b64 v[5:6], 1, v[5:6]
	s_addc_u32 s22, s21, s23
	v_mov_b32_e32 v8, s22
	v_add_co_u32_e32 v5, vcc, s5, v5
	v_addc_co_u32_e32 v6, vcc, v8, v6, vcc
	global_load_ushort v5, v[5:6], off
	s_and_b64 vcc, exec, s[0:1]
	s_waitcnt vmcnt(0)
	ds_write_b16 v7, v5 offset:512
	s_cbranch_vccnz .LBB29_9
; %bb.8:
	global_load_dword v1, v[3:4], off
	s_waitcnt vmcnt(0)
	v_ashrrev_i32_e32 v2, 31, v1
.LBB29_9:
	s_add_i32 s0, s4, s17
	s_ashr_i32 s1, s0, 31
	s_lshl_b64 s[0:1], s[0:1], 1
	s_add_u32 s0, s20, s0
	v_lshlrev_b64 v[1:2], 1, v[1:2]
	s_addc_u32 s1, s21, s1
	v_mov_b32_e32 v3, s1
	v_add_co_u32_e32 v1, vcc, s0, v1
	v_addc_co_u32_e32 v2, vcc, v3, v2, vcc
	global_load_ushort v1, v[1:2], off
	s_waitcnt vmcnt(0)
	ds_write_b16 v7, v1 offset:768
.LBB29_10:
	s_or_b64 exec, exec, s[2:3]
	v_lshlrev_b32_e32 v1, 2, v0
	v_lshl_add_u32 v1, s6, 9, v1
	v_cmp_gt_i32_e32 vcc, s16, v1
	s_and_saveexec_b64 s[0:1], vcc
	s_cbranch_execz .LBB29_32
; %bb.11:
	s_abs_i32 s0, s18
	v_cvt_f32_u32_e32 v2, s0
	v_mov_b32_e32 v10, 0
	v_mov_b32_e32 v11, 0
	;; [unrolled: 1-line block ×3, first 2 shown]
	v_rcp_iflag_f32_e32 v2, v2
	v_mov_b32_e32 v9, 0
	v_mov_b32_e32 v12, 0
	s_cmp_ge_i32 s24, s25
	v_mul_f32_e32 v2, 0x4f7ffffe, v2
	v_cvt_u32_f32_e32 v2, v2
	v_mov_b32_e32 v13, 0
	v_mov_b32_e32 v15, 0
	;; [unrolled: 1-line block ×3, first 2 shown]
	v_readfirstlane_b32 s1, v2
	v_mov_b32_e32 v17, 0
	v_mov_b32_e32 v18, 0
	;; [unrolled: 1-line block ×8, first 2 shown]
	s_waitcnt lgkmcnt(0)
	s_barrier
	s_cbranch_scc1 .LBB29_16
; %bb.12:
	s_sub_i32 s5, 0, s0
	s_mul_i32 s5, s5, s1
	s_mul_hi_u32 s5, s1, s5
	s_abs_i32 s4, s17
	s_add_i32 s1, s1, s5
	s_ashr_i32 s2, s17, 31
	s_ashr_i32 s3, s18, 31
	s_mul_hi_u32 s1, s4, s1
	s_xor_b32 s2, s2, s3
	s_mul_i32 s3, s1, s0
	s_sub_i32 s3, s4, s3
	s_add_i32 s4, s1, 1
	s_sub_i32 s5, s3, s0
	s_cmp_ge_u32 s3, s0
	s_cselect_b32 s1, s4, s1
	s_cselect_b32 s3, s5, s3
	s_add_i32 s4, s1, 1
	s_cmp_ge_u32 s3, s0
	s_cselect_b32 s0, s4, s1
	s_xor_b32 s0, s0, s2
	s_sub_i32 s4, s0, s2
	v_cvt_f32_u32_e32 v3, s4
	s_bitcmp1_b32 s19, 0
	s_cselect_b64 s[0:1], -1, 0
	s_sub_i32 s2, 0, s4
	v_rcp_iflag_f32_e32 v3, v3
	s_xor_b64 s[0:1], s[0:1], -1
	v_ashrrev_i32_e32 v2, 31, v1
	v_lshrrev_b32_e32 v4, 29, v2
	v_mul_f32_e32 v3, 0x4f7ffffe, v3
	v_cvt_u32_f32_e32 v3, v3
	v_add_u32_e32 v4, v1, v4
	v_ashrrev_i32_e32 v14, 3, v4
	v_mov_b32_e32 v5, s13
	v_readfirstlane_b32 s3, v3
	s_mul_i32 s2, s2, s3
	s_mul_hi_u32 s2, s3, s2
	s_add_i32 s3, s3, s2
	s_mul_hi_u32 s2, s24, s3
	s_mul_i32 s3, s2, s4
	s_sub_i32 s3, s24, s3
	s_add_i32 s5, s2, 1
	s_sub_i32 s6, s3, s4
	s_cmp_ge_u32 s3, s4
	s_cselect_b32 s2, s5, s2
	s_cselect_b32 s3, s6, s3
	s_add_i32 s5, s2, 1
	s_cmp_ge_u32 s3, s4
	s_cselect_b32 s5, s5, s2
	s_mul_i32 s2, s5, s16
	s_ashr_i32 s3, s2, 31
	s_lshr_b32 s3, s3, 29
	s_add_i32 s3, s2, s3
	s_ashr_i32 s3, s3, 3
	v_add_u32_e32 v3, s3, v14
	v_ashrrev_i32_e32 v4, 31, v3
	v_lshlrev_b64 v[6:7], 2, v[3:4]
	v_add_u32_e32 v3, s2, v1
	v_ashrrev_i32_e32 v4, 31, v3
	v_lshlrev_b64 v[3:4], 1, v[3:4]
	v_mov_b32_e32 v8, s11
	v_add_co_u32_e32 v3, vcc, s12, v3
	v_addc_co_u32_e32 v4, vcc, v5, v4, vcc
	v_add_co_u32_e32 v6, vcc, s10, v6
	v_addc_co_u32_e32 v7, vcc, v8, v7, vcc
	global_load_dwordx2 v[4:5], v[3:4], off
	v_cndmask_b32_e64 v26, 0, 1, s[0:1]
	global_load_dword v6, v[6:7], off
	s_lshr_b32 s0, s24, 3
	s_mul_i32 s0, s16, s0
	s_ashr_i32 s1, s0, 31
	v_lshlrev_b32_e32 v7, 4, v0
	s_lshl_b64 s[0:1], s[0:1], 2
	v_and_b32_e32 v25, 16, v7
	v_lshlrev_b64 v[2:3], 2, v[1:2]
	s_add_u32 s20, s8, s0
	s_addc_u32 s0, s9, s1
	s_mov_b32 s18, 0x10001
	v_mov_b32_e32 v0, 0xe400e400
	v_mov_b32_e32 v10, s0
	v_add_co_u32_e32 v2, vcc, s20, v2
	v_addc_co_u32_e32 v3, vcc, v10, v3, vcc
	s_ashr_i32 s17, s16, 31
	s_mov_b32 s6, 0
	s_movk_i32 s19, 0x2c00
	v_mov_b32_e32 v23, 0
	v_mov_b32_e32 v24, 0
	;; [unrolled: 1-line block ×14, first 2 shown]
	s_add_i32 s8, s4, s24
	s_lshl_b64 s[0:1], s[16:17], 4
	s_lshl_b64 s[2:3], s[16:17], 2
	v_mov_b32_e32 v11, 0
	s_waitcnt vmcnt(1)
	v_cvt_f32_f16_sdwa v29, v4 dst_sel:DWORD dst_unused:UNUSED_PAD src0_sel:WORD_1
	v_cvt_f32_f16_e32 v30, v4
	s_waitcnt vmcnt(0)
	v_lshrrev_b32_e32 v4, v7, v6
	v_cvt_f32_f16_sdwa v27, v5 dst_sel:DWORD dst_unused:UNUSED_PAD src0_sel:WORD_1
	v_cvt_f32_f16_e32 v28, v5
	v_bfe_u32 v5, v6, v25, 4
	v_bfe_u32 v6, v4, 12, 4
	;; [unrolled: 1-line block ×4, first 2 shown]
	v_add_u32_e32 v5, v5, v26
	v_add_u32_e32 v6, v6, v26
	;; [unrolled: 1-line block ×4, first 2 shown]
	v_cvt_f32_ubyte0_e32 v10, v5
	v_mad_u32_u24 v31, v5, s18, v0
	v_cvt_f32_ubyte0_e32 v5, v6
	v_mad_u32_u24 v34, v6, s18, v0
	;; [unrolled: 2-line block ×4, first 2 shown]
	v_cvt_f16_f32_e32 v4, v10
	v_cvt_f16_f32_e32 v5, v5
	;; [unrolled: 1-line block ×4, first 2 shown]
	v_sub_f16_e32 v4, 0xd400, v4
	v_sub_f16_e32 v5, 0xd400, v5
	;; [unrolled: 1-line block ×4, first 2 shown]
	v_mul_u32_u24_e32 v35, 0x10001, v4
	v_mul_u32_u24_e32 v36, 0x10001, v5
	;; [unrolled: 1-line block ×4, first 2 shown]
	v_mov_b32_e32 v10, 0
	s_branch .LBB29_14
.LBB29_13:                              ;   in Loop: Header=BB29_14 Depth=1
	global_load_dwordx4 v[45:48], v[2:3], off
	s_add_i32 s24, s24, 32
	s_waitcnt vmcnt(0)
	v_lshrrev_b32_e32 v6, 8, v45
	v_and_b32_e32 v5, 0xf000f0, v45
	v_and_b32_e32 v7, 0xf000f, v6
	;; [unrolled: 1-line block ×4, first 2 shown]
	v_or_b32_e32 v5, 0x64006400, v5
	v_or_b32_e32 v40, 0x64006400, v6
	;; [unrolled: 1-line block ×4, first 2 shown]
	v_pk_fma_f16 v7, v5, s19, v35 op_sel_hi:[1,0,1]
	v_pk_fma_f16 v5, v40, s19, v35 op_sel_hi:[1,0,1]
	v_and_b32_e32 v40, 0xf000f0, v46
	v_pk_add_f16 v6, v31, v4
	v_pk_add_f16 v4, v31, v39
	v_and_b32_e32 v39, 0xf000f, v46
	v_or_b32_e32 v41, 0x64006400, v40
	v_lshrrev_b32_e32 v40, 8, v46
	v_or_b32_e32 v39, 0x64006400, v39
	v_and_b32_e32 v42, 0xf000f, v40
	v_and_b32_e32 v40, 0xf000f0, v40
	;; [unrolled: 1-line block ×3, first 2 shown]
	v_or_b32_e32 v43, 0x64006400, v40
	v_pk_add_f16 v40, v33, v39
	v_and_b32_e32 v39, 0xf000f, v47
	v_or_b32_e32 v45, 0x64006400, v44
	v_lshrrev_b32_e32 v44, 8, v47
	v_or_b32_e32 v39, 0x64006400, v39
	v_and_b32_e32 v46, 0xf000f, v44
	v_and_b32_e32 v44, 0xf000f0, v44
	v_or_b32_e32 v47, 0x64006400, v44
	v_pk_add_f16 v44, v32, v39
	v_and_b32_e32 v39, 0xf000f, v48
	v_and_b32_e32 v49, 0xf000f0, v48
	v_lshrrev_b32_e32 v48, 8, v48
	v_or_b32_e32 v39, 0x64006400, v39
	v_and_b32_e32 v50, 0xf000f, v48
	v_and_b32_e32 v48, 0xf000f0, v48
	v_or_b32_e32 v51, 0x64006400, v48
	v_pk_add_f16 v48, v34, v39
	v_mov_b32_e32 v39, s6
	ds_read2_b32 v[52:53], v39 offset1:1
	v_or_b32_e32 v42, 0x64006400, v42
	v_pk_fma_f16 v41, v41, s19, v38 op_sel_hi:[1,0,1]
	v_pk_add_f16 v42, v33, v42
	v_pk_fma_f16 v43, v43, s19, v38 op_sel_hi:[1,0,1]
	s_waitcnt lgkmcnt(0)
	v_pk_fma_f16 v54, v6, v52, 0
	v_pk_fma_f16 v56, v7, v53, v54
	ds_read2_b32 v[54:55], v39 offset0:2 offset1:3
	v_or_b32_e32 v49, 0x64006400, v49
	v_or_b32_e32 v50, 0x64006400, v50
	v_pk_fma_f16 v49, v49, s19, v36 op_sel_hi:[1,0,1]
	v_pk_add_f16 v50, v34, v50
	s_waitcnt lgkmcnt(0)
	v_pk_fma_f16 v56, v4, v54, v56
	v_pk_fma_f16 v56, v5, v55, v56
	v_cvt_f32_f16_e32 v57, v56
	v_cvt_f32_f16_sdwa v56, v56 dst_sel:DWORD dst_unused:UNUSED_PAD src0_sel:WORD_1
	v_pk_fma_f16 v51, v51, s19, v36 op_sel_hi:[1,0,1]
	v_pk_fma_f16 v45, v45, s19, v37 op_sel_hi:[1,0,1]
	v_or_b32_e32 v46, 0x64006400, v46
	v_add_f32_e32 v56, v57, v56
	v_fmac_f32_e32 v23, v56, v30
	v_pk_fma_f16 v56, v40, v52, 0
	v_pk_fma_f16 v56, v41, v53, v56
	;; [unrolled: 1-line block ×4, first 2 shown]
	v_cvt_f32_f16_e32 v57, v56
	v_cvt_f32_f16_sdwa v56, v56 dst_sel:DWORD dst_unused:UNUSED_PAD src0_sel:WORD_1
	v_pk_add_f16 v46, v32, v46
	v_pk_fma_f16 v47, v47, s19, v37 op_sel_hi:[1,0,1]
	s_add_i32 s6, s6, 64
	v_add_f32_e32 v56, v57, v56
	v_fmac_f32_e32 v24, v56, v29
	v_pk_fma_f16 v56, v44, v52, 0
	v_pk_fma_f16 v52, v48, v52, 0
	;; [unrolled: 1-line block ×6, first 2 shown]
	v_cvt_f32_f16_e32 v53, v52
	v_cvt_f32_f16_sdwa v52, v52 dst_sel:DWORD dst_unused:UNUSED_PAD src0_sel:WORD_1
	v_pk_fma_f16 v56, v46, v54, v56
	v_pk_fma_f16 v56, v47, v55, v56
	v_cvt_f32_f16_e32 v57, v56
	v_add_f32_e32 v52, v53, v52
	v_fmac_f32_e32 v21, v52, v27
	ds_read2_b32 v[52:53], v39 offset0:64 offset1:65
	v_cvt_f32_f16_sdwa v56, v56 dst_sel:DWORD dst_unused:UNUSED_PAD src0_sel:WORD_1
	s_cmp_ge_i32 s24, s25
	v_add_f32_e32 v56, v57, v56
	s_waitcnt lgkmcnt(0)
	v_pk_fma_f16 v54, v6, v52, 0
	v_fmac_f32_e32 v22, v56, v28
	v_pk_fma_f16 v56, v7, v53, v54
	ds_read2_b32 v[54:55], v39 offset0:66 offset1:67
	s_waitcnt lgkmcnt(0)
	v_pk_fma_f16 v56, v4, v54, v56
	v_pk_fma_f16 v56, v5, v55, v56
	v_cvt_f32_f16_e32 v57, v56
	v_cvt_f32_f16_sdwa v56, v56 dst_sel:DWORD dst_unused:UNUSED_PAD src0_sel:WORD_1
	v_add_f32_e32 v56, v57, v56
	v_fmac_f32_e32 v20, v56, v30
	v_pk_fma_f16 v56, v40, v52, 0
	v_pk_fma_f16 v56, v41, v53, v56
	;; [unrolled: 1-line block ×4, first 2 shown]
	v_cvt_f32_f16_e32 v57, v56
	v_cvt_f32_f16_sdwa v56, v56 dst_sel:DWORD dst_unused:UNUSED_PAD src0_sel:WORD_1
	v_add_f32_e32 v56, v57, v56
	v_fmac_f32_e32 v19, v56, v29
	v_pk_fma_f16 v56, v44, v52, 0
	v_pk_fma_f16 v52, v48, v52, 0
	;; [unrolled: 1-line block ×6, first 2 shown]
	v_cvt_f32_f16_e32 v53, v52
	v_cvt_f32_f16_sdwa v52, v52 dst_sel:DWORD dst_unused:UNUSED_PAD src0_sel:WORD_1
	v_pk_fma_f16 v56, v46, v54, v56
	v_pk_fma_f16 v56, v47, v55, v56
	v_cvt_f32_f16_e32 v57, v56
	v_add_f32_e32 v52, v53, v52
	v_fmac_f32_e32 v17, v52, v27
	ds_read2_b32 v[52:53], v39 offset0:128 offset1:129
	v_cvt_f32_f16_sdwa v56, v56 dst_sel:DWORD dst_unused:UNUSED_PAD src0_sel:WORD_1
	v_add_f32_e32 v56, v57, v56
	s_waitcnt lgkmcnt(0)
	v_pk_fma_f16 v54, v6, v52, 0
	v_fmac_f32_e32 v18, v56, v28
	v_pk_fma_f16 v56, v7, v53, v54
	ds_read2_b32 v[54:55], v39 offset0:130 offset1:131
	s_waitcnt lgkmcnt(0)
	v_pk_fma_f16 v56, v4, v54, v56
	v_pk_fma_f16 v56, v5, v55, v56
	v_cvt_f32_f16_e32 v57, v56
	v_cvt_f32_f16_sdwa v56, v56 dst_sel:DWORD dst_unused:UNUSED_PAD src0_sel:WORD_1
	v_add_f32_e32 v56, v57, v56
	v_fmac_f32_e32 v16, v56, v30
	v_pk_fma_f16 v56, v40, v52, 0
	v_pk_fma_f16 v56, v41, v53, v56
	;; [unrolled: 1-line block ×4, first 2 shown]
	v_cvt_f32_f16_e32 v57, v56
	v_cvt_f32_f16_sdwa v56, v56 dst_sel:DWORD dst_unused:UNUSED_PAD src0_sel:WORD_1
	v_add_f32_e32 v56, v57, v56
	v_fmac_f32_e32 v15, v56, v29
	v_pk_fma_f16 v56, v44, v52, 0
	v_pk_fma_f16 v52, v48, v52, 0
	;; [unrolled: 1-line block ×6, first 2 shown]
	v_cvt_f32_f16_e32 v53, v52
	v_cvt_f32_f16_sdwa v52, v52 dst_sel:DWORD dst_unused:UNUSED_PAD src0_sel:WORD_1
	v_pk_fma_f16 v56, v46, v54, v56
	v_pk_fma_f16 v56, v47, v55, v56
	v_cvt_f32_f16_e32 v57, v56
	v_add_f32_e32 v52, v53, v52
	v_fmac_f32_e32 v12, v52, v27
	ds_read2_b32 v[52:53], v39 offset0:192 offset1:193
	v_cvt_f32_f16_sdwa v56, v56 dst_sel:DWORD dst_unused:UNUSED_PAD src0_sel:WORD_1
	s_waitcnt lgkmcnt(0)
	v_pk_fma_f16 v6, v6, v52, 0
	v_pk_fma_f16 v54, v7, v53, v6
	ds_read2_b32 v[6:7], v39 offset0:194 offset1:195
	v_add_f32_e32 v56, v57, v56
	v_fmac_f32_e32 v13, v56, v28
	s_waitcnt lgkmcnt(0)
	v_pk_fma_f16 v4, v4, v6, v54
	v_pk_fma_f16 v4, v5, v7, v4
	v_cvt_f32_f16_e32 v5, v4
	v_cvt_f32_f16_sdwa v4, v4 dst_sel:DWORD dst_unused:UNUSED_PAD src0_sel:WORD_1
	v_add_f32_e32 v4, v5, v4
	v_fmac_f32_e32 v9, v4, v30
	v_pk_fma_f16 v4, v40, v52, 0
	v_pk_fma_f16 v4, v41, v53, v4
	v_pk_fma_f16 v4, v42, v6, v4
	v_pk_fma_f16 v4, v43, v7, v4
	v_cvt_f32_f16_e32 v5, v4
	v_cvt_f32_f16_sdwa v4, v4 dst_sel:DWORD dst_unused:UNUSED_PAD src0_sel:WORD_1
	v_add_f32_e32 v4, v5, v4
	v_fmac_f32_e32 v8, v4, v29
	v_pk_fma_f16 v4, v44, v52, 0
	v_pk_fma_f16 v4, v45, v53, v4
	;; [unrolled: 8-line block ×3, first 2 shown]
	v_pk_fma_f16 v4, v50, v6, v4
	v_pk_fma_f16 v4, v51, v7, v4
	v_cvt_f32_f16_e32 v5, v4
	v_cvt_f32_f16_sdwa v4, v4 dst_sel:DWORD dst_unused:UNUSED_PAD src0_sel:WORD_1
	v_mov_b32_e32 v6, s3
	v_add_f32_e32 v4, v5, v4
	v_fmac_f32_e32 v10, v4, v27
	v_add_co_u32_e32 v4, vcc, s2, v2
	v_addc_co_u32_e32 v5, vcc, v3, v6, vcc
	global_load_dwordx4 v[48:51], v[4:5], off
	v_add_co_u32_e32 v4, vcc, s2, v4
	v_addc_co_u32_e32 v5, vcc, v5, v6, vcc
	s_waitcnt vmcnt(0)
	v_lshrrev_b32_e32 v41, 8, v48
	v_and_b32_e32 v7, 0xf000f, v48
	v_and_b32_e32 v40, 0xf000f0, v48
	;; [unrolled: 1-line block ×4, first 2 shown]
	v_lshrrev_b32_e32 v45, 8, v49
	v_or_b32_e32 v7, 0x64006400, v7
	v_or_b32_e32 v40, 0x64006400, v40
	;; [unrolled: 1-line block ×4, first 2 shown]
	v_and_b32_e32 v46, 0xf000f, v45
	v_and_b32_e32 v45, 0xf000f0, v45
	v_pk_add_f16 v41, v31, v7
	v_pk_fma_f16 v42, v40, s19, v35 op_sel_hi:[1,0,1]
	v_pk_add_f16 v7, v31, v43
	v_pk_fma_f16 v40, v44, s19, v35 op_sel_hi:[1,0,1]
	v_and_b32_e32 v43, 0xf000f, v49
	v_and_b32_e32 v44, 0xf000f0, v49
	v_or_b32_e32 v46, 0x64006400, v46
	v_or_b32_e32 v47, 0x64006400, v45
	v_lshrrev_b32_e32 v49, 8, v50
	v_pk_add_f16 v45, v33, v46
	v_pk_fma_f16 v46, v47, s19, v38 op_sel_hi:[1,0,1]
	v_and_b32_e32 v47, 0xf000f, v50
	v_and_b32_e32 v48, 0xf000f0, v50
	;; [unrolled: 1-line block ×4, first 2 shown]
	v_or_b32_e32 v50, 0x64006400, v50
	v_or_b32_e32 v52, 0x64006400, v49
	v_pk_add_f16 v49, v32, v50
	v_pk_fma_f16 v50, v52, s19, v37 op_sel_hi:[1,0,1]
	v_and_b32_e32 v52, 0xf000f, v51
	v_and_b32_e32 v53, 0xf000f0, v51
	v_lshrrev_b32_e32 v51, 8, v51
	v_and_b32_e32 v54, 0xf000f, v51
	v_and_b32_e32 v51, 0xf000f0, v51
	v_or_b32_e32 v52, 0x64006400, v52
	v_or_b32_e32 v53, 0x64006400, v53
	;; [unrolled: 1-line block ×4, first 2 shown]
	v_pk_add_f16 v51, v34, v52
	v_pk_fma_f16 v52, v53, s19, v36 op_sel_hi:[1,0,1]
	v_pk_add_f16 v53, v34, v54
	v_pk_fma_f16 v54, v55, s19, v36 op_sel_hi:[1,0,1]
	ds_read2_b32 v[55:56], v39 offset0:4 offset1:5
	v_or_b32_e32 v43, 0x64006400, v43
	v_or_b32_e32 v44, 0x64006400, v44
	v_pk_add_f16 v43, v33, v43
	v_pk_fma_f16 v44, v44, s19, v38 op_sel_hi:[1,0,1]
	s_waitcnt lgkmcnt(0)
	v_pk_fma_f16 v57, v41, v55, 0
	v_pk_fma_f16 v59, v42, v56, v57
	ds_read2_b32 v[57:58], v39 offset0:6 offset1:7
	v_or_b32_e32 v47, 0x64006400, v47
	v_pk_add_f16 v47, v32, v47
	v_or_b32_e32 v48, 0x64006400, v48
	v_pk_fma_f16 v48, v48, s19, v37 op_sel_hi:[1,0,1]
	s_waitcnt lgkmcnt(0)
	v_pk_fma_f16 v59, v7, v57, v59
	v_pk_fma_f16 v59, v40, v58, v59
	v_cvt_f32_f16_e32 v60, v59
	v_cvt_f32_f16_sdwa v59, v59 dst_sel:DWORD dst_unused:UNUSED_PAD src0_sel:WORD_1
	v_add_f32_e32 v59, v60, v59
	v_fmac_f32_e32 v23, v59, v30
	v_pk_fma_f16 v59, v43, v55, 0
	v_pk_fma_f16 v59, v44, v56, v59
	;; [unrolled: 1-line block ×4, first 2 shown]
	v_cvt_f32_f16_e32 v60, v59
	v_cvt_f32_f16_sdwa v59, v59 dst_sel:DWORD dst_unused:UNUSED_PAD src0_sel:WORD_1
	v_add_f32_e32 v59, v60, v59
	v_fmac_f32_e32 v24, v59, v29
	v_pk_fma_f16 v59, v47, v55, 0
	v_pk_fma_f16 v55, v51, v55, 0
	;; [unrolled: 1-line block ×6, first 2 shown]
	v_cvt_f32_f16_e32 v56, v55
	v_cvt_f32_f16_sdwa v55, v55 dst_sel:DWORD dst_unused:UNUSED_PAD src0_sel:WORD_1
	v_pk_fma_f16 v59, v49, v57, v59
	v_pk_fma_f16 v59, v50, v58, v59
	v_cvt_f32_f16_e32 v60, v59
	v_add_f32_e32 v55, v56, v55
	v_fmac_f32_e32 v21, v55, v27
	ds_read2_b32 v[55:56], v39 offset0:68 offset1:69
	v_cvt_f32_f16_sdwa v59, v59 dst_sel:DWORD dst_unused:UNUSED_PAD src0_sel:WORD_1
	v_add_f32_e32 v59, v60, v59
	s_waitcnt lgkmcnt(0)
	v_pk_fma_f16 v57, v41, v55, 0
	v_fmac_f32_e32 v22, v59, v28
	v_pk_fma_f16 v59, v42, v56, v57
	ds_read2_b32 v[57:58], v39 offset0:70 offset1:71
	s_waitcnt lgkmcnt(0)
	v_pk_fma_f16 v59, v7, v57, v59
	v_pk_fma_f16 v59, v40, v58, v59
	v_cvt_f32_f16_e32 v60, v59
	v_cvt_f32_f16_sdwa v59, v59 dst_sel:DWORD dst_unused:UNUSED_PAD src0_sel:WORD_1
	v_add_f32_e32 v59, v60, v59
	v_fmac_f32_e32 v20, v59, v30
	v_pk_fma_f16 v59, v43, v55, 0
	v_pk_fma_f16 v59, v44, v56, v59
	;; [unrolled: 1-line block ×4, first 2 shown]
	v_cvt_f32_f16_e32 v60, v59
	v_cvt_f32_f16_sdwa v59, v59 dst_sel:DWORD dst_unused:UNUSED_PAD src0_sel:WORD_1
	v_add_f32_e32 v59, v60, v59
	v_fmac_f32_e32 v19, v59, v29
	v_pk_fma_f16 v59, v47, v55, 0
	v_pk_fma_f16 v55, v51, v55, 0
	;; [unrolled: 1-line block ×6, first 2 shown]
	v_cvt_f32_f16_e32 v56, v55
	v_cvt_f32_f16_sdwa v55, v55 dst_sel:DWORD dst_unused:UNUSED_PAD src0_sel:WORD_1
	v_pk_fma_f16 v59, v49, v57, v59
	v_pk_fma_f16 v59, v50, v58, v59
	v_cvt_f32_f16_e32 v60, v59
	v_add_f32_e32 v55, v56, v55
	v_fmac_f32_e32 v17, v55, v27
	ds_read2_b32 v[55:56], v39 offset0:132 offset1:133
	v_cvt_f32_f16_sdwa v59, v59 dst_sel:DWORD dst_unused:UNUSED_PAD src0_sel:WORD_1
	v_add_f32_e32 v59, v60, v59
	s_waitcnt lgkmcnt(0)
	v_pk_fma_f16 v57, v41, v55, 0
	v_fmac_f32_e32 v18, v59, v28
	v_pk_fma_f16 v59, v42, v56, v57
	ds_read2_b32 v[57:58], v39 offset0:134 offset1:135
	s_waitcnt lgkmcnt(0)
	v_pk_fma_f16 v59, v7, v57, v59
	v_pk_fma_f16 v59, v40, v58, v59
	v_cvt_f32_f16_e32 v60, v59
	v_cvt_f32_f16_sdwa v59, v59 dst_sel:DWORD dst_unused:UNUSED_PAD src0_sel:WORD_1
	v_add_f32_e32 v59, v60, v59
	v_fmac_f32_e32 v16, v59, v30
	v_pk_fma_f16 v59, v43, v55, 0
	v_pk_fma_f16 v59, v44, v56, v59
	;; [unrolled: 1-line block ×4, first 2 shown]
	v_cvt_f32_f16_e32 v60, v59
	v_cvt_f32_f16_sdwa v59, v59 dst_sel:DWORD dst_unused:UNUSED_PAD src0_sel:WORD_1
	v_add_f32_e32 v59, v60, v59
	v_fmac_f32_e32 v15, v59, v29
	v_pk_fma_f16 v59, v47, v55, 0
	v_pk_fma_f16 v55, v51, v55, 0
	;; [unrolled: 1-line block ×6, first 2 shown]
	v_cvt_f32_f16_e32 v56, v55
	v_cvt_f32_f16_sdwa v55, v55 dst_sel:DWORD dst_unused:UNUSED_PAD src0_sel:WORD_1
	v_pk_fma_f16 v59, v49, v57, v59
	v_pk_fma_f16 v59, v50, v58, v59
	v_cvt_f32_f16_e32 v60, v59
	v_add_f32_e32 v55, v56, v55
	v_fmac_f32_e32 v12, v55, v27
	ds_read2_b32 v[55:56], v39 offset0:196 offset1:197
	v_cvt_f32_f16_sdwa v59, v59 dst_sel:DWORD dst_unused:UNUSED_PAD src0_sel:WORD_1
	s_waitcnt lgkmcnt(0)
	v_pk_fma_f16 v41, v41, v55, 0
	v_pk_fma_f16 v57, v42, v56, v41
	ds_read2_b32 v[41:42], v39 offset0:198 offset1:199
	v_add_f32_e32 v59, v60, v59
	v_fmac_f32_e32 v13, v59, v28
	s_waitcnt lgkmcnt(0)
	v_pk_fma_f16 v7, v7, v41, v57
	v_pk_fma_f16 v7, v40, v42, v7
	v_cvt_f32_f16_e32 v40, v7
	v_cvt_f32_f16_sdwa v7, v7 dst_sel:DWORD dst_unused:UNUSED_PAD src0_sel:WORD_1
	v_add_f32_e32 v7, v40, v7
	v_fmac_f32_e32 v9, v7, v30
	v_pk_fma_f16 v7, v43, v55, 0
	v_pk_fma_f16 v7, v44, v56, v7
	v_pk_fma_f16 v7, v45, v41, v7
	v_pk_fma_f16 v7, v46, v42, v7
	v_cvt_f32_f16_e32 v40, v7
	v_cvt_f32_f16_sdwa v7, v7 dst_sel:DWORD dst_unused:UNUSED_PAD src0_sel:WORD_1
	v_add_f32_e32 v7, v40, v7
	v_fmac_f32_e32 v8, v7, v29
	v_pk_fma_f16 v7, v47, v55, 0
	v_pk_fma_f16 v7, v48, v56, v7
	;; [unrolled: 1-line block ×4, first 2 shown]
	v_cvt_f32_f16_e32 v40, v7
	v_cvt_f32_f16_sdwa v7, v7 dst_sel:DWORD dst_unused:UNUSED_PAD src0_sel:WORD_1
	v_add_f32_e32 v7, v40, v7
	v_fmac_f32_e32 v11, v7, v28
	v_pk_fma_f16 v7, v51, v55, 0
	global_load_dwordx4 v[48:51], v[4:5], off
	v_pk_fma_f16 v7, v52, v56, v7
	v_pk_fma_f16 v7, v53, v41, v7
	;; [unrolled: 1-line block ×3, first 2 shown]
	v_cvt_f32_f16_e32 v40, v7
	v_cvt_f32_f16_sdwa v7, v7 dst_sel:DWORD dst_unused:UNUSED_PAD src0_sel:WORD_1
	v_add_co_u32_e32 v4, vcc, s2, v4
	v_addc_co_u32_e32 v5, vcc, v5, v6, vcc
	v_add_f32_e32 v7, v40, v7
	v_fmac_f32_e32 v10, v7, v27
	v_add_co_u32_e32 v2, vcc, s0, v2
	s_waitcnt vmcnt(0)
	v_lshrrev_b32_e32 v41, 8, v48
	v_and_b32_e32 v7, 0xf000f, v48
	v_and_b32_e32 v40, 0xf000f0, v48
	;; [unrolled: 1-line block ×4, first 2 shown]
	v_lshrrev_b32_e32 v45, 8, v49
	v_or_b32_e32 v7, 0x64006400, v7
	v_or_b32_e32 v40, 0x64006400, v40
	;; [unrolled: 1-line block ×4, first 2 shown]
	v_and_b32_e32 v46, 0xf000f, v45
	v_and_b32_e32 v45, 0xf000f0, v45
	v_pk_add_f16 v41, v31, v7
	v_pk_fma_f16 v42, v40, s19, v35 op_sel_hi:[1,0,1]
	v_pk_add_f16 v7, v31, v43
	v_pk_fma_f16 v40, v44, s19, v35 op_sel_hi:[1,0,1]
	v_and_b32_e32 v43, 0xf000f, v49
	v_and_b32_e32 v44, 0xf000f0, v49
	v_or_b32_e32 v46, 0x64006400, v46
	v_or_b32_e32 v47, 0x64006400, v45
	v_lshrrev_b32_e32 v49, 8, v50
	v_pk_add_f16 v45, v33, v46
	v_pk_fma_f16 v46, v47, s19, v38 op_sel_hi:[1,0,1]
	v_and_b32_e32 v47, 0xf000f, v50
	v_and_b32_e32 v48, 0xf000f0, v50
	;; [unrolled: 1-line block ×4, first 2 shown]
	v_or_b32_e32 v50, 0x64006400, v50
	v_or_b32_e32 v52, 0x64006400, v49
	v_pk_add_f16 v49, v32, v50
	v_pk_fma_f16 v50, v52, s19, v37 op_sel_hi:[1,0,1]
	v_and_b32_e32 v52, 0xf000f, v51
	v_and_b32_e32 v53, 0xf000f0, v51
	v_lshrrev_b32_e32 v51, 8, v51
	v_and_b32_e32 v54, 0xf000f, v51
	v_and_b32_e32 v51, 0xf000f0, v51
	v_or_b32_e32 v52, 0x64006400, v52
	v_or_b32_e32 v53, 0x64006400, v53
	;; [unrolled: 1-line block ×4, first 2 shown]
	v_pk_add_f16 v51, v34, v52
	v_pk_fma_f16 v52, v53, s19, v36 op_sel_hi:[1,0,1]
	v_pk_add_f16 v53, v34, v54
	v_pk_fma_f16 v54, v55, s19, v36 op_sel_hi:[1,0,1]
	ds_read2_b32 v[55:56], v39 offset0:8 offset1:9
	v_or_b32_e32 v43, 0x64006400, v43
	v_or_b32_e32 v44, 0x64006400, v44
	v_pk_add_f16 v43, v33, v43
	v_pk_fma_f16 v44, v44, s19, v38 op_sel_hi:[1,0,1]
	s_waitcnt lgkmcnt(0)
	v_pk_fma_f16 v57, v41, v55, 0
	v_pk_fma_f16 v59, v42, v56, v57
	ds_read2_b32 v[57:58], v39 offset0:10 offset1:11
	v_or_b32_e32 v47, 0x64006400, v47
	v_pk_add_f16 v47, v32, v47
	v_or_b32_e32 v48, 0x64006400, v48
	v_pk_fma_f16 v48, v48, s19, v37 op_sel_hi:[1,0,1]
	s_waitcnt lgkmcnt(0)
	v_pk_fma_f16 v59, v7, v57, v59
	v_pk_fma_f16 v59, v40, v58, v59
	v_cvt_f32_f16_e32 v60, v59
	v_cvt_f32_f16_sdwa v59, v59 dst_sel:DWORD dst_unused:UNUSED_PAD src0_sel:WORD_1
	v_add_f32_e32 v59, v60, v59
	v_fmac_f32_e32 v23, v59, v30
	v_pk_fma_f16 v59, v43, v55, 0
	v_pk_fma_f16 v59, v44, v56, v59
	v_pk_fma_f16 v59, v45, v57, v59
	v_pk_fma_f16 v59, v46, v58, v59
	v_cvt_f32_f16_e32 v60, v59
	v_cvt_f32_f16_sdwa v59, v59 dst_sel:DWORD dst_unused:UNUSED_PAD src0_sel:WORD_1
	v_add_f32_e32 v59, v60, v59
	v_fmac_f32_e32 v24, v59, v29
	v_pk_fma_f16 v59, v47, v55, 0
	v_pk_fma_f16 v55, v51, v55, 0
	v_pk_fma_f16 v55, v52, v56, v55
	v_pk_fma_f16 v55, v53, v57, v55
	v_pk_fma_f16 v55, v54, v58, v55
	v_pk_fma_f16 v59, v48, v56, v59
	v_cvt_f32_f16_e32 v56, v55
	v_cvt_f32_f16_sdwa v55, v55 dst_sel:DWORD dst_unused:UNUSED_PAD src0_sel:WORD_1
	v_pk_fma_f16 v59, v49, v57, v59
	v_pk_fma_f16 v59, v50, v58, v59
	v_cvt_f32_f16_e32 v60, v59
	v_add_f32_e32 v55, v56, v55
	v_fmac_f32_e32 v21, v55, v27
	ds_read2_b32 v[55:56], v39 offset0:72 offset1:73
	v_cvt_f32_f16_sdwa v59, v59 dst_sel:DWORD dst_unused:UNUSED_PAD src0_sel:WORD_1
	v_add_f32_e32 v59, v60, v59
	s_waitcnt lgkmcnt(0)
	v_pk_fma_f16 v57, v41, v55, 0
	v_fmac_f32_e32 v22, v59, v28
	v_pk_fma_f16 v59, v42, v56, v57
	ds_read2_b32 v[57:58], v39 offset0:74 offset1:75
	s_waitcnt lgkmcnt(0)
	v_pk_fma_f16 v59, v7, v57, v59
	v_pk_fma_f16 v59, v40, v58, v59
	v_cvt_f32_f16_e32 v60, v59
	v_cvt_f32_f16_sdwa v59, v59 dst_sel:DWORD dst_unused:UNUSED_PAD src0_sel:WORD_1
	v_add_f32_e32 v59, v60, v59
	v_fmac_f32_e32 v20, v59, v30
	v_pk_fma_f16 v59, v43, v55, 0
	v_pk_fma_f16 v59, v44, v56, v59
	;; [unrolled: 1-line block ×4, first 2 shown]
	v_cvt_f32_f16_e32 v60, v59
	v_cvt_f32_f16_sdwa v59, v59 dst_sel:DWORD dst_unused:UNUSED_PAD src0_sel:WORD_1
	v_add_f32_e32 v59, v60, v59
	v_fmac_f32_e32 v19, v59, v29
	v_pk_fma_f16 v59, v47, v55, 0
	v_pk_fma_f16 v55, v51, v55, 0
	;; [unrolled: 1-line block ×6, first 2 shown]
	v_cvt_f32_f16_e32 v56, v55
	v_cvt_f32_f16_sdwa v55, v55 dst_sel:DWORD dst_unused:UNUSED_PAD src0_sel:WORD_1
	v_pk_fma_f16 v59, v49, v57, v59
	v_pk_fma_f16 v59, v50, v58, v59
	v_cvt_f32_f16_e32 v60, v59
	v_add_f32_e32 v55, v56, v55
	v_fmac_f32_e32 v17, v55, v27
	ds_read2_b32 v[55:56], v39 offset0:136 offset1:137
	v_cvt_f32_f16_sdwa v59, v59 dst_sel:DWORD dst_unused:UNUSED_PAD src0_sel:WORD_1
	v_add_f32_e32 v59, v60, v59
	s_waitcnt lgkmcnt(0)
	v_pk_fma_f16 v57, v41, v55, 0
	v_fmac_f32_e32 v18, v59, v28
	v_pk_fma_f16 v59, v42, v56, v57
	ds_read2_b32 v[57:58], v39 offset0:138 offset1:139
	s_waitcnt lgkmcnt(0)
	v_pk_fma_f16 v59, v7, v57, v59
	v_pk_fma_f16 v59, v40, v58, v59
	v_cvt_f32_f16_e32 v60, v59
	v_cvt_f32_f16_sdwa v59, v59 dst_sel:DWORD dst_unused:UNUSED_PAD src0_sel:WORD_1
	v_add_f32_e32 v59, v60, v59
	v_fmac_f32_e32 v16, v59, v30
	v_pk_fma_f16 v59, v43, v55, 0
	v_pk_fma_f16 v59, v44, v56, v59
	;; [unrolled: 1-line block ×4, first 2 shown]
	v_cvt_f32_f16_e32 v60, v59
	v_cvt_f32_f16_sdwa v59, v59 dst_sel:DWORD dst_unused:UNUSED_PAD src0_sel:WORD_1
	v_add_f32_e32 v59, v60, v59
	v_fmac_f32_e32 v15, v59, v29
	v_pk_fma_f16 v59, v47, v55, 0
	v_pk_fma_f16 v55, v51, v55, 0
	;; [unrolled: 1-line block ×6, first 2 shown]
	v_cvt_f32_f16_e32 v56, v55
	v_cvt_f32_f16_sdwa v55, v55 dst_sel:DWORD dst_unused:UNUSED_PAD src0_sel:WORD_1
	v_pk_fma_f16 v59, v49, v57, v59
	v_pk_fma_f16 v59, v50, v58, v59
	v_cvt_f32_f16_e32 v60, v59
	v_add_f32_e32 v55, v56, v55
	v_fmac_f32_e32 v12, v55, v27
	ds_read2_b32 v[55:56], v39 offset0:200 offset1:201
	v_cvt_f32_f16_sdwa v59, v59 dst_sel:DWORD dst_unused:UNUSED_PAD src0_sel:WORD_1
	s_waitcnt lgkmcnt(0)
	v_pk_fma_f16 v41, v41, v55, 0
	v_pk_fma_f16 v57, v42, v56, v41
	ds_read2_b32 v[41:42], v39 offset0:202 offset1:203
	v_add_f32_e32 v59, v60, v59
	v_fmac_f32_e32 v13, v59, v28
	s_waitcnt lgkmcnt(0)
	v_pk_fma_f16 v7, v7, v41, v57
	v_pk_fma_f16 v7, v40, v42, v7
	v_cvt_f32_f16_e32 v40, v7
	v_cvt_f32_f16_sdwa v7, v7 dst_sel:DWORD dst_unused:UNUSED_PAD src0_sel:WORD_1
	v_add_f32_e32 v7, v40, v7
	v_fmac_f32_e32 v9, v7, v30
	v_pk_fma_f16 v7, v43, v55, 0
	v_pk_fma_f16 v7, v44, v56, v7
	v_pk_fma_f16 v7, v45, v41, v7
	v_pk_fma_f16 v7, v46, v42, v7
	v_cvt_f32_f16_e32 v40, v7
	v_cvt_f32_f16_sdwa v7, v7 dst_sel:DWORD dst_unused:UNUSED_PAD src0_sel:WORD_1
	v_add_f32_e32 v7, v40, v7
	v_fmac_f32_e32 v8, v7, v29
	v_pk_fma_f16 v7, v47, v55, 0
	v_pk_fma_f16 v7, v48, v56, v7
	;; [unrolled: 8-line block ×3, first 2 shown]
	v_pk_fma_f16 v7, v53, v41, v7
	v_pk_fma_f16 v7, v54, v42, v7
	v_cvt_f32_f16_e32 v40, v7
	v_cvt_f32_f16_sdwa v7, v7 dst_sel:DWORD dst_unused:UNUSED_PAD src0_sel:WORD_1
	v_add_f32_e32 v7, v40, v7
	global_load_dwordx4 v[40:43], v[4:5], off
	v_fmac_f32_e32 v10, v7, v27
	s_waitcnt vmcnt(0)
	v_lshrrev_b32_e32 v6, 8, v40
	v_and_b32_e32 v7, 0xf000f, v6
	v_and_b32_e32 v6, 0xf000f0, v6
	v_or_b32_e32 v7, 0x64006400, v7
	v_or_b32_e32 v6, 0x64006400, v6
	v_and_b32_e32 v4, 0xf000f, v40
	v_and_b32_e32 v5, 0xf000f0, v40
	v_pk_add_f16 v52, v31, v7
	v_pk_fma_f16 v53, v6, s19, v35 op_sel_hi:[1,0,1]
	v_and_b32_e32 v6, 0xf000f, v41
	v_and_b32_e32 v7, 0xf000f0, v41
	v_lshrrev_b32_e32 v40, 8, v41
	v_or_b32_e32 v6, 0x64006400, v6
	v_or_b32_e32 v7, 0x64006400, v7
	v_and_b32_e32 v41, 0xf000f, v40
	v_and_b32_e32 v40, 0xf000f0, v40
	v_or_b32_e32 v40, 0x64006400, v40
	v_pk_add_f16 v48, v33, v6
	v_pk_fma_f16 v49, v7, s19, v38 op_sel_hi:[1,0,1]
	v_and_b32_e32 v6, 0xf000f, v42
	v_and_b32_e32 v7, 0xf000f0, v42
	v_or_b32_e32 v41, 0x64006400, v41
	v_pk_fma_f16 v51, v40, s19, v38 op_sel_hi:[1,0,1]
	v_or_b32_e32 v6, 0x64006400, v6
	v_or_b32_e32 v7, 0x64006400, v7
	v_lshrrev_b32_e32 v40, 8, v42
	v_pk_add_f16 v50, v33, v41
	v_and_b32_e32 v41, 0xf000f, v40
	v_and_b32_e32 v40, 0xf000f0, v40
	v_pk_add_f16 v44, v32, v6
	v_pk_fma_f16 v45, v7, s19, v37 op_sel_hi:[1,0,1]
	v_and_b32_e32 v6, 0xf000f, v43
	v_and_b32_e32 v7, 0xf000f0, v43
	v_or_b32_e32 v40, 0x64006400, v40
	v_or_b32_e32 v6, 0x64006400, v6
	;; [unrolled: 1-line block ×3, first 2 shown]
	v_pk_fma_f16 v47, v40, s19, v37 op_sel_hi:[1,0,1]
	v_lshrrev_b32_e32 v40, 8, v43
	v_pk_add_f16 v42, v34, v6
	v_pk_fma_f16 v43, v7, s19, v36 op_sel_hi:[1,0,1]
	ds_read2_b32 v[6:7], v39 offset0:12 offset1:13
	v_or_b32_e32 v4, 0x64006400, v4
	v_or_b32_e32 v5, 0x64006400, v5
	v_pk_add_f16 v4, v31, v4
	v_pk_fma_f16 v5, v5, s19, v35 op_sel_hi:[1,0,1]
	s_waitcnt lgkmcnt(0)
	v_pk_fma_f16 v54, v4, v6, 0
	v_pk_fma_f16 v56, v5, v7, v54
	ds_read2_b32 v[54:55], v39 offset0:14 offset1:15
	v_or_b32_e32 v41, 0x64006400, v41
	v_pk_add_f16 v46, v32, v41
	v_and_b32_e32 v41, 0xf000f, v40
	v_or_b32_e32 v41, 0x64006400, v41
	s_waitcnt lgkmcnt(0)
	v_pk_fma_f16 v56, v52, v54, v56
	v_pk_fma_f16 v56, v53, v55, v56
	v_cvt_f32_f16_e32 v57, v56
	v_cvt_f32_f16_sdwa v56, v56 dst_sel:DWORD dst_unused:UNUSED_PAD src0_sel:WORD_1
	v_and_b32_e32 v40, 0xf000f0, v40
	v_or_b32_e32 v40, 0x64006400, v40
	v_pk_add_f16 v41, v34, v41
	v_add_f32_e32 v56, v57, v56
	v_fmac_f32_e32 v23, v56, v30
	v_pk_fma_f16 v56, v48, v6, 0
	v_pk_fma_f16 v56, v49, v7, v56
	;; [unrolled: 1-line block ×4, first 2 shown]
	v_cvt_f32_f16_e32 v57, v56
	v_cvt_f32_f16_sdwa v56, v56 dst_sel:DWORD dst_unused:UNUSED_PAD src0_sel:WORD_1
	v_pk_fma_f16 v40, v40, s19, v36 op_sel_hi:[1,0,1]
	v_add_f32_e32 v56, v57, v56
	v_fmac_f32_e32 v24, v56, v29
	v_pk_fma_f16 v56, v44, v6, 0
	v_pk_fma_f16 v6, v42, v6, 0
	;; [unrolled: 1-line block ×6, first 2 shown]
	v_cvt_f32_f16_e32 v7, v6
	v_cvt_f32_f16_sdwa v6, v6 dst_sel:DWORD dst_unused:UNUSED_PAD src0_sel:WORD_1
	v_pk_fma_f16 v56, v46, v54, v56
	v_pk_fma_f16 v56, v47, v55, v56
	v_cvt_f32_f16_e32 v57, v56
	v_add_f32_e32 v6, v7, v6
	v_fmac_f32_e32 v21, v6, v27
	ds_read2_b32 v[6:7], v39 offset0:76 offset1:77
	v_cvt_f32_f16_sdwa v56, v56 dst_sel:DWORD dst_unused:UNUSED_PAD src0_sel:WORD_1
	v_add_f32_e32 v56, v57, v56
	s_waitcnt lgkmcnt(0)
	v_pk_fma_f16 v54, v4, v6, 0
	v_fmac_f32_e32 v22, v56, v28
	v_pk_fma_f16 v56, v5, v7, v54
	ds_read2_b32 v[54:55], v39 offset0:78 offset1:79
	s_waitcnt lgkmcnt(0)
	v_pk_fma_f16 v56, v52, v54, v56
	v_pk_fma_f16 v56, v53, v55, v56
	v_cvt_f32_f16_e32 v57, v56
	v_cvt_f32_f16_sdwa v56, v56 dst_sel:DWORD dst_unused:UNUSED_PAD src0_sel:WORD_1
	v_add_f32_e32 v56, v57, v56
	v_fmac_f32_e32 v20, v56, v30
	v_pk_fma_f16 v56, v48, v6, 0
	v_pk_fma_f16 v56, v49, v7, v56
	;; [unrolled: 1-line block ×4, first 2 shown]
	v_cvt_f32_f16_e32 v57, v56
	v_cvt_f32_f16_sdwa v56, v56 dst_sel:DWORD dst_unused:UNUSED_PAD src0_sel:WORD_1
	v_add_f32_e32 v56, v57, v56
	v_fmac_f32_e32 v19, v56, v29
	v_pk_fma_f16 v56, v44, v6, 0
	v_pk_fma_f16 v6, v42, v6, 0
	;; [unrolled: 1-line block ×6, first 2 shown]
	v_cvt_f32_f16_e32 v7, v6
	v_cvt_f32_f16_sdwa v6, v6 dst_sel:DWORD dst_unused:UNUSED_PAD src0_sel:WORD_1
	v_pk_fma_f16 v56, v46, v54, v56
	v_pk_fma_f16 v56, v47, v55, v56
	v_cvt_f32_f16_e32 v57, v56
	v_add_f32_e32 v6, v7, v6
	v_fmac_f32_e32 v17, v6, v27
	ds_read2_b32 v[6:7], v39 offset0:140 offset1:141
	v_cvt_f32_f16_sdwa v56, v56 dst_sel:DWORD dst_unused:UNUSED_PAD src0_sel:WORD_1
	v_add_f32_e32 v56, v57, v56
	s_waitcnt lgkmcnt(0)
	v_pk_fma_f16 v54, v4, v6, 0
	v_fmac_f32_e32 v18, v56, v28
	v_pk_fma_f16 v56, v5, v7, v54
	ds_read2_b32 v[54:55], v39 offset0:142 offset1:143
	s_waitcnt lgkmcnt(0)
	v_pk_fma_f16 v56, v52, v54, v56
	v_pk_fma_f16 v56, v53, v55, v56
	v_cvt_f32_f16_e32 v57, v56
	v_cvt_f32_f16_sdwa v56, v56 dst_sel:DWORD dst_unused:UNUSED_PAD src0_sel:WORD_1
	v_add_f32_e32 v56, v57, v56
	v_fmac_f32_e32 v16, v56, v30
	v_pk_fma_f16 v56, v48, v6, 0
	v_pk_fma_f16 v56, v49, v7, v56
	;; [unrolled: 1-line block ×4, first 2 shown]
	v_cvt_f32_f16_e32 v57, v56
	v_cvt_f32_f16_sdwa v56, v56 dst_sel:DWORD dst_unused:UNUSED_PAD src0_sel:WORD_1
	v_add_f32_e32 v56, v57, v56
	v_fmac_f32_e32 v15, v56, v29
	v_pk_fma_f16 v56, v44, v6, 0
	v_pk_fma_f16 v6, v42, v6, 0
	;; [unrolled: 1-line block ×6, first 2 shown]
	v_cvt_f32_f16_e32 v7, v6
	v_cvt_f32_f16_sdwa v6, v6 dst_sel:DWORD dst_unused:UNUSED_PAD src0_sel:WORD_1
	v_pk_fma_f16 v56, v46, v54, v56
	v_pk_fma_f16 v56, v47, v55, v56
	v_cvt_f32_f16_e32 v57, v56
	v_add_f32_e32 v6, v7, v6
	v_fmac_f32_e32 v12, v6, v27
	ds_read2_b32 v[6:7], v39 offset0:204 offset1:205
	v_cvt_f32_f16_sdwa v56, v56 dst_sel:DWORD dst_unused:UNUSED_PAD src0_sel:WORD_1
	s_waitcnt lgkmcnt(0)
	v_pk_fma_f16 v4, v4, v6, 0
	v_pk_fma_f16 v54, v5, v7, v4
	ds_read2_b32 v[4:5], v39 offset0:206 offset1:207
	v_add_f32_e32 v56, v57, v56
	v_fmac_f32_e32 v13, v56, v28
	s_waitcnt lgkmcnt(0)
	v_pk_fma_f16 v39, v52, v4, v54
	v_pk_fma_f16 v39, v53, v5, v39
	v_cvt_f32_f16_e32 v52, v39
	v_cvt_f32_f16_sdwa v39, v39 dst_sel:DWORD dst_unused:UNUSED_PAD src0_sel:WORD_1
	v_add_f32_e32 v39, v52, v39
	v_fmac_f32_e32 v9, v39, v30
	v_pk_fma_f16 v39, v48, v6, 0
	v_pk_fma_f16 v39, v49, v7, v39
	;; [unrolled: 1-line block ×4, first 2 shown]
	v_cvt_f32_f16_e32 v48, v39
	v_cvt_f32_f16_sdwa v39, v39 dst_sel:DWORD dst_unused:UNUSED_PAD src0_sel:WORD_1
	v_add_f32_e32 v39, v48, v39
	v_fmac_f32_e32 v8, v39, v29
	v_pk_fma_f16 v39, v44, v6, 0
	v_pk_fma_f16 v6, v42, v6, 0
	;; [unrolled: 1-line block ×8, first 2 shown]
	v_cvt_f32_f16_e32 v5, v4
	v_cvt_f32_f16_sdwa v4, v4 dst_sel:DWORD dst_unused:UNUSED_PAD src0_sel:WORD_1
	v_cvt_f32_f16_e32 v44, v39
	v_cvt_f32_f16_sdwa v39, v39 dst_sel:DWORD dst_unused:UNUSED_PAD src0_sel:WORD_1
	v_add_f32_e32 v4, v5, v4
	v_fmac_f32_e32 v10, v4, v27
	v_add_f32_e32 v39, v44, v39
	v_mov_b32_e32 v4, s1
	v_fmac_f32_e32 v11, v39, v28
	v_addc_co_u32_e32 v3, vcc, v3, v4, vcc
	s_cbranch_scc1 .LBB29_16
.LBB29_14:                              ; =>This Inner Loop Header: Depth=1
	s_cmp_lg_u32 s24, s8
	s_cbranch_scc1 .LBB29_13
; %bb.15:                               ;   in Loop: Header=BB29_14 Depth=1
	s_add_i32 s5, s5, 1
	s_mul_i32 s9, s5, s16
	s_ashr_i32 s17, s9, 31
	s_lshr_b32 s17, s17, 29
	s_add_i32 s17, s9, s17
	v_add_u32_e32 v6, s9, v1
	s_ashr_i32 s17, s17, 3
	v_ashrrev_i32_e32 v7, 31, v6
	v_add_u32_e32 v4, s17, v14
	v_lshlrev_b64 v[6:7], 1, v[6:7]
	v_ashrrev_i32_e32 v5, 31, v4
	v_lshlrev_b64 v[4:5], 2, v[4:5]
	v_mov_b32_e32 v28, s13
	v_add_co_u32_e32 v6, vcc, s12, v6
	v_addc_co_u32_e32 v7, vcc, v28, v7, vcc
	v_mov_b32_e32 v27, s11
	v_add_co_u32_e32 v4, vcc, s10, v4
	v_addc_co_u32_e32 v5, vcc, v27, v5, vcc
	global_load_dword v4, v[4:5], off
	s_add_i32 s8, s8, s4
	global_load_dwordx2 v[6:7], v[6:7], off
	s_waitcnt vmcnt(1)
	v_lshrrev_b32_e32 v5, v25, v4
	v_bfe_u32 v4, v4, v25, 4
	s_waitcnt vmcnt(0)
	v_cvt_f32_f16_e32 v30, v6
	v_cvt_f32_f16_sdwa v29, v6 dst_sel:DWORD dst_unused:UNUSED_PAD src0_sel:WORD_1
	v_cvt_f32_f16_e32 v28, v7
	v_cvt_f32_f16_sdwa v27, v7 dst_sel:DWORD dst_unused:UNUSED_PAD src0_sel:WORD_1
	v_bfe_u32 v6, v5, 4, 4
	v_bfe_u32 v7, v5, 8, 4
	;; [unrolled: 1-line block ×3, first 2 shown]
	v_add_u32_e32 v4, v4, v26
	v_cvt_f32_ubyte0_e32 v32, v4
	v_mad_u32_u24 v31, v4, s18, v0
	v_add_u32_e32 v4, v6, v26
	v_add_u32_e32 v6, v7, v26
	;; [unrolled: 1-line block ×3, first 2 shown]
	v_cvt_f16_f32_e32 v7, v32
	v_cvt_f32_ubyte0_e32 v35, v4
	v_mad_u32_u24 v33, v4, s18, v0
	v_cvt_f32_ubyte0_e32 v4, v6
	v_mad_u32_u24 v32, v6, s18, v0
	;; [unrolled: 2-line block ×3, first 2 shown]
	v_cvt_f16_f32_e32 v5, v35
	v_cvt_f16_f32_e32 v4, v4
	;; [unrolled: 1-line block ×3, first 2 shown]
	v_sub_f16_e32 v7, 0xd400, v7
	v_sub_f16_e32 v5, 0xd400, v5
	;; [unrolled: 1-line block ×4, first 2 shown]
	v_mul_u32_u24_e32 v35, 0x10001, v7
	v_mul_u32_u24_e32 v38, 0x10001, v5
	;; [unrolled: 1-line block ×4, first 2 shown]
	s_branch .LBB29_13
.LBB29_16:
	s_mul_i32 s7, s7, s16
	v_add_u32_e32 v0, s7, v1
	v_ashrrev_i32_e32 v1, 31, v0
	v_lshlrev_b64 v[1:2], 1, v[0:1]
	v_mov_b32_e32 v3, s15
	v_add_co_u32_e32 v1, vcc, s14, v1
	v_addc_co_u32_e32 v2, vcc, v3, v2, vcc
	global_load_dword v4, v[1:2], off
	v_cvt_f16_f32_e32 v3, v23
	v_cvt_f16_f32_e32 v5, v24
	s_mov_b64 s[0:1], 0
	v_pack_b32_f16 v5, v3, v5
.LBB29_17:                              ; =>This Inner Loop Header: Depth=1
	s_waitcnt vmcnt(0)
	v_pk_add_f16 v3, v5, v4
	global_atomic_cmpswap v3, v[1:2], v[3:4], off glc
	s_waitcnt vmcnt(0)
	v_cmp_eq_u32_e32 vcc, v4, v3
	s_or_b64 s[0:1], vcc, s[0:1]
	v_mov_b32_e32 v4, v3
	s_andn2_b64 exec, exec, s[0:1]
	s_cbranch_execnz .LBB29_17
; %bb.18:
	s_or_b64 exec, exec, s[0:1]
	global_load_dword v4, v[1:2], off offset:4
	v_cvt_f16_f32_e32 v3, v22
	v_cvt_f16_f32_e32 v5, v21
	s_mov_b64 s[0:1], 0
	v_pack_b32_f16 v5, v3, v5
.LBB29_19:                              ; =>This Inner Loop Header: Depth=1
	s_waitcnt vmcnt(0)
	v_pk_add_f16 v3, v5, v4
	global_atomic_cmpswap v3, v[1:2], v[3:4], off offset:4 glc
	s_waitcnt vmcnt(0)
	v_cmp_eq_u32_e32 vcc, v4, v3
	s_or_b64 s[0:1], vcc, s[0:1]
	v_mov_b32_e32 v4, v3
	s_andn2_b64 exec, exec, s[0:1]
	s_cbranch_execnz .LBB29_19
; %bb.20:
	s_or_b64 exec, exec, s[0:1]
	v_add_u32_e32 v0, s16, v0
	v_ashrrev_i32_e32 v1, 31, v0
	v_lshlrev_b64 v[1:2], 1, v[0:1]
	v_mov_b32_e32 v3, s15
	v_add_co_u32_e32 v1, vcc, s14, v1
	v_addc_co_u32_e32 v2, vcc, v3, v2, vcc
	global_load_dword v4, v[1:2], off
	v_cvt_f16_f32_e32 v3, v20
	v_cvt_f16_f32_e32 v5, v19
	s_mov_b64 s[0:1], 0
	v_pack_b32_f16 v5, v3, v5
.LBB29_21:                              ; =>This Inner Loop Header: Depth=1
	s_waitcnt vmcnt(0)
	v_pk_add_f16 v3, v5, v4
	global_atomic_cmpswap v3, v[1:2], v[3:4], off glc
	s_waitcnt vmcnt(0)
	v_cmp_eq_u32_e32 vcc, v4, v3
	s_or_b64 s[0:1], vcc, s[0:1]
	v_mov_b32_e32 v4, v3
	s_andn2_b64 exec, exec, s[0:1]
	s_cbranch_execnz .LBB29_21
; %bb.22:
	s_or_b64 exec, exec, s[0:1]
	global_load_dword v4, v[1:2], off offset:4
	v_cvt_f16_f32_e32 v3, v18
	v_cvt_f16_f32_e32 v5, v17
	s_mov_b64 s[0:1], 0
	v_pack_b32_f16 v5, v3, v5
.LBB29_23:                              ; =>This Inner Loop Header: Depth=1
	s_waitcnt vmcnt(0)
	v_pk_add_f16 v3, v5, v4
	global_atomic_cmpswap v3, v[1:2], v[3:4], off offset:4 glc
	s_waitcnt vmcnt(0)
	v_cmp_eq_u32_e32 vcc, v4, v3
	s_or_b64 s[0:1], vcc, s[0:1]
	v_mov_b32_e32 v4, v3
	s_andn2_b64 exec, exec, s[0:1]
	s_cbranch_execnz .LBB29_23
; %bb.24:
	s_or_b64 exec, exec, s[0:1]
	;; [unrolled: 40-line block ×3, first 2 shown]
	v_add_u32_e32 v0, s16, v0
	v_ashrrev_i32_e32 v1, 31, v0
	v_lshlrev_b64 v[0:1], 1, v[0:1]
	v_mov_b32_e32 v2, s15
	v_add_co_u32_e32 v0, vcc, s14, v0
	v_addc_co_u32_e32 v1, vcc, v2, v1, vcc
	global_load_dword v3, v[0:1], off
	v_cvt_f16_f32_e32 v2, v9
	v_cvt_f16_f32_e32 v4, v8
	s_mov_b64 s[0:1], 0
	v_pack_b32_f16 v4, v2, v4
.LBB29_29:                              ; =>This Inner Loop Header: Depth=1
	s_waitcnt vmcnt(0)
	v_pk_add_f16 v2, v4, v3
	global_atomic_cmpswap v2, v[0:1], v[2:3], off glc
	s_waitcnt vmcnt(0)
	v_cmp_eq_u32_e32 vcc, v3, v2
	s_or_b64 s[0:1], vcc, s[0:1]
	v_mov_b32_e32 v3, v2
	s_andn2_b64 exec, exec, s[0:1]
	s_cbranch_execnz .LBB29_29
; %bb.30:
	s_or_b64 exec, exec, s[0:1]
	global_load_dword v3, v[0:1], off offset:4
	v_cvt_f16_f32_e32 v2, v11
	v_cvt_f16_f32_e32 v4, v10
	s_mov_b64 s[0:1], 0
	v_pack_b32_f16 v4, v2, v4
.LBB29_31:                              ; =>This Inner Loop Header: Depth=1
	s_waitcnt vmcnt(0)
	v_pk_add_f16 v2, v4, v3
	global_atomic_cmpswap v2, v[0:1], v[2:3], off offset:4 glc
	s_waitcnt vmcnt(0)
	v_cmp_eq_u32_e32 vcc, v3, v2
	s_or_b64 s[0:1], vcc, s[0:1]
	v_mov_b32_e32 v3, v2
	s_andn2_b64 exec, exec, s[0:1]
	s_cbranch_execnz .LBB29_31
.LBB29_32:
	s_endpgm
	.section	.rodata,"a",@progbits
	.p2align	6, 0x0
	.amdhsa_kernel _ZN4vllm4gptq33gemm_half_q_half_gptq_4bit_kernelILb1ELi4EEEvPK6__halfPKjS6_S4_PS2_iiiibPKi
		.amdhsa_group_segment_fixed_size 1024
		.amdhsa_private_segment_fixed_size 0
		.amdhsa_kernarg_size 72
		.amdhsa_user_sgpr_count 6
		.amdhsa_user_sgpr_private_segment_buffer 1
		.amdhsa_user_sgpr_dispatch_ptr 0
		.amdhsa_user_sgpr_queue_ptr 0
		.amdhsa_user_sgpr_kernarg_segment_ptr 1
		.amdhsa_user_sgpr_dispatch_id 0
		.amdhsa_user_sgpr_flat_scratch_init 0
		.amdhsa_user_sgpr_private_segment_size 0
		.amdhsa_uses_dynamic_stack 0
		.amdhsa_system_sgpr_private_segment_wavefront_offset 0
		.amdhsa_system_sgpr_workgroup_id_x 1
		.amdhsa_system_sgpr_workgroup_id_y 1
		.amdhsa_system_sgpr_workgroup_id_z 1
		.amdhsa_system_sgpr_workgroup_info 0
		.amdhsa_system_vgpr_workitem_id 0
		.amdhsa_next_free_vgpr 61
		.amdhsa_next_free_sgpr 26
		.amdhsa_reserve_vcc 1
		.amdhsa_reserve_flat_scratch 0
		.amdhsa_float_round_mode_32 0
		.amdhsa_float_round_mode_16_64 0
		.amdhsa_float_denorm_mode_32 3
		.amdhsa_float_denorm_mode_16_64 3
		.amdhsa_dx10_clamp 1
		.amdhsa_ieee_mode 1
		.amdhsa_fp16_overflow 0
		.amdhsa_exception_fp_ieee_invalid_op 0
		.amdhsa_exception_fp_denorm_src 0
		.amdhsa_exception_fp_ieee_div_zero 0
		.amdhsa_exception_fp_ieee_overflow 0
		.amdhsa_exception_fp_ieee_underflow 0
		.amdhsa_exception_fp_ieee_inexact 0
		.amdhsa_exception_int_div_zero 0
	.end_amdhsa_kernel
	.section	.text._ZN4vllm4gptq33gemm_half_q_half_gptq_4bit_kernelILb1ELi4EEEvPK6__halfPKjS6_S4_PS2_iiiibPKi,"axG",@progbits,_ZN4vllm4gptq33gemm_half_q_half_gptq_4bit_kernelILb1ELi4EEEvPK6__halfPKjS6_S4_PS2_iiiibPKi,comdat
.Lfunc_end29:
	.size	_ZN4vllm4gptq33gemm_half_q_half_gptq_4bit_kernelILb1ELi4EEEvPK6__halfPKjS6_S4_PS2_iiiibPKi, .Lfunc_end29-_ZN4vllm4gptq33gemm_half_q_half_gptq_4bit_kernelILb1ELi4EEEvPK6__halfPKjS6_S4_PS2_iiiibPKi
                                        ; -- End function
	.set _ZN4vllm4gptq33gemm_half_q_half_gptq_4bit_kernelILb1ELi4EEEvPK6__halfPKjS6_S4_PS2_iiiibPKi.num_vgpr, 61
	.set _ZN4vllm4gptq33gemm_half_q_half_gptq_4bit_kernelILb1ELi4EEEvPK6__halfPKjS6_S4_PS2_iiiibPKi.num_agpr, 0
	.set _ZN4vllm4gptq33gemm_half_q_half_gptq_4bit_kernelILb1ELi4EEEvPK6__halfPKjS6_S4_PS2_iiiibPKi.numbered_sgpr, 26
	.set _ZN4vllm4gptq33gemm_half_q_half_gptq_4bit_kernelILb1ELi4EEEvPK6__halfPKjS6_S4_PS2_iiiibPKi.num_named_barrier, 0
	.set _ZN4vllm4gptq33gemm_half_q_half_gptq_4bit_kernelILb1ELi4EEEvPK6__halfPKjS6_S4_PS2_iiiibPKi.private_seg_size, 0
	.set _ZN4vllm4gptq33gemm_half_q_half_gptq_4bit_kernelILb1ELi4EEEvPK6__halfPKjS6_S4_PS2_iiiibPKi.uses_vcc, 1
	.set _ZN4vllm4gptq33gemm_half_q_half_gptq_4bit_kernelILb1ELi4EEEvPK6__halfPKjS6_S4_PS2_iiiibPKi.uses_flat_scratch, 0
	.set _ZN4vllm4gptq33gemm_half_q_half_gptq_4bit_kernelILb1ELi4EEEvPK6__halfPKjS6_S4_PS2_iiiibPKi.has_dyn_sized_stack, 0
	.set _ZN4vllm4gptq33gemm_half_q_half_gptq_4bit_kernelILb1ELi4EEEvPK6__halfPKjS6_S4_PS2_iiiibPKi.has_recursion, 0
	.set _ZN4vllm4gptq33gemm_half_q_half_gptq_4bit_kernelILb1ELi4EEEvPK6__halfPKjS6_S4_PS2_iiiibPKi.has_indirect_call, 0
	.section	.AMDGPU.csdata,"",@progbits
; Kernel info:
; codeLenInByte = 7780
; TotalNumSgprs: 30
; NumVgprs: 61
; ScratchSize: 0
; MemoryBound: 0
; FloatMode: 240
; IeeeMode: 1
; LDSByteSize: 1024 bytes/workgroup (compile time only)
; SGPRBlocks: 3
; VGPRBlocks: 15
; NumSGPRsForWavesPerEU: 30
; NumVGPRsForWavesPerEU: 61
; Occupancy: 4
; WaveLimiterHint : 0
; COMPUTE_PGM_RSRC2:SCRATCH_EN: 0
; COMPUTE_PGM_RSRC2:USER_SGPR: 6
; COMPUTE_PGM_RSRC2:TRAP_HANDLER: 0
; COMPUTE_PGM_RSRC2:TGID_X_EN: 1
; COMPUTE_PGM_RSRC2:TGID_Y_EN: 1
; COMPUTE_PGM_RSRC2:TGID_Z_EN: 1
; COMPUTE_PGM_RSRC2:TIDIG_COMP_CNT: 0
	.section	.text._ZN4vllm4gptq33gemm_half_q_half_gptq_8bit_kernelILb1ELi4EEEvPK6__halfPKjS6_S4_PS2_iiiibPKi,"axG",@progbits,_ZN4vllm4gptq33gemm_half_q_half_gptq_8bit_kernelILb1ELi4EEEvPK6__halfPKjS6_S4_PS2_iiiibPKi,comdat
	.protected	_ZN4vllm4gptq33gemm_half_q_half_gptq_8bit_kernelILb1ELi4EEEvPK6__halfPKjS6_S4_PS2_iiiibPKi ; -- Begin function _ZN4vllm4gptq33gemm_half_q_half_gptq_8bit_kernelILb1ELi4EEEvPK6__halfPKjS6_S4_PS2_iiiibPKi
	.globl	_ZN4vllm4gptq33gemm_half_q_half_gptq_8bit_kernelILb1ELi4EEEvPK6__halfPKjS6_S4_PS2_iiiibPKi
	.p2align	8
	.type	_ZN4vllm4gptq33gemm_half_q_half_gptq_8bit_kernelILb1ELi4EEEvPK6__halfPKjS6_S4_PS2_iiiibPKi,@function
_ZN4vllm4gptq33gemm_half_q_half_gptq_8bit_kernelILb1ELi4EEEvPK6__halfPKjS6_S4_PS2_iiiibPKi: ; @_ZN4vllm4gptq33gemm_half_q_half_gptq_8bit_kernelILb1ELi4EEEvPK6__halfPKjS6_S4_PS2_iiiibPKi
; %bb.0:
	s_mov_b64 s[30:31], s[2:3]
	s_load_dwordx4 s[16:19], s[4:5], 0x2c
	s_mov_b64 s[28:29], s[0:1]
	s_add_u32 s28, s28, s9
	s_addc_u32 s29, s29, 0
	s_lshl_b32 s24, s8, 7
	s_add_i32 s0, s24, 0x80
	v_cvt_f64_u32_e32 v[1:2], s0
	s_waitcnt lgkmcnt(0)
	v_cvt_f64_i32_e32 v[3:4], s17
	s_load_dwordx8 s[8:15], s[4:5], 0x8
	s_lshl_b32 s7, s7, 2
	v_min_f64 v[1:2], v[1:2], v[3:4]
	v_cvt_i32_f64_e32 v2, v[1:2]
	v_add_u32_e32 v1, s24, v0
	v_readfirstlane_b32 s25, v2
	v_cmp_lt_u32_e32 vcc, v1, v2
	s_and_saveexec_b64 s[2:3], vcc
	s_cbranch_execz .LBB30_10
; %bb.1:
	s_load_dwordx2 s[0:1], s[4:5], 0x40
	s_load_dwordx2 s[20:21], s[4:5], 0x0
	v_mov_b32_e32 v2, 0
	v_lshlrev_b64 v[3:4], 2, v[1:2]
	s_waitcnt lgkmcnt(0)
	v_mov_b32_e32 v5, s1
	v_add_co_u32_e32 v3, vcc, s0, v3
	s_cmp_lg_u64 s[0:1], 0
	v_addc_co_u32_e32 v4, vcc, v5, v4, vcc
	v_mov_b32_e32 v6, v2
	s_cselect_b64 s[4:5], -1, 0
	s_cmp_eq_u64 s[0:1], 0
	v_mov_b32_e32 v5, v1
	s_cbranch_scc1 .LBB30_3
; %bb.2:
	global_load_dword v5, v[3:4], off
	s_waitcnt vmcnt(0)
	v_ashrrev_i32_e32 v6, 31, v5
.LBB30_3:
	s_mul_i32 s22, s7, s17
	s_ashr_i32 s23, s22, 31
	s_lshl_b64 s[0:1], s[22:23], 1
	s_add_u32 s0, s20, s0
	v_lshlrev_b64 v[5:6], 1, v[5:6]
	s_addc_u32 s1, s21, s1
	v_mov_b32_e32 v7, s1
	v_add_co_u32_e32 v5, vcc, s0, v5
	v_addc_co_u32_e32 v6, vcc, v7, v6, vcc
	global_load_ushort v5, v[5:6], off
	v_lshlrev_b32_e32 v7, 1, v0
	v_cndmask_b32_e64 v6, 0, 1, s[4:5]
	v_cmp_ne_u32_e64 s[0:1], 1, v6
	s_andn2_b64 vcc, exec, s[4:5]
	s_waitcnt vmcnt(0)
	ds_write_b16 v7, v5
	v_mov_b32_e32 v6, v2
	v_mov_b32_e32 v5, v1
	s_cbranch_vccnz .LBB30_5
; %bb.4:
	global_load_dword v5, v[3:4], off
	s_waitcnt vmcnt(0)
	v_ashrrev_i32_e32 v6, 31, v5
.LBB30_5:
	s_add_i32 s4, s22, s17
	s_ashr_i32 s5, s4, 31
	s_lshl_b64 s[22:23], s[4:5], 1
	s_add_u32 s5, s20, s22
	v_lshlrev_b64 v[5:6], 1, v[5:6]
	s_addc_u32 s22, s21, s23
	v_mov_b32_e32 v8, s22
	v_add_co_u32_e32 v5, vcc, s5, v5
	v_addc_co_u32_e32 v6, vcc, v8, v6, vcc
	global_load_ushort v5, v[5:6], off
	s_and_b64 vcc, exec, s[0:1]
	s_waitcnt vmcnt(0)
	ds_write_b16 v7, v5 offset:256
	v_mov_b32_e32 v6, v2
	v_mov_b32_e32 v5, v1
	s_cbranch_vccnz .LBB30_7
; %bb.6:
	global_load_dword v5, v[3:4], off
	s_waitcnt vmcnt(0)
	v_ashrrev_i32_e32 v6, 31, v5
.LBB30_7:
	s_add_i32 s4, s4, s17
	s_ashr_i32 s5, s4, 31
	s_lshl_b64 s[22:23], s[4:5], 1
	s_add_u32 s5, s20, s22
	v_lshlrev_b64 v[5:6], 1, v[5:6]
	s_addc_u32 s22, s21, s23
	v_mov_b32_e32 v8, s22
	v_add_co_u32_e32 v5, vcc, s5, v5
	v_addc_co_u32_e32 v6, vcc, v8, v6, vcc
	global_load_ushort v5, v[5:6], off
	s_and_b64 vcc, exec, s[0:1]
	s_waitcnt vmcnt(0)
	ds_write_b16 v7, v5 offset:512
	s_cbranch_vccnz .LBB30_9
; %bb.8:
	global_load_dword v1, v[3:4], off
	s_waitcnt vmcnt(0)
	v_ashrrev_i32_e32 v2, 31, v1
.LBB30_9:
	s_add_i32 s0, s4, s17
	s_ashr_i32 s1, s0, 31
	s_lshl_b64 s[0:1], s[0:1], 1
	s_add_u32 s0, s20, s0
	v_lshlrev_b64 v[1:2], 1, v[1:2]
	s_addc_u32 s1, s21, s1
	v_mov_b32_e32 v3, s1
	v_add_co_u32_e32 v1, vcc, s0, v1
	v_addc_co_u32_e32 v2, vcc, v3, v2, vcc
	global_load_ushort v1, v[1:2], off
	s_waitcnt vmcnt(0)
	ds_write_b16 v7, v1 offset:768
.LBB30_10:
	s_or_b64 exec, exec, s[2:3]
	v_lshlrev_b32_e32 v0, 2, v0
	v_lshl_add_u32 v1, s6, 9, v0
	v_mov_b32_e32 v0, v1
	buffer_store_dword v0, off, s[28:31], 0 offset:88 ; 4-byte Folded Spill
	s_nop 0
	buffer_store_dword v1, off, s[28:31], 0 offset:92 ; 4-byte Folded Spill
	v_cmp_gt_i32_e32 vcc, s16, v1
	s_and_saveexec_b64 s[0:1], vcc
	s_cbranch_execz .LBB30_33
; %bb.11:
	s_abs_i32 s0, s18
	v_cvt_f32_u32_e32 v0, s0
	s_mov_b32 s4, 0
	v_mov_b32_e32 v16, 0
	v_mov_b32_e32 v15, 0
	v_rcp_iflag_f32_e32 v0, v0
	v_mov_b32_e32 v36, 0
	v_mov_b32_e32 v6, 0
	s_cmp_ge_i32 s24, s25
	v_mul_f32_e32 v0, 0x4f7ffffe, v0
	v_cvt_u32_f32_e32 v0, v0
	v_mov_b32_e32 v21, 0
	v_mov_b32_e32 v11, 0
	;; [unrolled: 1-line block ×3, first 2 shown]
	v_readfirstlane_b32 s1, v0
	v_mov_b32_e32 v17, 0
	s_waitcnt vmcnt(0) lgkmcnt(0)
	s_barrier
	s_cbranch_scc1 .LBB30_17
; %bb.12:
	buffer_load_dword v1, off, s[28:31], 0 offset:88 ; 4-byte Folded Reload
	buffer_load_dword v2, off, s[28:31], 0 offset:92 ; 4-byte Folded Reload
	s_sub_i32 s6, 0, s0
	s_mul_i32 s6, s6, s1
	s_mul_hi_u32 s6, s1, s6
	s_abs_i32 s5, s17
	s_add_i32 s1, s1, s6
	s_ashr_i32 s2, s17, 31
	s_ashr_i32 s3, s18, 31
	s_mul_hi_u32 s1, s5, s1
	s_xor_b32 s2, s2, s3
	s_mul_i32 s3, s1, s0
	s_sub_i32 s3, s5, s3
	s_add_i32 s5, s1, 1
	s_sub_i32 s6, s3, s0
	s_cmp_ge_u32 s3, s0
	s_cselect_b32 s1, s5, s1
	s_cselect_b32 s3, s6, s3
	s_add_i32 s5, s1, 1
	s_cmp_ge_u32 s3, s0
	s_cselect_b32 s0, s5, s1
	s_xor_b32 s0, s0, s2
	s_sub_i32 s5, s0, s2
	v_cvt_f32_u32_e32 v0, s5
	s_bitcmp1_b32 s19, 0
	s_cselect_b64 s[0:1], -1, 0
	s_sub_i32 s2, 0, s5
	v_rcp_iflag_f32_e32 v0, v0
	s_xor_b64 s[0:1], s[0:1], -1
	v_mov_b32_e32 v5, s11
	v_mov_b32_e32 v4, s13
	v_mul_f32_e32 v0, 0x4f7ffffe, v0
	v_cvt_u32_f32_e32 v0, v0
	v_mov_b32_e32 v17, 0
	v_mov_b32_e32 v8, 0
	;; [unrolled: 1-line block ×3, first 2 shown]
	v_readfirstlane_b32 s3, v0
	s_mul_i32 s2, s2, s3
	s_mul_hi_u32 s2, s3, s2
	s_add_i32 s3, s3, s2
	s_mul_hi_u32 s2, s24, s3
	s_mul_i32 s3, s2, s5
	s_sub_i32 s3, s24, s3
	s_add_i32 s6, s2, 1
	s_sub_i32 s17, s3, s5
	s_cmp_ge_u32 s3, s5
	s_cselect_b32 s2, s6, s2
	s_cselect_b32 s3, s17, s3
	s_add_i32 s6, s2, 1
	s_cmp_ge_u32 s3, s5
	s_cselect_b32 s6, s6, s2
	s_mul_i32 s2, s6, s16
	s_ashr_i32 s3, s2, 31
	s_lshr_b32 s3, s3, 30
	v_mov_b32_e32 v21, 0
	v_mov_b32_e32 v36, 0
	;; [unrolled: 1-line block ×4, first 2 shown]
	s_waitcnt vmcnt(1)
	v_mov_b32_e32 v6, v1
	v_add_u32_e32 v0, s2, v6
	s_add_i32 s2, s2, s3
	s_waitcnt vmcnt(0)
	v_ashrrev_i32_e32 v2, 2, v6
	s_ashr_i32 s2, s2, 2
	buffer_store_dword v2, off, s[28:31], 0 offset:96 ; 4-byte Folded Spill
	v_add_u32_e32 v2, s2, v2
	v_ashrrev_i32_e32 v3, 31, v2
	v_lshlrev_b64 v[2:3], 2, v[2:3]
	v_ashrrev_i32_e32 v1, 31, v0
	v_lshlrev_b64 v[0:1], 1, v[0:1]
	v_add_co_u32_e32 v2, vcc, s10, v2
	v_addc_co_u32_e32 v3, vcc, v5, v3, vcc
	v_add_co_u32_e32 v0, vcc, s12, v0
	global_load_dword v2, v[2:3], off
	v_addc_co_u32_e32 v1, vcc, v4, v1, vcc
	global_load_dwordx2 v[18:19], v[0:1], off
	v_cndmask_b32_e64 v3, 0, 1, s[0:1]
	s_lshr_b32 s0, s24, 2
	v_mov_b32_e32 v0, 0
	s_mul_i32 s0, s16, s0
	buffer_store_dword v0, off, s[28:31], 0 offset:12 ; 4-byte Folded Spill
	v_mov_b32_e32 v0, v6
	s_ashr_i32 s1, s0, 31
	v_ashrrev_i32_e32 v7, 31, v6
	buffer_store_dword v0, off, s[28:31], 0 offset:88 ; 4-byte Folded Spill
	s_nop 0
	buffer_store_dword v1, off, s[28:31], 0 offset:92 ; 4-byte Folded Spill
	s_lshl_b64 s[0:1], s[0:1], 2
	v_lshlrev_b64 v[0:1], 2, v[6:7]
	s_add_u32 s18, s8, s0
	s_addc_u32 s0, s9, s1
	buffer_store_dword v3, off, s[28:31], 0 offset:84 ; 4-byte Folded Spill
	s_ashr_i32 s17, s16, 31
	v_mov_b32_e32 v3, s0
	v_add_co_u32_e32 v4, vcc, s18, v0
	s_add_i32 s8, s5, s24
	s_lshl_b64 s[0:1], s[16:17], 5
	s_lshl_b64 s[2:3], s[16:17], 2
	v_addc_co_u32_e32 v5, vcc, v3, v1, vcc
	s_waitcnt vmcnt(5)
	v_and_b32_e32 v1, 0xff, v2
	v_bfe_u32 v3, v2, 8, 8
	v_bfe_u32 v6, v2, 16, 8
	v_lshrrev_b32_e32 v2, 24, v2
.LBB30_13:                              ; =>This Inner Loop Header: Depth=1
	s_cmp_lg_u32 s24, s8
	buffer_store_dword v11, off, s[28:31], 0 offset:16 ; 4-byte Folded Spill
	buffer_store_dword v21, off, s[28:31], 0 offset:20 ; 4-byte Folded Spill
	;; [unrolled: 1-line block ×3, first 2 shown]
	s_cbranch_scc1 .LBB30_15
; %bb.14:                               ;   in Loop: Header=BB30_13 Depth=1
	buffer_load_dword v0, off, s[28:31], 0 offset:96 ; 4-byte Folded Reload
	s_add_i32 s6, s6, 1
	s_mul_i32 s9, s6, s16
	s_ashr_i32 s17, s9, 31
	s_lshr_b32 s17, s17, 30
	s_add_i32 s17, s9, s17
	s_ashr_i32 s17, s17, 2
	s_waitcnt vmcnt(4)
	v_mov_b32_e32 v2, s11
	v_mov_b32_e32 v3, s13
	s_add_i32 s8, s8, s5
	s_waitcnt vmcnt(0)
	v_add_u32_e32 v0, s17, v0
	v_ashrrev_i32_e32 v1, 31, v0
	v_lshlrev_b64 v[0:1], 2, v[0:1]
	v_add_co_u32_e32 v0, vcc, s10, v0
	v_addc_co_u32_e32 v1, vcc, v2, v1, vcc
	global_load_dword v2, v[0:1], off
	s_nop 0
	buffer_load_dword v0, off, s[28:31], 0 offset:88 ; 4-byte Folded Reload
	buffer_load_dword v1, off, s[28:31], 0 offset:92 ; 4-byte Folded Reload
	s_waitcnt vmcnt(1)
	v_add_u32_e32 v0, s9, v0
	s_waitcnt vmcnt(0)
	v_ashrrev_i32_e32 v1, 31, v0
	v_lshlrev_b64 v[0:1], 1, v[0:1]
	v_bfe_u32 v6, v2, 16, 8
	v_add_co_u32_e32 v0, vcc, s12, v0
	v_addc_co_u32_e32 v1, vcc, v3, v1, vcc
	global_load_dwordx2 v[18:19], v[0:1], off
	v_and_b32_e32 v1, 0xff, v2
	v_bfe_u32 v3, v2, 8, 8
	v_lshrrev_b32_e32 v2, 24, v2
.LBB30_15:                              ;   in Loop: Header=BB30_13 Depth=1
	buffer_load_dword v0, off, s[28:31], 0 offset:84 ; 4-byte Folded Reload
	v_mov_b32_e32 v29, s4
	s_waitcnt vmcnt(7)
	buffer_store_dword v1, off, s[28:31], 0 offset:68 ; 4-byte Folded Spill
	s_waitcnt vmcnt(7)
	buffer_store_dword v3, off, s[28:31], 0 offset:72 ; 4-byte Folded Spill
	;; [unrolled: 2-line block ×4, first 2 shown]
	buffer_store_dword v4, off, s[28:31], 0 ; 4-byte Folded Spill
	s_nop 0
	buffer_store_dword v5, off, s[28:31], 0 offset:4 ; 4-byte Folded Spill
	s_add_i32 s24, s24, 32
	s_add_i32 s4, s4, 64
	s_cmp_ge_i32 s24, s25
	s_waitcnt vmcnt(6)
	v_add_u32_e32 v33, v1, v0
	v_add_u32_e32 v32, v3, v0
	;; [unrolled: 1-line block ×4, first 2 shown]
	buffer_load_dword v0, off, s[28:31], 0  ; 4-byte Folded Reload
	buffer_load_dword v1, off, s[28:31], 0 offset:4 ; 4-byte Folded Reload
	v_mov_b32_e32 v2, s3
	s_waitcnt vmcnt(0)
	global_load_dwordx4 v[4:7], v[0:1], off
	s_nop 0
	buffer_load_dword v0, off, s[28:31], 0  ; 4-byte Folded Reload
	buffer_load_dword v1, off, s[28:31], 0 offset:4 ; 4-byte Folded Reload
	s_waitcnt vmcnt(1)
	v_add_co_u32_e32 v12, vcc, s2, v0
	buffer_store_dword v2, off, s[28:31], 0 offset:8 ; 4-byte Folded Spill
	buffer_load_dword v0, off, s[28:31], 0  ; 4-byte Folded Reload
	buffer_load_dword v1, off, s[28:31], 0 offset:4 ; 4-byte Folded Reload
	v_sub_u32_sdwa v8, v4, v33 dst_sel:DWORD dst_unused:UNUSED_PAD src0_sel:BYTE_0 src1_sel:DWORD
	v_cvt_f32_i32_e32 v8, v8
	v_cvt_f16_f32_e32 v35, v8
	v_sub_u32_sdwa v8, v4, v33 dst_sel:DWORD dst_unused:UNUSED_PAD src0_sel:BYTE_1 src1_sel:DWORD
	v_cvt_f32_i32_e32 v8, v8
	v_cvt_f16_f32_e32 v25, v8
	v_sub_u32_sdwa v8, v4, v33 dst_sel:DWORD dst_unused:UNUSED_PAD src0_sel:BYTE_2 src1_sel:DWORD
	v_sub_u32_sdwa v4, v4, v33 dst_sel:DWORD dst_unused:UNUSED_PAD src0_sel:BYTE_3 src1_sel:DWORD
	v_cvt_f32_i32_e32 v4, v4
	v_cvt_f32_i32_e32 v8, v8
	v_cvt_f16_f32_e32 v27, v4
	v_cvt_f16_f32_e32 v26, v8
	s_waitcnt vmcnt(0)
	v_addc_co_u32_e32 v13, vcc, v1, v2, vcc
	global_load_dwordx4 v[0:3], v[12:13], off
	v_add_co_u32_e32 v12, vcc, s2, v12
	s_waitcnt vmcnt(0)
	v_sub_u32_sdwa v4, v0, v33 dst_sel:DWORD dst_unused:UNUSED_PAD src0_sel:BYTE_0 src1_sel:DWORD
	v_cvt_f32_i32_e32 v4, v4
	v_cvt_f16_f32_e32 v28, v4
	v_sub_u32_sdwa v4, v0, v33 dst_sel:DWORD dst_unused:UNUSED_PAD src0_sel:BYTE_1 src1_sel:DWORD
	v_cvt_f32_i32_e32 v4, v4
	v_cvt_f16_f32_e32 v39, v4
	v_sub_u32_sdwa v4, v0, v33 dst_sel:DWORD dst_unused:UNUSED_PAD src0_sel:BYTE_2 src1_sel:DWORD
	v_sub_u32_sdwa v0, v0, v33 dst_sel:DWORD dst_unused:UNUSED_PAD src0_sel:BYTE_3 src1_sel:DWORD
	v_cvt_f32_i32_e32 v0, v0
	v_cvt_f32_i32_e32 v4, v4
	v_cvt_f16_f32_e32 v41, v0
	v_sub_u32_sdwa v0, v5, v32 dst_sel:DWORD dst_unused:UNUSED_PAD src0_sel:BYTE_0 src1_sel:DWORD
	v_cvt_f32_i32_e32 v0, v0
	v_cvt_f16_f32_e32 v40, v4
	v_cvt_f16_f32_e32 v42, v0
	v_sub_u32_sdwa v0, v5, v32 dst_sel:DWORD dst_unused:UNUSED_PAD src0_sel:BYTE_1 src1_sel:DWORD
	v_cvt_f32_i32_e32 v0, v0
	v_cvt_f16_f32_e32 v43, v0
	v_sub_u32_sdwa v0, v5, v32 dst_sel:DWORD dst_unused:UNUSED_PAD src0_sel:BYTE_2 src1_sel:DWORD
	v_cvt_f32_i32_e32 v0, v0
	v_cvt_f16_f32_e32 v44, v0
	v_sub_u32_sdwa v0, v5, v32 dst_sel:DWORD dst_unused:UNUSED_PAD src0_sel:BYTE_3 src1_sel:DWORD
	v_cvt_f32_i32_e32 v0, v0
	v_cvt_f16_f32_e32 v45, v0
	v_sub_u32_sdwa v0, v1, v32 dst_sel:DWORD dst_unused:UNUSED_PAD src0_sel:BYTE_0 src1_sel:DWORD
	v_cvt_f32_i32_e32 v0, v0
	v_cvt_f16_f32_e32 v46, v0
	v_sub_u32_sdwa v0, v1, v32 dst_sel:DWORD dst_unused:UNUSED_PAD src0_sel:BYTE_1 src1_sel:DWORD
	v_cvt_f32_i32_e32 v0, v0
	v_cvt_f16_f32_e32 v47, v0
	v_sub_u32_sdwa v0, v1, v32 dst_sel:DWORD dst_unused:UNUSED_PAD src0_sel:BYTE_2 src1_sel:DWORD
	v_cvt_f32_i32_e32 v0, v0
	v_cvt_f16_f32_e32 v48, v0
	v_sub_u32_sdwa v0, v1, v32 dst_sel:DWORD dst_unused:UNUSED_PAD src0_sel:BYTE_3 src1_sel:DWORD
	v_cvt_f32_i32_e32 v0, v0
	v_cvt_f16_f32_e32 v49, v0
	v_sub_u32_sdwa v0, v6, v31 dst_sel:DWORD dst_unused:UNUSED_PAD src0_sel:BYTE_0 src1_sel:DWORD
	v_cvt_f32_i32_e32 v0, v0
	;; [unrolled: 12-line block ×5, first 2 shown]
	v_cvt_f16_f32_e32 v38, v0
	v_sub_u32_sdwa v0, v3, v30 dst_sel:DWORD dst_unused:UNUSED_PAD src0_sel:BYTE_1 src1_sel:DWORD
	v_cvt_f32_i32_e32 v0, v0
	v_cvt_f16_f32_e32 v61, v0
	v_sub_u32_sdwa v0, v3, v30 dst_sel:DWORD dst_unused:UNUSED_PAD src0_sel:BYTE_2 src1_sel:DWORD
	v_cvt_f32_i32_e32 v0, v0
	v_cvt_f16_f32_e32 v62, v0
	v_sub_u32_sdwa v0, v3, v30 dst_sel:DWORD dst_unused:UNUSED_PAD src0_sel:BYTE_3 src1_sel:DWORD
	v_cvt_f32_i32_e32 v0, v0
	v_cvt_f16_f32_e32 v20, v0
	ds_read_b128 v[0:3], v29
	ds_read_b128 v[8:11], v29 offset:16
	ds_read_b128 v[4:7], v29 offset:32
	;; [unrolled: 1-line block ×3, first 2 shown]
	s_waitcnt lgkmcnt(3)
	v_fma_mix_f32 v14, v35, v0, 0 op_sel_hi:[1,1,0]
	v_fma_mix_f32 v34, v42, v0, 0 op_sel_hi:[1,1,0]
	v_fma_mix_f32 v14, v25, v0, v14 op_sel:[0,1,0] op_sel_hi:[1,1,0]
	v_fma_mix_f32 v34, v43, v0, v34 op_sel:[0,1,0] op_sel_hi:[1,1,0]
	v_fma_mix_f32 v14, v26, v1, v14 op_sel_hi:[1,1,0]
	v_fma_mix_f32 v34, v44, v1, v34 op_sel_hi:[1,1,0]
	v_fma_mix_f32 v14, v27, v1, v14 op_sel:[0,1,0] op_sel_hi:[1,1,0]
	v_fma_mix_f32 v34, v45, v1, v34 op_sel:[0,1,0] op_sel_hi:[1,1,0]
	;; [unrolled: 4-line block ×4, first 2 shown]
	v_fma_mixlo_f16 v14, v14, v18, 0 op_sel_hi:[0,1,0]
	v_fma_mixlo_f16 v34, v34, v18, 0 op_sel:[0,1,0] op_sel_hi:[0,1,0]
	v_add_f16_e32 v14, v16, v14
	v_add_f16_sdwa v63, v16, v34 dst_sel:DWORD dst_unused:UNUSED_PAD src0_sel:WORD_1 src1_sel:DWORD
	v_fma_mix_f32 v16, v50, v0, 0 op_sel_hi:[1,1,0]
	v_fma_mix_f32 v34, v58, v0, 0 op_sel_hi:[1,1,0]
	v_fma_mix_f32 v16, v51, v0, v16 op_sel:[0,1,0] op_sel_hi:[1,1,0]
	v_fma_mix_f32 v0, v59, v0, v34 op_sel:[0,1,0] op_sel_hi:[1,1,0]
	v_fma_mix_f32 v0, v60, v1, v0 op_sel_hi:[1,1,0]
	v_fma_mix_f32 v0, v37, v1, v0 op_sel:[0,1,0] op_sel_hi:[1,1,0]
	v_fma_mix_f32 v16, v52, v1, v16 op_sel_hi:[1,1,0]
	v_fma_mix_f32 v0, v38, v2, v0 op_sel_hi:[1,1,0]
	v_fma_mix_f32 v16, v53, v1, v16 op_sel:[0,1,0] op_sel_hi:[1,1,0]
	v_fma_mix_f32 v0, v61, v2, v0 op_sel:[0,1,0] op_sel_hi:[1,1,0]
	v_fma_mix_f32 v16, v54, v2, v16 op_sel_hi:[1,1,0]
	v_fma_mix_f32 v0, v62, v3, v0 op_sel_hi:[1,1,0]
	v_fma_mix_f32 v16, v55, v2, v16 op_sel:[0,1,0] op_sel_hi:[1,1,0]
	v_fma_mix_f32 v0, v20, v3, v0 op_sel:[0,1,0] op_sel_hi:[1,1,0]
	v_fma_mix_f32 v16, v56, v3, v16 op_sel_hi:[1,1,0]
	v_fma_mixlo_f16 v0, v0, v19, 0 op_sel:[0,1,0] op_sel_hi:[0,1,0]
	v_fma_mix_f32 v16, v57, v3, v16 op_sel:[0,1,0] op_sel_hi:[1,1,0]
	v_add_f16_sdwa v34, v15, v0 dst_sel:DWORD dst_unused:UNUSED_PAD src0_sel:WORD_1 src1_sel:DWORD
	ds_read_b128 v[0:3], v29 offset:256
	v_fma_mixlo_f16 v16, v16, v19, 0 op_sel_hi:[0,1,0]
	v_add_f16_e32 v16, v15, v16
	s_waitcnt lgkmcnt(0)
	v_fma_mix_f32 v15, v35, v0, 0 op_sel_hi:[1,1,0]
	v_fma_mix_f32 v15, v25, v0, v15 op_sel:[0,1,0] op_sel_hi:[1,1,0]
	v_fma_mix_f32 v15, v26, v1, v15 op_sel_hi:[1,1,0]
	v_fma_mix_f32 v15, v27, v1, v15 op_sel:[0,1,0] op_sel_hi:[1,1,0]
	;; [unrolled: 2-line block ×4, first 2 shown]
	v_fma_mixlo_f16 v15, v15, v18, 0 op_sel_hi:[0,1,0]
	v_add_f16_e32 v15, v36, v15
	buffer_store_dword v15, off, s[28:31], 0 offset:36 ; 4-byte Folded Spill
	v_fma_mix_f32 v15, v42, v0, 0 op_sel_hi:[1,1,0]
	v_fma_mix_f32 v15, v43, v0, v15 op_sel:[0,1,0] op_sel_hi:[1,1,0]
	v_fma_mix_f32 v15, v44, v1, v15 op_sel_hi:[1,1,0]
	v_fma_mix_f32 v15, v45, v1, v15 op_sel:[0,1,0] op_sel_hi:[1,1,0]
	;; [unrolled: 2-line block ×4, first 2 shown]
	v_fma_mixlo_f16 v15, v15, v18, 0 op_sel:[0,1,0] op_sel_hi:[0,1,0]
	v_add_f16_sdwa v15, v36, v15 dst_sel:DWORD dst_unused:UNUSED_PAD src0_sel:WORD_1 src1_sel:DWORD
	buffer_load_dword v36, off, s[28:31], 0 offset:12 ; 4-byte Folded Reload
	s_nop 0
	buffer_store_dword v15, off, s[28:31], 0 offset:40 ; 4-byte Folded Spill
	v_fma_mix_f32 v15, v50, v0, 0 op_sel_hi:[1,1,0]
	v_fma_mix_f32 v15, v51, v0, v15 op_sel:[0,1,0] op_sel_hi:[1,1,0]
	v_fma_mix_f32 v15, v52, v1, v15 op_sel_hi:[1,1,0]
	v_fma_mix_f32 v15, v53, v1, v15 op_sel:[0,1,0] op_sel_hi:[1,1,0]
	;; [unrolled: 2-line block ×4, first 2 shown]
	v_fma_mixlo_f16 v15, v15, v19, 0 op_sel_hi:[0,1,0]
	s_waitcnt vmcnt(1)
	v_add_f16_e32 v15, v36, v15
	buffer_store_dword v15, off, s[28:31], 0 offset:44 ; 4-byte Folded Spill
	v_fma_mix_f32 v15, v58, v0, 0 op_sel_hi:[1,1,0]
	v_fma_mix_f32 v0, v59, v0, v15 op_sel:[0,1,0] op_sel_hi:[1,1,0]
	v_fma_mix_f32 v0, v60, v1, v0 op_sel_hi:[1,1,0]
	v_fma_mix_f32 v0, v37, v1, v0 op_sel:[0,1,0] op_sel_hi:[1,1,0]
	;; [unrolled: 2-line block ×4, first 2 shown]
	v_fma_mixlo_f16 v0, v0, v19, 0 op_sel:[0,1,0] op_sel_hi:[0,1,0]
	v_add_f16_sdwa v0, v36, v0 dst_sel:DWORD dst_unused:UNUSED_PAD src0_sel:WORD_1 src1_sel:DWORD
	buffer_load_dword v36, off, s[28:31], 0 offset:20 ; 4-byte Folded Reload
	s_nop 0
	buffer_store_dword v0, off, s[28:31], 0 offset:48 ; 4-byte Folded Spill
	ds_read_b128 v[0:3], v29 offset:512
	s_waitcnt lgkmcnt(0)
	v_fma_mix_f32 v15, v35, v0, 0 op_sel_hi:[1,1,0]
	v_fma_mix_f32 v15, v25, v0, v15 op_sel:[0,1,0] op_sel_hi:[1,1,0]
	v_fma_mix_f32 v15, v26, v1, v15 op_sel_hi:[1,1,0]
	v_fma_mix_f32 v15, v27, v1, v15 op_sel:[0,1,0] op_sel_hi:[1,1,0]
	;; [unrolled: 2-line block ×4, first 2 shown]
	v_fma_mixlo_f16 v15, v15, v18, 0 op_sel_hi:[0,1,0]
	s_waitcnt vmcnt(1)
	v_add_f16_e32 v15, v36, v15
	buffer_store_dword v15, off, s[28:31], 0 offset:52 ; 4-byte Folded Spill
	v_fma_mix_f32 v15, v42, v0, 0 op_sel_hi:[1,1,0]
	v_fma_mix_f32 v15, v43, v0, v15 op_sel:[0,1,0] op_sel_hi:[1,1,0]
	v_fma_mix_f32 v15, v44, v1, v15 op_sel_hi:[1,1,0]
	v_fma_mix_f32 v15, v45, v1, v15 op_sel:[0,1,0] op_sel_hi:[1,1,0]
	;; [unrolled: 2-line block ×4, first 2 shown]
	v_fma_mixlo_f16 v15, v15, v18, 0 op_sel:[0,1,0] op_sel_hi:[0,1,0]
	v_add_f16_sdwa v15, v36, v15 dst_sel:DWORD dst_unused:UNUSED_PAD src0_sel:WORD_1 src1_sel:DWORD
	buffer_load_dword v36, off, s[28:31], 0 offset:16 ; 4-byte Folded Reload
	s_nop 0
	buffer_store_dword v15, off, s[28:31], 0 offset:56 ; 4-byte Folded Spill
	v_fma_mix_f32 v15, v50, v0, 0 op_sel_hi:[1,1,0]
	v_fma_mix_f32 v15, v51, v0, v15 op_sel:[0,1,0] op_sel_hi:[1,1,0]
	v_fma_mix_f32 v15, v52, v1, v15 op_sel_hi:[1,1,0]
	v_fma_mix_f32 v15, v53, v1, v15 op_sel:[0,1,0] op_sel_hi:[1,1,0]
	;; [unrolled: 2-line block ×4, first 2 shown]
	v_fma_mixlo_f16 v15, v15, v19, 0 op_sel_hi:[0,1,0]
	s_waitcnt vmcnt(1)
	v_add_f16_e32 v15, v36, v15
	buffer_store_dword v15, off, s[28:31], 0 offset:60 ; 4-byte Folded Spill
	v_fma_mix_f32 v15, v58, v0, 0 op_sel_hi:[1,1,0]
	v_fma_mix_f32 v0, v59, v0, v15 op_sel:[0,1,0] op_sel_hi:[1,1,0]
	v_fma_mix_f32 v0, v60, v1, v0 op_sel_hi:[1,1,0]
	v_fma_mix_f32 v0, v37, v1, v0 op_sel:[0,1,0] op_sel_hi:[1,1,0]
	;; [unrolled: 2-line block ×4, first 2 shown]
	v_fma_mixlo_f16 v0, v0, v19, 0 op_sel:[0,1,0] op_sel_hi:[0,1,0]
	v_add_f16_sdwa v0, v36, v0 dst_sel:DWORD dst_unused:UNUSED_PAD src0_sel:WORD_1 src1_sel:DWORD
	buffer_store_dword v0, off, s[28:31], 0 offset:64 ; 4-byte Folded Spill
	ds_read_b128 v[0:3], v29 offset:768
	s_waitcnt lgkmcnt(0)
	v_fma_mix_f32 v15, v35, v0, 0 op_sel_hi:[1,1,0]
	v_fma_mix_f32 v15, v25, v0, v15 op_sel:[0,1,0] op_sel_hi:[1,1,0]
	buffer_load_dword v25, off, s[28:31], 0 offset:24 ; 4-byte Folded Reload
	v_fma_mix_f32 v15, v26, v1, v15 op_sel_hi:[1,1,0]
	v_fma_mix_f32 v15, v27, v1, v15 op_sel:[0,1,0] op_sel_hi:[1,1,0]
	v_fma_mix_f32 v15, v28, v2, v15 op_sel_hi:[1,1,0]
	v_fma_mix_f32 v15, v39, v2, v15 op_sel:[0,1,0] op_sel_hi:[1,1,0]
	;; [unrolled: 2-line block ×3, first 2 shown]
	v_fma_mixlo_f16 v15, v15, v18, 0 op_sel_hi:[0,1,0]
	s_waitcnt vmcnt(0)
	v_add_f16_e32 v15, v25, v15
	buffer_store_dword v15, off, s[28:31], 0 offset:32 ; 4-byte Folded Spill
	v_fma_mix_f32 v15, v42, v0, 0 op_sel_hi:[1,1,0]
	v_fma_mix_f32 v15, v43, v0, v15 op_sel:[0,1,0] op_sel_hi:[1,1,0]
	v_fma_mix_f32 v15, v44, v1, v15 op_sel_hi:[1,1,0]
	v_fma_mix_f32 v15, v45, v1, v15 op_sel:[0,1,0] op_sel_hi:[1,1,0]
	;; [unrolled: 2-line block ×4, first 2 shown]
	v_fma_mixlo_f16 v15, v15, v18, 0 op_sel:[0,1,0] op_sel_hi:[0,1,0]
	v_add_f16_sdwa v15, v25, v15 dst_sel:DWORD dst_unused:UNUSED_PAD src0_sel:WORD_1 src1_sel:DWORD
	buffer_store_dword v15, off, s[28:31], 0 offset:28 ; 4-byte Folded Spill
	v_fma_mix_f32 v15, v50, v0, 0 op_sel_hi:[1,1,0]
	v_fma_mix_f32 v15, v51, v0, v15 op_sel:[0,1,0] op_sel_hi:[1,1,0]
	v_fma_mix_f32 v15, v52, v1, v15 op_sel_hi:[1,1,0]
	v_fma_mix_f32 v15, v53, v1, v15 op_sel:[0,1,0] op_sel_hi:[1,1,0]
	;; [unrolled: 2-line block ×4, first 2 shown]
	v_fma_mixlo_f16 v15, v15, v19, 0 op_sel_hi:[0,1,0]
	v_add_f16_e32 v15, v17, v15
	buffer_store_dword v15, off, s[28:31], 0 offset:24 ; 4-byte Folded Spill
	v_fma_mix_f32 v15, v58, v0, 0 op_sel_hi:[1,1,0]
	v_fma_mix_f32 v0, v59, v0, v15 op_sel:[0,1,0] op_sel_hi:[1,1,0]
	buffer_load_dword v15, off, s[28:31], 0 offset:8 ; 4-byte Folded Reload
	v_fma_mix_f32 v0, v60, v1, v0 op_sel_hi:[1,1,0]
	v_fma_mix_f32 v0, v37, v1, v0 op_sel:[0,1,0] op_sel_hi:[1,1,0]
	v_fma_mix_f32 v0, v38, v2, v0 op_sel_hi:[1,1,0]
	v_fma_mix_f32 v0, v61, v2, v0 op_sel:[0,1,0] op_sel_hi:[1,1,0]
	;; [unrolled: 2-line block ×3, first 2 shown]
	v_fma_mixlo_f16 v0, v0, v19, 0 op_sel:[0,1,0] op_sel_hi:[0,1,0]
	v_add_f16_sdwa v0, v17, v0 dst_sel:DWORD dst_unused:UNUSED_PAD src0_sel:WORD_1 src1_sel:DWORD
	buffer_store_dword v0, off, s[28:31], 0 offset:20 ; 4-byte Folded Spill
	s_waitcnt vmcnt(1)
	v_addc_co_u32_e32 v13, vcc, v13, v15, vcc
	global_load_dwordx4 v[0:3], v[12:13], off
	v_add_co_u32_e32 v12, vcc, s2, v12
	v_addc_co_u32_e32 v13, vcc, v13, v15, vcc
	global_load_dwordx4 v[39:42], v[12:13], off
	s_waitcnt vmcnt(1)
	v_sub_u32_sdwa v15, v0, v33 dst_sel:DWORD dst_unused:UNUSED_PAD src0_sel:BYTE_0 src1_sel:DWORD
	v_cvt_f32_i32_e32 v15, v15
	v_cvt_f16_f32_e32 v20, v15
	v_sub_u32_sdwa v15, v0, v33 dst_sel:DWORD dst_unused:UNUSED_PAD src0_sel:BYTE_1 src1_sel:DWORD
	v_cvt_f32_i32_e32 v15, v15
	v_cvt_f16_f32_e32 v35, v15
	v_sub_u32_sdwa v15, v0, v33 dst_sel:DWORD dst_unused:UNUSED_PAD src0_sel:BYTE_2 src1_sel:DWORD
	v_sub_u32_sdwa v0, v0, v33 dst_sel:DWORD dst_unused:UNUSED_PAD src0_sel:BYTE_3 src1_sel:DWORD
	v_cvt_f32_i32_e32 v0, v0
	v_cvt_f32_i32_e32 v15, v15
	v_cvt_f16_f32_e32 v36, v0
	s_waitcnt vmcnt(0)
	v_sub_u32_sdwa v0, v39, v33 dst_sel:DWORD dst_unused:UNUSED_PAD src0_sel:BYTE_0 src1_sel:DWORD
	v_cvt_f32_i32_e32 v0, v0
	v_cvt_f16_f32_e32 v15, v15
	v_cvt_f16_f32_e32 v43, v0
	v_sub_u32_sdwa v0, v39, v33 dst_sel:DWORD dst_unused:UNUSED_PAD src0_sel:BYTE_1 src1_sel:DWORD
	v_cvt_f32_i32_e32 v0, v0
	v_cvt_f16_f32_e32 v45, v0
	v_sub_u32_sdwa v0, v39, v33 dst_sel:DWORD dst_unused:UNUSED_PAD src0_sel:BYTE_2 src1_sel:DWORD
	v_cvt_f32_i32_e32 v0, v0
	v_cvt_f16_f32_e32 v47, v0
	v_sub_u32_sdwa v0, v39, v33 dst_sel:DWORD dst_unused:UNUSED_PAD src0_sel:BYTE_3 src1_sel:DWORD
	v_cvt_f32_i32_e32 v0, v0
	v_cvt_f16_f32_e32 v49, v0
	v_sub_u32_sdwa v0, v1, v32 dst_sel:DWORD dst_unused:UNUSED_PAD src0_sel:BYTE_0 src1_sel:DWORD
	v_cvt_f32_i32_e32 v0, v0
	v_cvt_f16_f32_e32 v44, v0
	v_sub_u32_sdwa v0, v1, v32 dst_sel:DWORD dst_unused:UNUSED_PAD src0_sel:BYTE_1 src1_sel:DWORD
	v_cvt_f32_i32_e32 v0, v0
	v_cvt_f16_f32_e32 v46, v0
	v_sub_u32_sdwa v0, v1, v32 dst_sel:DWORD dst_unused:UNUSED_PAD src0_sel:BYTE_2 src1_sel:DWORD
	v_cvt_f32_i32_e32 v0, v0
	v_cvt_f16_f32_e32 v48, v0
	v_sub_u32_sdwa v0, v1, v32 dst_sel:DWORD dst_unused:UNUSED_PAD src0_sel:BYTE_3 src1_sel:DWORD
	v_sub_u32_sdwa v1, v3, v30 dst_sel:DWORD dst_unused:UNUSED_PAD src0_sel:BYTE_3 src1_sel:DWORD
	v_cvt_f32_i32_e32 v1, v1
	v_cvt_f32_i32_e32 v0, v0
	v_cvt_f16_f32_e32 v25, v1
	v_sub_u32_sdwa v1, v42, v30 dst_sel:DWORD dst_unused:UNUSED_PAD src0_sel:BYTE_0 src1_sel:DWORD
	v_cvt_f32_i32_e32 v1, v1
	v_cvt_f16_f32_e32 v50, v0
	v_sub_u32_sdwa v0, v40, v32 dst_sel:DWORD dst_unused:UNUSED_PAD src0_sel:BYTE_0 src1_sel:DWORD
	v_cvt_f32_i32_e32 v0, v0
	v_cvt_f16_f32_e32 v26, v1
	v_sub_u32_sdwa v1, v42, v30 dst_sel:DWORD dst_unused:UNUSED_PAD src0_sel:BYTE_1 src1_sel:DWORD
	v_cvt_f32_i32_e32 v1, v1
	v_cvt_f16_f32_e32 v51, v0
	v_sub_u32_sdwa v0, v40, v32 dst_sel:DWORD dst_unused:UNUSED_PAD src0_sel:BYTE_1 src1_sel:DWORD
	v_cvt_f32_i32_e32 v0, v0
	v_cvt_f16_f32_e32 v27, v1
	v_sub_u32_sdwa v1, v42, v30 dst_sel:DWORD dst_unused:UNUSED_PAD src0_sel:BYTE_2 src1_sel:DWORD
	v_cvt_f32_i32_e32 v1, v1
	v_cvt_f16_f32_e32 v53, v0
	v_sub_u32_sdwa v0, v40, v32 dst_sel:DWORD dst_unused:UNUSED_PAD src0_sel:BYTE_2 src1_sel:DWORD
	v_cvt_f32_i32_e32 v0, v0
	v_cvt_f16_f32_e32 v28, v1
	v_sub_u32_sdwa v1, v42, v30 dst_sel:DWORD dst_unused:UNUSED_PAD src0_sel:BYTE_3 src1_sel:DWORD
	v_cvt_f32_i32_e32 v1, v1
	v_cvt_f16_f32_e32 v55, v0
	v_sub_u32_sdwa v0, v40, v32 dst_sel:DWORD dst_unused:UNUSED_PAD src0_sel:BYTE_3 src1_sel:DWORD
	v_cvt_f32_i32_e32 v0, v0
	v_cvt_f16_f32_e32 v17, v1
	v_fma_mix_f32 v1, v20, v8, 0 op_sel_hi:[1,1,0]
	v_fma_mix_f32 v1, v35, v8, v1 op_sel:[0,1,0] op_sel_hi:[1,1,0]
	v_fma_mix_f32 v1, v15, v9, v1 op_sel_hi:[1,1,0]
	v_fma_mix_f32 v1, v36, v9, v1 op_sel:[0,1,0] op_sel_hi:[1,1,0]
	;; [unrolled: 2-line block ×4, first 2 shown]
	v_fma_mixlo_f16 v1, v1, v18, 0 op_sel_hi:[0,1,0]
	v_add_f16_e32 v1, v14, v1
	buffer_load_dword v14, off, s[28:31], 0 offset:36 ; 4-byte Folded Reload
	v_cvt_f16_f32_e32 v57, v0
	v_sub_u32_sdwa v0, v2, v31 dst_sel:DWORD dst_unused:UNUSED_PAD src0_sel:BYTE_0 src1_sel:DWORD
	v_cvt_f32_i32_e32 v0, v0
	buffer_store_dword v1, off, s[28:31], 0 offset:16 ; 4-byte Folded Spill
	v_fma_mix_f32 v1, v44, v8, 0 op_sel_hi:[1,1,0]
	v_fma_mix_f32 v1, v46, v8, v1 op_sel:[0,1,0] op_sel_hi:[1,1,0]
	v_cvt_f16_f32_e32 v52, v0
	v_sub_u32_sdwa v0, v2, v31 dst_sel:DWORD dst_unused:UNUSED_PAD src0_sel:BYTE_1 src1_sel:DWORD
	v_cvt_f32_i32_e32 v0, v0
	v_fma_mix_f32 v1, v48, v9, v1 op_sel_hi:[1,1,0]
	v_fma_mix_f32 v1, v50, v9, v1 op_sel:[0,1,0] op_sel_hi:[1,1,0]
	v_fma_mix_f32 v1, v51, v10, v1 op_sel_hi:[1,1,0]
	v_cvt_f16_f32_e32 v54, v0
	v_sub_u32_sdwa v0, v2, v31 dst_sel:DWORD dst_unused:UNUSED_PAD src0_sel:BYTE_2 src1_sel:DWORD
	v_cvt_f32_i32_e32 v0, v0
	v_fma_mix_f32 v1, v53, v10, v1 op_sel:[0,1,0] op_sel_hi:[1,1,0]
	v_fma_mix_f32 v1, v55, v11, v1 op_sel_hi:[1,1,0]
	v_fma_mix_f32 v1, v57, v11, v1 op_sel:[0,1,0] op_sel_hi:[1,1,0]
	v_cvt_f16_f32_e32 v56, v0
	v_sub_u32_sdwa v0, v2, v31 dst_sel:DWORD dst_unused:UNUSED_PAD src0_sel:BYTE_3 src1_sel:DWORD
	v_cvt_f32_i32_e32 v0, v0
	v_fma_mixlo_f16 v1, v1, v18, 0 op_sel:[0,1,0] op_sel_hi:[0,1,0]
	v_add_f16_e32 v1, v63, v1
	buffer_store_dword v1, off, s[28:31], 0 offset:12 ; 4-byte Folded Spill
	v_cvt_f16_f32_e32 v58, v0
	v_sub_u32_sdwa v0, v41, v31 dst_sel:DWORD dst_unused:UNUSED_PAD src0_sel:BYTE_0 src1_sel:DWORD
	v_cvt_f32_i32_e32 v0, v0
	v_fma_mix_f32 v1, v52, v8, 0 op_sel_hi:[1,1,0]
	v_fma_mix_f32 v1, v54, v8, v1 op_sel:[0,1,0] op_sel_hi:[1,1,0]
	v_fma_mix_f32 v1, v56, v9, v1 op_sel_hi:[1,1,0]
	v_cvt_f16_f32_e32 v59, v0
	v_sub_u32_sdwa v0, v41, v31 dst_sel:DWORD dst_unused:UNUSED_PAD src0_sel:BYTE_1 src1_sel:DWORD
	v_cvt_f32_i32_e32 v0, v0
	v_fma_mix_f32 v1, v58, v9, v1 op_sel:[0,1,0] op_sel_hi:[1,1,0]
	v_fma_mix_f32 v1, v59, v10, v1 op_sel_hi:[1,1,0]
	v_cvt_f16_f32_e32 v61, v0
	v_sub_u32_sdwa v0, v41, v31 dst_sel:DWORD dst_unused:UNUSED_PAD src0_sel:BYTE_2 src1_sel:DWORD
	v_cvt_f32_i32_e32 v0, v0
	v_fma_mix_f32 v1, v61, v10, v1 op_sel:[0,1,0] op_sel_hi:[1,1,0]
	v_cvt_f16_f32_e32 v37, v0
	v_sub_u32_sdwa v0, v41, v31 dst_sel:DWORD dst_unused:UNUSED_PAD src0_sel:BYTE_3 src1_sel:DWORD
	v_cvt_f32_i32_e32 v0, v0
	v_fma_mix_f32 v1, v37, v11, v1 op_sel_hi:[1,1,0]
	v_cvt_f16_f32_e32 v38, v0
	v_sub_u32_sdwa v0, v3, v30 dst_sel:DWORD dst_unused:UNUSED_PAD src0_sel:BYTE_0 src1_sel:DWORD
	v_cvt_f32_i32_e32 v0, v0
	v_fma_mix_f32 v1, v38, v11, v1 op_sel:[0,1,0] op_sel_hi:[1,1,0]
	v_fma_mixlo_f16 v1, v1, v19, 0 op_sel_hi:[0,1,0]
	v_cvt_f16_f32_e32 v60, v0
	v_sub_u32_sdwa v0, v3, v30 dst_sel:DWORD dst_unused:UNUSED_PAD src0_sel:BYTE_1 src1_sel:DWORD
	v_cvt_f32_i32_e32 v0, v0
	v_cvt_f16_f32_e32 v62, v0
	v_sub_u32_sdwa v0, v3, v30 dst_sel:DWORD dst_unused:UNUSED_PAD src0_sel:BYTE_2 src1_sel:DWORD
	v_cvt_f32_i32_e32 v0, v0
	v_add_f16_e32 v3, v16, v1
	v_fma_mix_f32 v1, v60, v8, 0 op_sel_hi:[1,1,0]
	v_fma_mix_f32 v1, v62, v8, v1 op_sel:[0,1,0] op_sel_hi:[1,1,0]
	v_cvt_f16_f32_e32 v0, v0
	v_fma_mix_f32 v1, v0, v9, v1 op_sel_hi:[1,1,0]
	v_fma_mix_f32 v1, v25, v9, v1 op_sel:[0,1,0] op_sel_hi:[1,1,0]
	v_fma_mix_f32 v1, v26, v10, v1 op_sel_hi:[1,1,0]
	v_fma_mix_f32 v1, v27, v10, v1 op_sel:[0,1,0] op_sel_hi:[1,1,0]
	;; [unrolled: 2-line block ×3, first 2 shown]
	ds_read_b128 v[8:11], v29 offset:272
	v_fma_mixlo_f16 v1, v1, v19, 0 op_sel:[0,1,0] op_sel_hi:[0,1,0]
	v_add_f16_e32 v2, v34, v1
	s_waitcnt lgkmcnt(0)
	v_fma_mix_f32 v1, v20, v8, 0 op_sel_hi:[1,1,0]
	v_fma_mix_f32 v1, v35, v8, v1 op_sel:[0,1,0] op_sel_hi:[1,1,0]
	v_fma_mix_f32 v1, v15, v9, v1 op_sel_hi:[1,1,0]
	v_fma_mix_f32 v1, v36, v9, v1 op_sel:[0,1,0] op_sel_hi:[1,1,0]
	;; [unrolled: 2-line block ×4, first 2 shown]
	v_fma_mixlo_f16 v1, v1, v18, 0 op_sel_hi:[0,1,0]
	s_waitcnt vmcnt(2)
	v_add_f16_e32 v1, v14, v1
	buffer_load_dword v14, off, s[28:31], 0 offset:40 ; 4-byte Folded Reload
	s_nop 0
	buffer_store_dword v1, off, s[28:31], 0 offset:36 ; 4-byte Folded Spill
	v_fma_mix_f32 v1, v44, v8, 0 op_sel_hi:[1,1,0]
	v_fma_mix_f32 v1, v46, v8, v1 op_sel:[0,1,0] op_sel_hi:[1,1,0]
	v_fma_mix_f32 v1, v48, v9, v1 op_sel_hi:[1,1,0]
	v_fma_mix_f32 v1, v50, v9, v1 op_sel:[0,1,0] op_sel_hi:[1,1,0]
	;; [unrolled: 2-line block ×4, first 2 shown]
	v_fma_mixlo_f16 v1, v1, v18, 0 op_sel:[0,1,0] op_sel_hi:[0,1,0]
	s_waitcnt vmcnt(1)
	v_add_f16_e32 v1, v14, v1
	buffer_load_dword v14, off, s[28:31], 0 offset:44 ; 4-byte Folded Reload
	s_nop 0
	buffer_store_dword v1, off, s[28:31], 0 offset:40 ; 4-byte Folded Spill
	v_fma_mix_f32 v1, v52, v8, 0 op_sel_hi:[1,1,0]
	v_fma_mix_f32 v1, v54, v8, v1 op_sel:[0,1,0] op_sel_hi:[1,1,0]
	v_fma_mix_f32 v1, v56, v9, v1 op_sel_hi:[1,1,0]
	v_fma_mix_f32 v1, v58, v9, v1 op_sel:[0,1,0] op_sel_hi:[1,1,0]
	v_fma_mix_f32 v1, v59, v10, v1 op_sel_hi:[1,1,0]
	v_fma_mix_f32 v1, v61, v10, v1 op_sel:[0,1,0] op_sel_hi:[1,1,0]
	v_fma_mix_f32 v1, v37, v11, v1 op_sel_hi:[1,1,0]
	v_fma_mix_f32 v1, v38, v11, v1 op_sel:[0,1,0] op_sel_hi:[1,1,0]
	v_fma_mixlo_f16 v1, v1, v19, 0 op_sel_hi:[0,1,0]
	s_waitcnt vmcnt(1)
	v_add_f16_e32 v1, v14, v1
	buffer_store_dword v1, off, s[28:31], 0 offset:44 ; 4-byte Folded Spill
	v_fma_mix_f32 v1, v60, v8, 0 op_sel_hi:[1,1,0]
	v_fma_mix_f32 v1, v62, v8, v1 op_sel:[0,1,0] op_sel_hi:[1,1,0]
	buffer_load_dword v8, off, s[28:31], 0 offset:48 ; 4-byte Folded Reload
	buffer_load_dword v14, off, s[28:31], 0 offset:52 ; 4-byte Folded Reload
	v_fma_mix_f32 v1, v0, v9, v1 op_sel_hi:[1,1,0]
	v_fma_mix_f32 v1, v25, v9, v1 op_sel:[0,1,0] op_sel_hi:[1,1,0]
	v_fma_mix_f32 v1, v26, v10, v1 op_sel_hi:[1,1,0]
	v_fma_mix_f32 v1, v27, v10, v1 op_sel:[0,1,0] op_sel_hi:[1,1,0]
	;; [unrolled: 2-line block ×3, first 2 shown]
	v_fma_mixlo_f16 v1, v1, v19, 0 op_sel:[0,1,0] op_sel_hi:[0,1,0]
	s_waitcnt vmcnt(1)
	v_add_f16_e32 v1, v8, v1
	ds_read_b128 v[8:11], v29 offset:528
	buffer_store_dword v1, off, s[28:31], 0 offset:48 ; 4-byte Folded Spill
	s_waitcnt lgkmcnt(0)
	v_fma_mix_f32 v1, v20, v8, 0 op_sel_hi:[1,1,0]
	v_fma_mix_f32 v1, v35, v8, v1 op_sel:[0,1,0] op_sel_hi:[1,1,0]
	v_fma_mix_f32 v1, v15, v9, v1 op_sel_hi:[1,1,0]
	v_fma_mix_f32 v1, v36, v9, v1 op_sel:[0,1,0] op_sel_hi:[1,1,0]
	;; [unrolled: 2-line block ×4, first 2 shown]
	v_fma_mixlo_f16 v1, v1, v18, 0 op_sel_hi:[0,1,0]
	s_waitcnt vmcnt(1)
	v_add_f16_e32 v1, v14, v1
	buffer_load_dword v14, off, s[28:31], 0 offset:56 ; 4-byte Folded Reload
	s_nop 0
	buffer_store_dword v1, off, s[28:31], 0 offset:52 ; 4-byte Folded Spill
	v_fma_mix_f32 v1, v44, v8, 0 op_sel_hi:[1,1,0]
	v_fma_mix_f32 v1, v46, v8, v1 op_sel:[0,1,0] op_sel_hi:[1,1,0]
	v_fma_mix_f32 v1, v48, v9, v1 op_sel_hi:[1,1,0]
	v_fma_mix_f32 v1, v50, v9, v1 op_sel:[0,1,0] op_sel_hi:[1,1,0]
	;; [unrolled: 2-line block ×4, first 2 shown]
	v_fma_mixlo_f16 v1, v1, v18, 0 op_sel:[0,1,0] op_sel_hi:[0,1,0]
	s_waitcnt vmcnt(1)
	v_add_f16_e32 v1, v14, v1
	buffer_load_dword v14, off, s[28:31], 0 offset:60 ; 4-byte Folded Reload
	s_nop 0
	buffer_store_dword v1, off, s[28:31], 0 offset:56 ; 4-byte Folded Spill
	v_fma_mix_f32 v1, v52, v8, 0 op_sel_hi:[1,1,0]
	v_fma_mix_f32 v1, v54, v8, v1 op_sel:[0,1,0] op_sel_hi:[1,1,0]
	v_fma_mix_f32 v1, v56, v9, v1 op_sel_hi:[1,1,0]
	v_fma_mix_f32 v1, v58, v9, v1 op_sel:[0,1,0] op_sel_hi:[1,1,0]
	;; [unrolled: 2-line block ×4, first 2 shown]
	v_fma_mixlo_f16 v1, v1, v19, 0 op_sel_hi:[0,1,0]
	s_waitcnt vmcnt(1)
	v_add_f16_e32 v1, v14, v1
	buffer_store_dword v1, off, s[28:31], 0 offset:60 ; 4-byte Folded Spill
	v_fma_mix_f32 v1, v60, v8, 0 op_sel_hi:[1,1,0]
	v_fma_mix_f32 v1, v62, v8, v1 op_sel:[0,1,0] op_sel_hi:[1,1,0]
	buffer_load_dword v8, off, s[28:31], 0 offset:64 ; 4-byte Folded Reload
	buffer_load_dword v14, off, s[28:31], 0 offset:32 ; 4-byte Folded Reload
	v_fma_mix_f32 v1, v0, v9, v1 op_sel_hi:[1,1,0]
	v_fma_mix_f32 v1, v25, v9, v1 op_sel:[0,1,0] op_sel_hi:[1,1,0]
	v_fma_mix_f32 v1, v26, v10, v1 op_sel_hi:[1,1,0]
	v_fma_mix_f32 v1, v27, v10, v1 op_sel:[0,1,0] op_sel_hi:[1,1,0]
	;; [unrolled: 2-line block ×3, first 2 shown]
	v_fma_mixlo_f16 v1, v1, v19, 0 op_sel:[0,1,0] op_sel_hi:[0,1,0]
	s_waitcnt vmcnt(1)
	v_add_f16_e32 v1, v8, v1
	ds_read_b128 v[8:11], v29 offset:784
	buffer_store_dword v1, off, s[28:31], 0 offset:64 ; 4-byte Folded Spill
	s_waitcnt lgkmcnt(0)
	v_fma_mix_f32 v1, v20, v8, 0 op_sel_hi:[1,1,0]
	v_fma_mix_f32 v1, v35, v8, v1 op_sel:[0,1,0] op_sel_hi:[1,1,0]
	v_fma_mix_f32 v1, v15, v9, v1 op_sel_hi:[1,1,0]
	v_fma_mix_f32 v1, v36, v9, v1 op_sel:[0,1,0] op_sel_hi:[1,1,0]
	;; [unrolled: 2-line block ×4, first 2 shown]
	v_fma_mixlo_f16 v1, v1, v18, 0 op_sel_hi:[0,1,0]
	s_waitcnt vmcnt(1)
	v_add_f16_e32 v39, v14, v1
	buffer_load_dword v14, off, s[28:31], 0 offset:28 ; 4-byte Folded Reload
	v_fma_mix_f32 v1, v44, v8, 0 op_sel_hi:[1,1,0]
	v_fma_mix_f32 v1, v46, v8, v1 op_sel:[0,1,0] op_sel_hi:[1,1,0]
	v_fma_mix_f32 v1, v48, v9, v1 op_sel_hi:[1,1,0]
	v_fma_mix_f32 v1, v50, v9, v1 op_sel:[0,1,0] op_sel_hi:[1,1,0]
	v_fma_mix_f32 v1, v51, v10, v1 op_sel_hi:[1,1,0]
	v_fma_mix_f32 v1, v53, v10, v1 op_sel:[0,1,0] op_sel_hi:[1,1,0]
	v_fma_mix_f32 v1, v55, v11, v1 op_sel_hi:[1,1,0]
	v_fma_mix_f32 v1, v57, v11, v1 op_sel:[0,1,0] op_sel_hi:[1,1,0]
	v_fma_mixlo_f16 v1, v1, v18, 0 op_sel:[0,1,0] op_sel_hi:[0,1,0]
	s_waitcnt vmcnt(0)
	v_add_f16_e32 v40, v14, v1
	buffer_load_dword v14, off, s[28:31], 0 offset:24 ; 4-byte Folded Reload
	v_fma_mix_f32 v1, v52, v8, 0 op_sel_hi:[1,1,0]
	v_fma_mix_f32 v1, v54, v8, v1 op_sel:[0,1,0] op_sel_hi:[1,1,0]
	v_fma_mix_f32 v1, v56, v9, v1 op_sel_hi:[1,1,0]
	v_fma_mix_f32 v1, v58, v9, v1 op_sel:[0,1,0] op_sel_hi:[1,1,0]
	;; [unrolled: 2-line block ×4, first 2 shown]
	v_fma_mixlo_f16 v1, v1, v19, 0 op_sel_hi:[0,1,0]
	s_waitcnt vmcnt(0)
	v_add_f16_e32 v41, v14, v1
	v_fma_mix_f32 v1, v60, v8, 0 op_sel_hi:[1,1,0]
	v_fma_mix_f32 v1, v62, v8, v1 op_sel:[0,1,0] op_sel_hi:[1,1,0]
	v_fma_mix_f32 v0, v0, v9, v1 op_sel_hi:[1,1,0]
	v_fma_mix_f32 v0, v25, v9, v0 op_sel:[0,1,0] op_sel_hi:[1,1,0]
	buffer_load_dword v1, off, s[28:31], 0 offset:20 ; 4-byte Folded Reload
	v_fma_mix_f32 v0, v26, v10, v0 op_sel_hi:[1,1,0]
	buffer_load_dword v26, off, s[28:31], 0 offset:8 ; 4-byte Folded Reload
	v_fma_mix_f32 v0, v27, v10, v0 op_sel:[0,1,0] op_sel_hi:[1,1,0]
	v_fma_mix_f32 v0, v28, v11, v0 op_sel_hi:[1,1,0]
	v_fma_mix_f32 v0, v17, v11, v0 op_sel:[0,1,0] op_sel_hi:[1,1,0]
	v_fma_mixlo_f16 v0, v0, v19, 0 op_sel:[0,1,0] op_sel_hi:[0,1,0]
	s_waitcnt vmcnt(1)
	v_add_f16_e32 v42, v1, v0
	v_add_co_u32_e32 v0, vcc, s2, v12
	s_waitcnt vmcnt(0)
	v_addc_co_u32_e32 v1, vcc, v13, v26, vcc
	global_load_dwordx4 v[12:15], v[0:1], off
	v_add_co_u32_e32 v16, vcc, s2, v0
	v_addc_co_u32_e32 v17, vcc, v1, v26, vcc
	global_load_dwordx4 v[8:11], v[16:17], off
	buffer_load_dword v1, off, s[28:31], 0 offset:16 ; 4-byte Folded Reload
	s_waitcnt vmcnt(2)
	v_sub_u32_sdwa v0, v12, v33 dst_sel:DWORD dst_unused:UNUSED_PAD src0_sel:BYTE_0 src1_sel:DWORD
	v_cvt_f32_i32_e32 v0, v0
	v_cvt_f16_f32_e32 v43, v0
	v_sub_u32_sdwa v0, v12, v33 dst_sel:DWORD dst_unused:UNUSED_PAD src0_sel:BYTE_1 src1_sel:DWORD
	v_cvt_f32_i32_e32 v0, v0
	v_cvt_f16_f32_e32 v44, v0
	v_sub_u32_sdwa v0, v12, v33 dst_sel:DWORD dst_unused:UNUSED_PAD src0_sel:BYTE_2 src1_sel:DWORD
	v_cvt_f32_i32_e32 v0, v0
	v_cvt_f16_f32_e32 v45, v0
	v_sub_u32_sdwa v0, v12, v33 dst_sel:DWORD dst_unused:UNUSED_PAD src0_sel:BYTE_3 src1_sel:DWORD
	v_cvt_f32_i32_e32 v0, v0
	v_cvt_f16_f32_e32 v12, v0
	s_waitcnt vmcnt(1)
	v_sub_u32_sdwa v0, v8, v33 dst_sel:DWORD dst_unused:UNUSED_PAD src0_sel:BYTE_0 src1_sel:DWORD
	v_cvt_f32_i32_e32 v0, v0
	v_cvt_f16_f32_e32 v46, v0
	v_sub_u32_sdwa v0, v8, v33 dst_sel:DWORD dst_unused:UNUSED_PAD src0_sel:BYTE_1 src1_sel:DWORD
	v_cvt_f32_i32_e32 v0, v0
	v_cvt_f16_f32_e32 v47, v0
	v_sub_u32_sdwa v0, v8, v33 dst_sel:DWORD dst_unused:UNUSED_PAD src0_sel:BYTE_2 src1_sel:DWORD
	v_cvt_f32_i32_e32 v0, v0
	v_cvt_f16_f32_e32 v48, v0
	v_sub_u32_sdwa v0, v8, v33 dst_sel:DWORD dst_unused:UNUSED_PAD src0_sel:BYTE_3 src1_sel:DWORD
	v_cvt_f32_i32_e32 v0, v0
	v_cvt_f16_f32_e32 v8, v0
	v_sub_u32_sdwa v0, v13, v32 dst_sel:DWORD dst_unused:UNUSED_PAD src0_sel:BYTE_0 src1_sel:DWORD
	v_cvt_f32_i32_e32 v0, v0
	v_cvt_f16_f32_e32 v49, v0
	v_sub_u32_sdwa v0, v13, v32 dst_sel:DWORD dst_unused:UNUSED_PAD src0_sel:BYTE_1 src1_sel:DWORD
	v_cvt_f32_i32_e32 v0, v0
	v_cvt_f16_f32_e32 v50, v0
	v_sub_u32_sdwa v0, v13, v32 dst_sel:DWORD dst_unused:UNUSED_PAD src0_sel:BYTE_2 src1_sel:DWORD
	v_cvt_f32_i32_e32 v0, v0
	v_cvt_f16_f32_e32 v51, v0
	v_sub_u32_sdwa v0, v13, v32 dst_sel:DWORD dst_unused:UNUSED_PAD src0_sel:BYTE_3 src1_sel:DWORD
	v_cvt_f32_i32_e32 v0, v0
	v_cvt_f16_f32_e32 v13, v0
	v_sub_u32_sdwa v0, v9, v32 dst_sel:DWORD dst_unused:UNUSED_PAD src0_sel:BYTE_0 src1_sel:DWORD
	v_cvt_f32_i32_e32 v0, v0
	v_cvt_f16_f32_e32 v52, v0
	v_sub_u32_sdwa v0, v9, v32 dst_sel:DWORD dst_unused:UNUSED_PAD src0_sel:BYTE_1 src1_sel:DWORD
	v_cvt_f32_i32_e32 v0, v0
	v_cvt_f16_f32_e32 v53, v0
	v_sub_u32_sdwa v0, v9, v32 dst_sel:DWORD dst_unused:UNUSED_PAD src0_sel:BYTE_2 src1_sel:DWORD
	v_cvt_f32_i32_e32 v0, v0
	v_cvt_f16_f32_e32 v54, v0
	v_sub_u32_sdwa v0, v9, v32 dst_sel:DWORD dst_unused:UNUSED_PAD src0_sel:BYTE_3 src1_sel:DWORD
	v_cvt_f32_i32_e32 v0, v0
	v_cvt_f16_f32_e32 v9, v0
	v_sub_u32_sdwa v0, v14, v31 dst_sel:DWORD dst_unused:UNUSED_PAD src0_sel:BYTE_0 src1_sel:DWORD
	v_cvt_f32_i32_e32 v0, v0
	v_cvt_f16_f32_e32 v55, v0
	v_sub_u32_sdwa v0, v14, v31 dst_sel:DWORD dst_unused:UNUSED_PAD src0_sel:BYTE_1 src1_sel:DWORD
	v_cvt_f32_i32_e32 v0, v0
	v_cvt_f16_f32_e32 v56, v0
	v_sub_u32_sdwa v0, v14, v31 dst_sel:DWORD dst_unused:UNUSED_PAD src0_sel:BYTE_2 src1_sel:DWORD
	v_cvt_f32_i32_e32 v0, v0
	v_cvt_f16_f32_e32 v57, v0
	v_sub_u32_sdwa v0, v14, v31 dst_sel:DWORD dst_unused:UNUSED_PAD src0_sel:BYTE_3 src1_sel:DWORD
	v_cvt_f32_i32_e32 v0, v0
	v_cvt_f16_f32_e32 v14, v0
	v_sub_u32_sdwa v0, v10, v31 dst_sel:DWORD dst_unused:UNUSED_PAD src0_sel:BYTE_0 src1_sel:DWORD
	v_cvt_f32_i32_e32 v0, v0
	v_cvt_f16_f32_e32 v58, v0
	v_sub_u32_sdwa v0, v10, v31 dst_sel:DWORD dst_unused:UNUSED_PAD src0_sel:BYTE_1 src1_sel:DWORD
	v_cvt_f32_i32_e32 v0, v0
	v_cvt_f16_f32_e32 v59, v0
	v_sub_u32_sdwa v0, v10, v31 dst_sel:DWORD dst_unused:UNUSED_PAD src0_sel:BYTE_2 src1_sel:DWORD
	v_cvt_f32_i32_e32 v0, v0
	v_cvt_f16_f32_e32 v60, v0
	v_sub_u32_sdwa v0, v10, v31 dst_sel:DWORD dst_unused:UNUSED_PAD src0_sel:BYTE_3 src1_sel:DWORD
	v_cvt_f32_i32_e32 v0, v0
	v_cvt_f16_f32_e32 v10, v0
	v_sub_u32_sdwa v0, v15, v30 dst_sel:DWORD dst_unused:UNUSED_PAD src0_sel:BYTE_0 src1_sel:DWORD
	v_cvt_f32_i32_e32 v0, v0
	v_cvt_f16_f32_e32 v61, v0
	v_sub_u32_sdwa v0, v15, v30 dst_sel:DWORD dst_unused:UNUSED_PAD src0_sel:BYTE_1 src1_sel:DWORD
	v_cvt_f32_i32_e32 v0, v0
	v_cvt_f16_f32_e32 v62, v0
	v_sub_u32_sdwa v0, v15, v30 dst_sel:DWORD dst_unused:UNUSED_PAD src0_sel:BYTE_2 src1_sel:DWORD
	v_cvt_f32_i32_e32 v0, v0
	v_cvt_f16_f32_e32 v63, v0
	v_sub_u32_sdwa v0, v15, v30 dst_sel:DWORD dst_unused:UNUSED_PAD src0_sel:BYTE_3 src1_sel:DWORD
	v_cvt_f32_i32_e32 v0, v0
	v_cvt_f16_f32_e32 v15, v0
	v_sub_u32_sdwa v0, v11, v30 dst_sel:DWORD dst_unused:UNUSED_PAD src0_sel:BYTE_0 src1_sel:DWORD
	v_cvt_f32_i32_e32 v0, v0
	v_cvt_f16_f32_e32 v25, v0
	v_sub_u32_sdwa v0, v11, v30 dst_sel:DWORD dst_unused:UNUSED_PAD src0_sel:BYTE_1 src1_sel:DWORD
	v_cvt_f32_i32_e32 v0, v0
	v_cvt_f16_f32_e32 v20, v0
	v_sub_u32_sdwa v0, v11, v30 dst_sel:DWORD dst_unused:UNUSED_PAD src0_sel:BYTE_2 src1_sel:DWORD
	v_cvt_f32_i32_e32 v0, v0
	v_sub_u32_sdwa v11, v11, v30 dst_sel:DWORD dst_unused:UNUSED_PAD src0_sel:BYTE_3 src1_sel:DWORD
	v_cvt_f16_f32_e32 v37, v0
	v_cvt_f32_i32_e32 v0, v11
	v_cvt_f16_f32_e32 v34, v0
	v_fma_mix_f32 v0, v43, v4, 0 op_sel_hi:[1,1,0]
	v_fma_mix_f32 v0, v44, v4, v0 op_sel:[0,1,0] op_sel_hi:[1,1,0]
	v_fma_mix_f32 v0, v45, v5, v0 op_sel_hi:[1,1,0]
	v_fma_mix_f32 v0, v12, v5, v0 op_sel:[0,1,0] op_sel_hi:[1,1,0]
	;; [unrolled: 2-line block ×4, first 2 shown]
	v_fma_mixlo_f16 v0, v0, v18, 0 op_sel_hi:[0,1,0]
	s_waitcnt vmcnt(0)
	v_add_f16_e32 v38, v1, v0
	buffer_load_dword v1, off, s[28:31], 0 offset:12 ; 4-byte Folded Reload
	v_fma_mix_f32 v0, v49, v4, 0 op_sel_hi:[1,1,0]
	v_fma_mix_f32 v0, v50, v4, v0 op_sel:[0,1,0] op_sel_hi:[1,1,0]
	v_fma_mix_f32 v0, v51, v5, v0 op_sel_hi:[1,1,0]
	v_fma_mix_f32 v0, v13, v5, v0 op_sel:[0,1,0] op_sel_hi:[1,1,0]
	v_fma_mix_f32 v0, v52, v6, v0 op_sel_hi:[1,1,0]
	v_fma_mix_f32 v0, v53, v6, v0 op_sel:[0,1,0] op_sel_hi:[1,1,0]
	v_fma_mix_f32 v0, v54, v7, v0 op_sel_hi:[1,1,0]
	v_fma_mix_f32 v0, v9, v7, v0 op_sel:[0,1,0] op_sel_hi:[1,1,0]
	v_fma_mixlo_f16 v0, v0, v18, 0 op_sel:[0,1,0] op_sel_hi:[0,1,0]
	s_waitcnt vmcnt(0)
	v_add_f16_e32 v36, v1, v0
	v_fma_mix_f32 v0, v55, v4, 0 op_sel_hi:[1,1,0]
	v_fma_mix_f32 v0, v56, v4, v0 op_sel:[0,1,0] op_sel_hi:[1,1,0]
	v_fma_mix_f32 v0, v57, v5, v0 op_sel_hi:[1,1,0]
	v_fma_mix_f32 v0, v14, v5, v0 op_sel:[0,1,0] op_sel_hi:[1,1,0]
	v_fma_mix_f32 v0, v58, v6, v0 op_sel_hi:[1,1,0]
	v_fma_mix_f32 v0, v59, v6, v0 op_sel:[0,1,0] op_sel_hi:[1,1,0]
	v_fma_mix_f32 v0, v60, v7, v0 op_sel_hi:[1,1,0]
	v_fma_mix_f32 v0, v10, v7, v0 op_sel:[0,1,0] op_sel_hi:[1,1,0]
	v_fma_mixlo_f16 v0, v0, v19, 0 op_sel_hi:[0,1,0]
	v_add_f16_e32 v11, v3, v0
	v_fma_mix_f32 v0, v61, v4, 0 op_sel_hi:[1,1,0]
	v_fma_mix_f32 v0, v62, v4, v0 op_sel:[0,1,0] op_sel_hi:[1,1,0]
	v_fma_mix_f32 v0, v63, v5, v0 op_sel_hi:[1,1,0]
	v_fma_mix_f32 v0, v15, v5, v0 op_sel:[0,1,0] op_sel_hi:[1,1,0]
	;; [unrolled: 2-line block ×3, first 2 shown]
	buffer_load_dword v6, off, s[28:31], 0 offset:36 ; 4-byte Folded Reload
	v_fma_mix_f32 v0, v37, v7, v0 op_sel_hi:[1,1,0]
	v_fma_mix_f32 v0, v34, v7, v0 op_sel:[0,1,0] op_sel_hi:[1,1,0]
	v_fma_mixlo_f16 v0, v0, v19, 0 op_sel:[0,1,0] op_sel_hi:[0,1,0]
	v_add_f16_e32 v5, v2, v0
	ds_read_b128 v[0:3], v29 offset:288
	s_waitcnt lgkmcnt(0)
	v_fma_mix_f32 v4, v43, v0, 0 op_sel_hi:[1,1,0]
	v_fma_mix_f32 v4, v44, v0, v4 op_sel:[0,1,0] op_sel_hi:[1,1,0]
	v_fma_mix_f32 v4, v45, v1, v4 op_sel_hi:[1,1,0]
	v_fma_mix_f32 v4, v12, v1, v4 op_sel:[0,1,0] op_sel_hi:[1,1,0]
	;; [unrolled: 2-line block ×4, first 2 shown]
	v_fma_mixlo_f16 v4, v4, v18, 0 op_sel_hi:[0,1,0]
	s_waitcnt vmcnt(0)
	v_add_f16_e32 v28, v6, v4
	buffer_load_dword v6, off, s[28:31], 0 offset:40 ; 4-byte Folded Reload
	v_fma_mix_f32 v4, v49, v0, 0 op_sel_hi:[1,1,0]
	v_fma_mix_f32 v4, v50, v0, v4 op_sel:[0,1,0] op_sel_hi:[1,1,0]
	v_fma_mix_f32 v4, v51, v1, v4 op_sel_hi:[1,1,0]
	v_fma_mix_f32 v4, v13, v1, v4 op_sel:[0,1,0] op_sel_hi:[1,1,0]
	;; [unrolled: 2-line block ×4, first 2 shown]
	v_fma_mixlo_f16 v4, v4, v18, 0 op_sel:[0,1,0] op_sel_hi:[0,1,0]
	s_waitcnt vmcnt(0)
	v_add_f16_e32 v35, v6, v4
	buffer_load_dword v6, off, s[28:31], 0 offset:44 ; 4-byte Folded Reload
	v_fma_mix_f32 v4, v55, v0, 0 op_sel_hi:[1,1,0]
	v_fma_mix_f32 v4, v56, v0, v4 op_sel:[0,1,0] op_sel_hi:[1,1,0]
	v_fma_mix_f32 v4, v57, v1, v4 op_sel_hi:[1,1,0]
	v_fma_mix_f32 v4, v14, v1, v4 op_sel:[0,1,0] op_sel_hi:[1,1,0]
	;; [unrolled: 2-line block ×4, first 2 shown]
	v_fma_mixlo_f16 v4, v4, v19, 0 op_sel_hi:[0,1,0]
	s_waitcnt vmcnt(0)
	v_add_f16_e32 v7, v6, v4
	v_fma_mix_f32 v4, v61, v0, 0 op_sel_hi:[1,1,0]
	v_fma_mix_f32 v0, v62, v0, v4 op_sel:[0,1,0] op_sel_hi:[1,1,0]
	v_fma_mix_f32 v0, v63, v1, v0 op_sel_hi:[1,1,0]
	v_fma_mix_f32 v0, v15, v1, v0 op_sel:[0,1,0] op_sel_hi:[1,1,0]
	buffer_load_dword v1, off, s[28:31], 0 offset:48 ; 4-byte Folded Reload
	buffer_load_dword v6, off, s[28:31], 0 offset:52 ; 4-byte Folded Reload
	v_fma_mix_f32 v0, v25, v2, v0 op_sel_hi:[1,1,0]
	v_fma_mix_f32 v0, v20, v2, v0 op_sel:[0,1,0] op_sel_hi:[1,1,0]
	v_fma_mix_f32 v0, v37, v3, v0 op_sel_hi:[1,1,0]
	v_fma_mix_f32 v0, v34, v3, v0 op_sel:[0,1,0] op_sel_hi:[1,1,0]
	v_fma_mixlo_f16 v0, v0, v19, 0 op_sel:[0,1,0] op_sel_hi:[0,1,0]
	s_waitcnt vmcnt(1)
	v_add_f16_e32 v27, v1, v0
	ds_read_b128 v[0:3], v29 offset:544
	s_waitcnt lgkmcnt(0)
	v_fma_mix_f32 v4, v43, v0, 0 op_sel_hi:[1,1,0]
	v_fma_mix_f32 v4, v44, v0, v4 op_sel:[0,1,0] op_sel_hi:[1,1,0]
	v_fma_mix_f32 v4, v45, v1, v4 op_sel_hi:[1,1,0]
	v_fma_mix_f32 v4, v12, v1, v4 op_sel:[0,1,0] op_sel_hi:[1,1,0]
	;; [unrolled: 2-line block ×4, first 2 shown]
	v_fma_mixlo_f16 v4, v4, v18, 0 op_sel_hi:[0,1,0]
	s_waitcnt vmcnt(0)
	v_add_f16_e32 v4, v6, v4
	buffer_store_dword v4, off, s[28:31], 0 offset:28 ; 4-byte Folded Spill
	buffer_load_dword v4, off, s[28:31], 0 offset:56 ; 4-byte Folded Reload
	v_fma_mix_f32 v6, v49, v0, 0 op_sel_hi:[1,1,0]
	v_fma_mix_f32 v6, v50, v0, v6 op_sel:[0,1,0] op_sel_hi:[1,1,0]
	v_fma_mix_f32 v6, v51, v1, v6 op_sel_hi:[1,1,0]
	v_fma_mix_f32 v6, v13, v1, v6 op_sel:[0,1,0] op_sel_hi:[1,1,0]
	;; [unrolled: 2-line block ×4, first 2 shown]
	v_fma_mixlo_f16 v6, v6, v18, 0 op_sel:[0,1,0] op_sel_hi:[0,1,0]
	s_waitcnt vmcnt(0)
	v_add_f16_e32 v4, v4, v6
	buffer_store_dword v4, off, s[28:31], 0 offset:32 ; 4-byte Folded Spill
	buffer_load_dword v4, off, s[28:31], 0 offset:60 ; 4-byte Folded Reload
	v_fma_mix_f32 v6, v55, v0, 0 op_sel_hi:[1,1,0]
	v_fma_mix_f32 v6, v56, v0, v6 op_sel:[0,1,0] op_sel_hi:[1,1,0]
	v_fma_mix_f32 v6, v57, v1, v6 op_sel_hi:[1,1,0]
	v_fma_mix_f32 v6, v14, v1, v6 op_sel:[0,1,0] op_sel_hi:[1,1,0]
	;; [unrolled: 2-line block ×4, first 2 shown]
	v_fma_mixlo_f16 v6, v6, v19, 0 op_sel_hi:[0,1,0]
	s_waitcnt vmcnt(0)
	v_add_f16_e32 v4, v4, v6
	v_fma_mix_f32 v6, v61, v0, 0 op_sel_hi:[1,1,0]
	v_fma_mix_f32 v0, v62, v0, v6 op_sel:[0,1,0] op_sel_hi:[1,1,0]
	v_fma_mix_f32 v0, v63, v1, v0 op_sel_hi:[1,1,0]
	v_fma_mix_f32 v0, v15, v1, v0 op_sel:[0,1,0] op_sel_hi:[1,1,0]
	buffer_load_dword v1, off, s[28:31], 0 offset:64 ; 4-byte Folded Reload
	v_fma_mix_f32 v0, v25, v2, v0 op_sel_hi:[1,1,0]
	v_fma_mix_f32 v0, v20, v2, v0 op_sel:[0,1,0] op_sel_hi:[1,1,0]
	v_fma_mix_f32 v0, v37, v3, v0 op_sel_hi:[1,1,0]
	v_fma_mix_f32 v0, v34, v3, v0 op_sel:[0,1,0] op_sel_hi:[1,1,0]
	v_fma_mixlo_f16 v0, v0, v19, 0 op_sel:[0,1,0] op_sel_hi:[0,1,0]
	buffer_store_dword v4, off, s[28:31], 0 offset:20 ; 4-byte Folded Spill
	buffer_load_dword v4, off, s[28:31], 0 offset:28 ; 4-byte Folded Reload
	s_waitcnt vmcnt(2)
	v_add_f16_e32 v0, v1, v0
	buffer_store_dword v0, off, s[28:31], 0 offset:24 ; 4-byte Folded Spill
	ds_read_b128 v[0:3], v29 offset:800
	s_waitcnt lgkmcnt(0)
	v_fma_mix_f32 v6, v43, v0, 0 op_sel_hi:[1,1,0]
	v_fma_mix_f32 v6, v44, v0, v6 op_sel:[0,1,0] op_sel_hi:[1,1,0]
	v_fma_mix_f32 v6, v45, v1, v6 op_sel_hi:[1,1,0]
	v_fma_mix_f32 v6, v12, v1, v6 op_sel:[0,1,0] op_sel_hi:[1,1,0]
	;; [unrolled: 2-line block ×4, first 2 shown]
	v_fma_mixlo_f16 v6, v6, v18, 0 op_sel_hi:[0,1,0]
	v_add_f16_e32 v6, v39, v6
	buffer_store_dword v6, off, s[28:31], 0 offset:16 ; 4-byte Folded Spill
	v_fma_mix_f32 v6, v49, v0, 0 op_sel_hi:[1,1,0]
	v_fma_mix_f32 v6, v50, v0, v6 op_sel:[0,1,0] op_sel_hi:[1,1,0]
	v_fma_mix_f32 v6, v51, v1, v6 op_sel_hi:[1,1,0]
	v_fma_mix_f32 v6, v13, v1, v6 op_sel:[0,1,0] op_sel_hi:[1,1,0]
	;; [unrolled: 2-line block ×4, first 2 shown]
	v_fma_mixlo_f16 v6, v6, v18, 0 op_sel:[0,1,0] op_sel_hi:[0,1,0]
	v_add_f16_e32 v6, v40, v6
	buffer_store_dword v6, off, s[28:31], 0 offset:12 ; 4-byte Folded Spill
	v_fma_mix_f32 v6, v55, v0, 0 op_sel_hi:[1,1,0]
	v_fma_mix_f32 v6, v56, v0, v6 op_sel:[0,1,0] op_sel_hi:[1,1,0]
	v_fma_mix_f32 v6, v57, v1, v6 op_sel_hi:[1,1,0]
	v_fma_mix_f32 v6, v14, v1, v6 op_sel:[0,1,0] op_sel_hi:[1,1,0]
	;; [unrolled: 2-line block ×4, first 2 shown]
	v_fma_mixlo_f16 v6, v6, v19, 0 op_sel_hi:[0,1,0]
	v_add_f16_e32 v58, v41, v6
	v_fma_mix_f32 v6, v61, v0, 0 op_sel_hi:[1,1,0]
	v_fma_mix_f32 v0, v62, v0, v6 op_sel:[0,1,0] op_sel_hi:[1,1,0]
	v_fma_mix_f32 v0, v63, v1, v0 op_sel_hi:[1,1,0]
	v_fma_mix_f32 v0, v15, v1, v0 op_sel:[0,1,0] op_sel_hi:[1,1,0]
	v_fma_mix_f32 v0, v25, v2, v0 op_sel_hi:[1,1,0]
	v_fma_mix_f32 v0, v20, v2, v0 op_sel:[0,1,0] op_sel_hi:[1,1,0]
	v_fma_mix_f32 v0, v37, v3, v0 op_sel_hi:[1,1,0]
	v_fma_mix_f32 v0, v34, v3, v0 op_sel:[0,1,0] op_sel_hi:[1,1,0]
	v_add_co_u32_e32 v8, vcc, s2, v16
	v_fma_mixlo_f16 v0, v0, v19, 0 op_sel:[0,1,0] op_sel_hi:[0,1,0]
	v_addc_co_u32_e32 v9, vcc, v17, v26, vcc
	v_add_f16_e32 v25, v42, v0
	global_load_dwordx4 v[0:3], v[8:9], off
	v_add_co_u32_e32 v8, vcc, s2, v8
	v_addc_co_u32_e32 v9, vcc, v9, v26, vcc
	global_load_dwordx4 v[59:62], v[8:9], off
	s_waitcnt vmcnt(1)
	v_sub_u32_sdwa v6, v0, v33 dst_sel:DWORD dst_unused:UNUSED_PAD src0_sel:BYTE_0 src1_sel:DWORD
	v_cvt_f32_i32_e32 v6, v6
	v_cvt_f16_f32_e32 v8, v6
	v_sub_u32_sdwa v6, v0, v33 dst_sel:DWORD dst_unused:UNUSED_PAD src0_sel:BYTE_1 src1_sel:DWORD
	v_cvt_f32_i32_e32 v6, v6
	v_cvt_f16_f32_e32 v9, v6
	v_sub_u32_sdwa v6, v0, v33 dst_sel:DWORD dst_unused:UNUSED_PAD src0_sel:BYTE_2 src1_sel:DWORD
	v_sub_u32_sdwa v0, v0, v33 dst_sel:DWORD dst_unused:UNUSED_PAD src0_sel:BYTE_3 src1_sel:DWORD
	v_cvt_f32_i32_e32 v0, v0
	v_cvt_f32_i32_e32 v6, v6
	v_cvt_f16_f32_e32 v14, v0
	s_waitcnt vmcnt(0)
	v_sub_u32_sdwa v0, v59, v33 dst_sel:DWORD dst_unused:UNUSED_PAD src0_sel:BYTE_0 src1_sel:DWORD
	v_cvt_f32_i32_e32 v0, v0
	v_cvt_f16_f32_e32 v10, v6
	v_cvt_f16_f32_e32 v12, v0
	v_sub_u32_sdwa v0, v59, v33 dst_sel:DWORD dst_unused:UNUSED_PAD src0_sel:BYTE_1 src1_sel:DWORD
	v_cvt_f32_i32_e32 v0, v0
	v_cvt_f16_f32_e32 v13, v0
	v_sub_u32_sdwa v0, v59, v33 dst_sel:DWORD dst_unused:UNUSED_PAD src0_sel:BYTE_2 src1_sel:DWORD
	v_cvt_f32_i32_e32 v0, v0
	v_cvt_f16_f32_e32 v34, v0
	v_sub_u32_sdwa v0, v59, v33 dst_sel:DWORD dst_unused:UNUSED_PAD src0_sel:BYTE_3 src1_sel:DWORD
	v_cvt_f32_i32_e32 v0, v0
	v_cvt_f16_f32_e32 v20, v0
	v_sub_u32_sdwa v0, v1, v32 dst_sel:DWORD dst_unused:UNUSED_PAD src0_sel:BYTE_0 src1_sel:DWORD
	v_cvt_f32_i32_e32 v0, v0
	v_cvt_f16_f32_e32 v33, v0
	v_sub_u32_sdwa v0, v1, v32 dst_sel:DWORD dst_unused:UNUSED_PAD src0_sel:BYTE_1 src1_sel:DWORD
	v_cvt_f32_i32_e32 v0, v0
	v_cvt_f16_f32_e32 v37, v0
	v_sub_u32_sdwa v0, v1, v32 dst_sel:DWORD dst_unused:UNUSED_PAD src0_sel:BYTE_2 src1_sel:DWORD
	v_cvt_f32_i32_e32 v0, v0
	v_cvt_f16_f32_e32 v39, v0
	v_sub_u32_sdwa v0, v1, v32 dst_sel:DWORD dst_unused:UNUSED_PAD src0_sel:BYTE_3 src1_sel:DWORD
	v_cvt_f32_i32_e32 v0, v0
	v_fma_mix_f32 v1, v33, v21, 0 op_sel_hi:[1,1,0]
	v_fma_mix_f32 v1, v37, v21, v1 op_sel:[0,1,0] op_sel_hi:[1,1,0]
	v_fma_mix_f32 v1, v39, v22, v1 op_sel_hi:[1,1,0]
	v_cvt_f16_f32_e32 v40, v0
	v_sub_u32_sdwa v0, v60, v32 dst_sel:DWORD dst_unused:UNUSED_PAD src0_sel:BYTE_0 src1_sel:DWORD
	v_cvt_f32_i32_e32 v0, v0
	v_fma_mix_f32 v1, v40, v22, v1 op_sel:[0,1,0] op_sel_hi:[1,1,0]
	v_cvt_f16_f32_e32 v41, v0
	v_sub_u32_sdwa v0, v60, v32 dst_sel:DWORD dst_unused:UNUSED_PAD src0_sel:BYTE_1 src1_sel:DWORD
	v_cvt_f32_i32_e32 v0, v0
	v_fma_mix_f32 v1, v41, v23, v1 op_sel_hi:[1,1,0]
	v_cvt_f16_f32_e32 v42, v0
	v_sub_u32_sdwa v0, v60, v32 dst_sel:DWORD dst_unused:UNUSED_PAD src0_sel:BYTE_2 src1_sel:DWORD
	v_cvt_f32_i32_e32 v0, v0
	v_fma_mix_f32 v1, v42, v23, v1 op_sel:[0,1,0] op_sel_hi:[1,1,0]
	v_cvt_f16_f32_e32 v43, v0
	v_sub_u32_sdwa v0, v60, v32 dst_sel:DWORD dst_unused:UNUSED_PAD src0_sel:BYTE_3 src1_sel:DWORD
	v_cvt_f32_i32_e32 v0, v0
	v_fma_mix_f32 v1, v43, v24, v1 op_sel_hi:[1,1,0]
	v_cvt_f16_f32_e32 v45, v0
	v_sub_u32_sdwa v0, v2, v31 dst_sel:DWORD dst_unused:UNUSED_PAD src0_sel:BYTE_0 src1_sel:DWORD
	v_cvt_f32_i32_e32 v0, v0
	v_fma_mix_f32 v1, v45, v24, v1 op_sel:[0,1,0] op_sel_hi:[1,1,0]
	v_fma_mixlo_f16 v1, v1, v18, 0 op_sel:[0,1,0] op_sel_hi:[0,1,0]
	v_cvt_f16_f32_e32 v59, v0
	v_sub_u32_sdwa v0, v2, v31 dst_sel:DWORD dst_unused:UNUSED_PAD src0_sel:BYTE_1 src1_sel:DWORD
	v_cvt_f32_i32_e32 v0, v0
	v_add_f16_e32 v1, v36, v1
	v_cvt_f16_f32_e32 v44, v0
	v_sub_u32_sdwa v0, v2, v31 dst_sel:DWORD dst_unused:UNUSED_PAD src0_sel:BYTE_2 src1_sel:DWORD
	v_cvt_f32_i32_e32 v0, v0
	v_cvt_f16_f32_e32 v46, v0
	v_sub_u32_sdwa v0, v2, v31 dst_sel:DWORD dst_unused:UNUSED_PAD src0_sel:BYTE_3 src1_sel:DWORD
	v_cvt_f32_i32_e32 v0, v0
	v_cvt_f16_f32_e32 v47, v0
	v_sub_u32_sdwa v0, v61, v31 dst_sel:DWORD dst_unused:UNUSED_PAD src0_sel:BYTE_0 src1_sel:DWORD
	v_cvt_f32_i32_e32 v0, v0
	v_cvt_f16_f32_e32 v48, v0
	v_sub_u32_sdwa v0, v61, v31 dst_sel:DWORD dst_unused:UNUSED_PAD src0_sel:BYTE_1 src1_sel:DWORD
	v_cvt_f32_i32_e32 v0, v0
	v_cvt_f16_f32_e32 v49, v0
	v_sub_u32_sdwa v0, v61, v31 dst_sel:DWORD dst_unused:UNUSED_PAD src0_sel:BYTE_2 src1_sel:DWORD
	v_cvt_f32_i32_e32 v0, v0
	v_cvt_f16_f32_e32 v50, v0
	v_sub_u32_sdwa v0, v61, v31 dst_sel:DWORD dst_unused:UNUSED_PAD src0_sel:BYTE_3 src1_sel:DWORD
	v_cvt_f32_i32_e32 v0, v0
	v_cvt_f16_f32_e32 v51, v0
	v_sub_u32_sdwa v0, v3, v30 dst_sel:DWORD dst_unused:UNUSED_PAD src0_sel:BYTE_0 src1_sel:DWORD
	v_cvt_f32_i32_e32 v0, v0
	v_cvt_f16_f32_e32 v26, v0
	v_sub_u32_sdwa v0, v3, v30 dst_sel:DWORD dst_unused:UNUSED_PAD src0_sel:BYTE_1 src1_sel:DWORD
	v_cvt_f32_i32_e32 v0, v0
	;; [unrolled: 12-line block ×3, first 2 shown]
	v_cvt_f16_f32_e32 v56, v0
	v_sub_u32_sdwa v0, v62, v30 dst_sel:DWORD dst_unused:UNUSED_PAD src0_sel:BYTE_2 src1_sel:DWORD
	v_cvt_f32_i32_e32 v0, v0
	v_cvt_f16_f32_e32 v57, v0
	v_sub_u32_sdwa v0, v62, v30 dst_sel:DWORD dst_unused:UNUSED_PAD src0_sel:BYTE_3 src1_sel:DWORD
	v_cvt_f32_i32_e32 v0, v0
	v_cvt_f16_f32_e32 v17, v0
	v_fma_mix_f32 v0, v8, v21, 0 op_sel_hi:[1,1,0]
	v_fma_mix_f32 v0, v9, v21, v0 op_sel:[0,1,0] op_sel_hi:[1,1,0]
	v_fma_mix_f32 v0, v10, v22, v0 op_sel_hi:[1,1,0]
	v_fma_mix_f32 v0, v14, v22, v0 op_sel:[0,1,0] op_sel_hi:[1,1,0]
	;; [unrolled: 2-line block ×4, first 2 shown]
	v_fma_mixlo_f16 v0, v0, v18, 0 op_sel_hi:[0,1,0]
	v_add_f16_e32 v0, v38, v0
	v_pack_b32_f16 v16, v0, v1
	v_fma_mix_f32 v0, v59, v21, 0 op_sel_hi:[1,1,0]
	v_fma_mix_f32 v1, v26, v21, 0 op_sel_hi:[1,1,0]
	v_fma_mix_f32 v0, v44, v21, v0 op_sel:[0,1,0] op_sel_hi:[1,1,0]
	v_fma_mix_f32 v1, v52, v21, v1 op_sel:[0,1,0] op_sel_hi:[1,1,0]
	v_fma_mix_f32 v0, v46, v22, v0 op_sel_hi:[1,1,0]
	v_fma_mix_f32 v1, v53, v22, v1 op_sel_hi:[1,1,0]
	v_fma_mix_f32 v0, v47, v22, v0 op_sel:[0,1,0] op_sel_hi:[1,1,0]
	v_fma_mix_f32 v1, v54, v22, v1 op_sel:[0,1,0] op_sel_hi:[1,1,0]
	;; [unrolled: 4-line block ×4, first 2 shown]
	v_fma_mixlo_f16 v0, v0, v19, 0 op_sel_hi:[0,1,0]
	v_fma_mixlo_f16 v1, v1, v19, 0 op_sel:[0,1,0] op_sel_hi:[0,1,0]
	v_add_f16_e32 v0, v11, v0
	v_add_f16_e32 v1, v5, v1
	v_pack_b32_f16 v15, v0, v1
	ds_read_b128 v[0:3], v29 offset:304
	s_waitcnt lgkmcnt(0)
	v_fma_mix_f32 v5, v8, v0, 0 op_sel_hi:[1,1,0]
	v_fma_mix_f32 v6, v33, v0, 0 op_sel_hi:[1,1,0]
	v_fma_mix_f32 v5, v9, v0, v5 op_sel:[0,1,0] op_sel_hi:[1,1,0]
	v_fma_mix_f32 v6, v37, v0, v6 op_sel:[0,1,0] op_sel_hi:[1,1,0]
	v_fma_mix_f32 v5, v10, v1, v5 op_sel_hi:[1,1,0]
	v_fma_mix_f32 v6, v39, v1, v6 op_sel_hi:[1,1,0]
	v_fma_mix_f32 v5, v14, v1, v5 op_sel:[0,1,0] op_sel_hi:[1,1,0]
	v_fma_mix_f32 v6, v40, v1, v6 op_sel:[0,1,0] op_sel_hi:[1,1,0]
	v_fma_mix_f32 v5, v12, v2, v5 op_sel_hi:[1,1,0]
	v_fma_mix_f32 v6, v41, v2, v6 op_sel_hi:[1,1,0]
	v_fma_mix_f32 v5, v13, v2, v5 op_sel:[0,1,0] op_sel_hi:[1,1,0]
	v_fma_mix_f32 v6, v42, v2, v6 op_sel:[0,1,0] op_sel_hi:[1,1,0]
	v_fma_mix_f32 v5, v34, v3, v5 op_sel_hi:[1,1,0]
	v_fma_mix_f32 v6, v43, v3, v6 op_sel_hi:[1,1,0]
	v_fma_mix_f32 v5, v20, v3, v5 op_sel:[0,1,0] op_sel_hi:[1,1,0]
	v_fma_mix_f32 v6, v45, v3, v6 op_sel:[0,1,0] op_sel_hi:[1,1,0]
	v_fma_mixlo_f16 v5, v5, v18, 0 op_sel_hi:[0,1,0]
	v_fma_mixlo_f16 v6, v6, v18, 0 op_sel:[0,1,0] op_sel_hi:[0,1,0]
	v_add_f16_e32 v5, v28, v5
	v_add_f16_e32 v6, v35, v6
	v_pack_b32_f16 v36, v5, v6
	v_fma_mix_f32 v5, v59, v0, 0 op_sel_hi:[1,1,0]
	v_fma_mix_f32 v5, v44, v0, v5 op_sel:[0,1,0] op_sel_hi:[1,1,0]
	v_fma_mix_f32 v5, v46, v1, v5 op_sel_hi:[1,1,0]
	v_fma_mix_f32 v5, v47, v1, v5 op_sel:[0,1,0] op_sel_hi:[1,1,0]
	;; [unrolled: 2-line block ×4, first 2 shown]
	v_fma_mixlo_f16 v5, v5, v19, 0 op_sel_hi:[0,1,0]
	v_add_f16_e32 v5, v7, v5
	buffer_load_dword v7, off, s[28:31], 0 offset:32 ; 4-byte Folded Reload
	v_fma_mix_f32 v6, v26, v0, 0 op_sel_hi:[1,1,0]
	v_fma_mix_f32 v0, v52, v0, v6 op_sel:[0,1,0] op_sel_hi:[1,1,0]
	v_fma_mix_f32 v0, v53, v1, v0 op_sel_hi:[1,1,0]
	v_fma_mix_f32 v0, v54, v1, v0 op_sel:[0,1,0] op_sel_hi:[1,1,0]
	;; [unrolled: 2-line block ×4, first 2 shown]
	v_fma_mixlo_f16 v0, v0, v19, 0 op_sel:[0,1,0] op_sel_hi:[0,1,0]
	v_add_f16_e32 v0, v27, v0
	v_pack_b32_f16 v6, v5, v0
	ds_read_b128 v[0:3], v29 offset:560
	s_waitcnt lgkmcnt(0)
	v_fma_mix_f32 v5, v8, v0, 0 op_sel_hi:[1,1,0]
	v_fma_mix_f32 v5, v9, v0, v5 op_sel:[0,1,0] op_sel_hi:[1,1,0]
	v_fma_mix_f32 v5, v10, v1, v5 op_sel_hi:[1,1,0]
	v_fma_mix_f32 v5, v14, v1, v5 op_sel:[0,1,0] op_sel_hi:[1,1,0]
	;; [unrolled: 2-line block ×4, first 2 shown]
	v_fma_mixlo_f16 v5, v5, v18, 0 op_sel_hi:[0,1,0]
	v_add_f16_e32 v4, v4, v5
	v_fma_mix_f32 v5, v33, v0, 0 op_sel_hi:[1,1,0]
	v_fma_mix_f32 v5, v37, v0, v5 op_sel:[0,1,0] op_sel_hi:[1,1,0]
	v_fma_mix_f32 v5, v39, v1, v5 op_sel_hi:[1,1,0]
	v_fma_mix_f32 v5, v40, v1, v5 op_sel:[0,1,0] op_sel_hi:[1,1,0]
	;; [unrolled: 2-line block ×4, first 2 shown]
	v_fma_mixlo_f16 v5, v5, v18, 0 op_sel:[0,1,0] op_sel_hi:[0,1,0]
	s_waitcnt vmcnt(0)
	v_add_f16_e32 v5, v7, v5
	v_pack_b32_f16 v21, v4, v5
	buffer_load_dword v5, off, s[28:31], 0 offset:20 ; 4-byte Folded Reload
	v_fma_mix_f32 v4, v59, v0, 0 op_sel_hi:[1,1,0]
	v_fma_mix_f32 v4, v44, v0, v4 op_sel:[0,1,0] op_sel_hi:[1,1,0]
	v_fma_mix_f32 v4, v46, v1, v4 op_sel_hi:[1,1,0]
	v_fma_mix_f32 v4, v47, v1, v4 op_sel:[0,1,0] op_sel_hi:[1,1,0]
	v_fma_mix_f32 v4, v48, v2, v4 op_sel_hi:[1,1,0]
	v_fma_mix_f32 v4, v49, v2, v4 op_sel:[0,1,0] op_sel_hi:[1,1,0]
	v_fma_mix_f32 v4, v50, v3, v4 op_sel_hi:[1,1,0]
	v_fma_mix_f32 v4, v51, v3, v4 op_sel:[0,1,0] op_sel_hi:[1,1,0]
	v_fma_mixlo_f16 v4, v4, v19, 0 op_sel_hi:[0,1,0]
	buffer_load_dword v7, off, s[28:31], 0 offset:12 ; 4-byte Folded Reload
	s_waitcnt vmcnt(1)
	v_add_f16_e32 v4, v5, v4
	v_fma_mix_f32 v5, v26, v0, 0 op_sel_hi:[1,1,0]
	v_fma_mix_f32 v0, v52, v0, v5 op_sel:[0,1,0] op_sel_hi:[1,1,0]
	v_fma_mix_f32 v0, v53, v1, v0 op_sel_hi:[1,1,0]
	v_fma_mix_f32 v0, v54, v1, v0 op_sel:[0,1,0] op_sel_hi:[1,1,0]
	buffer_load_dword v1, off, s[28:31], 0 offset:24 ; 4-byte Folded Reload
	buffer_load_dword v5, off, s[28:31], 0 offset:16 ; 4-byte Folded Reload
	v_fma_mix_f32 v0, v55, v2, v0 op_sel_hi:[1,1,0]
	v_fma_mix_f32 v0, v56, v2, v0 op_sel:[0,1,0] op_sel_hi:[1,1,0]
	v_fma_mix_f32 v0, v57, v3, v0 op_sel_hi:[1,1,0]
	v_fma_mix_f32 v0, v17, v3, v0 op_sel:[0,1,0] op_sel_hi:[1,1,0]
	v_fma_mixlo_f16 v0, v0, v19, 0 op_sel:[0,1,0] op_sel_hi:[0,1,0]
	s_waitcnt vmcnt(1)
	v_add_f16_e32 v0, v1, v0
	v_pack_b32_f16 v11, v4, v0
	ds_read_b128 v[0:3], v29 offset:816
	s_waitcnt lgkmcnt(0)
	v_fma_mix_f32 v4, v8, v0, 0 op_sel_hi:[1,1,0]
	v_fma_mix_f32 v4, v9, v0, v4 op_sel:[0,1,0] op_sel_hi:[1,1,0]
	v_fma_mix_f32 v4, v10, v1, v4 op_sel_hi:[1,1,0]
	v_fma_mix_f32 v4, v14, v1, v4 op_sel:[0,1,0] op_sel_hi:[1,1,0]
	;; [unrolled: 2-line block ×4, first 2 shown]
	v_fma_mixlo_f16 v4, v4, v18, 0 op_sel_hi:[0,1,0]
	s_waitcnt vmcnt(0)
	v_add_f16_e32 v4, v5, v4
	v_fma_mix_f32 v5, v33, v0, 0 op_sel_hi:[1,1,0]
	v_fma_mix_f32 v5, v37, v0, v5 op_sel:[0,1,0] op_sel_hi:[1,1,0]
	v_fma_mix_f32 v5, v39, v1, v5 op_sel_hi:[1,1,0]
	v_fma_mix_f32 v5, v40, v1, v5 op_sel:[0,1,0] op_sel_hi:[1,1,0]
	;; [unrolled: 2-line block ×4, first 2 shown]
	v_fma_mixlo_f16 v5, v5, v18, 0 op_sel:[0,1,0] op_sel_hi:[0,1,0]
	v_add_f16_e32 v5, v7, v5
	v_pack_b32_f16 v8, v4, v5
	v_fma_mix_f32 v4, v59, v0, 0 op_sel_hi:[1,1,0]
	v_fma_mix_f32 v5, v26, v0, 0 op_sel_hi:[1,1,0]
	v_fma_mix_f32 v4, v44, v0, v4 op_sel:[0,1,0] op_sel_hi:[1,1,0]
	v_fma_mix_f32 v0, v52, v0, v5 op_sel:[0,1,0] op_sel_hi:[1,1,0]
	v_fma_mix_f32 v4, v46, v1, v4 op_sel_hi:[1,1,0]
	v_fma_mix_f32 v0, v53, v1, v0 op_sel_hi:[1,1,0]
	v_fma_mix_f32 v4, v47, v1, v4 op_sel:[0,1,0] op_sel_hi:[1,1,0]
	v_fma_mix_f32 v0, v54, v1, v0 op_sel:[0,1,0] op_sel_hi:[1,1,0]
	;; [unrolled: 4-line block ×4, first 2 shown]
	v_fma_mixlo_f16 v4, v4, v19, 0 op_sel_hi:[0,1,0]
	v_fma_mixlo_f16 v0, v0, v19, 0 op_sel:[0,1,0] op_sel_hi:[0,1,0]
	v_add_f16_e32 v4, v58, v4
	v_add_f16_e32 v0, v25, v0
	v_pack_b32_f16 v17, v4, v0
	buffer_load_dword v4, off, s[28:31], 0  ; 4-byte Folded Reload
	buffer_load_dword v5, off, s[28:31], 0 offset:4 ; 4-byte Folded Reload
	v_mov_b32_e32 v0, s1
	s_waitcnt vmcnt(1)
	v_add_co_u32_e32 v4, vcc, s0, v4
	s_waitcnt vmcnt(0)
	v_addc_co_u32_e32 v5, vcc, v5, v0, vcc
	s_cbranch_scc1 .LBB30_17
; %bb.16:                               ;   in Loop: Header=BB30_13 Depth=1
	buffer_store_dword v6, off, s[28:31], 0 offset:12 ; 4-byte Folded Spill
	buffer_load_dword v1, off, s[28:31], 0 offset:68 ; 4-byte Folded Reload
	buffer_load_dword v3, off, s[28:31], 0 offset:72 ; 4-byte Folded Reload
	s_nop 0
	buffer_load_dword v6, off, s[28:31], 0 offset:76 ; 4-byte Folded Reload
	buffer_load_dword v2, off, s[28:31], 0 offset:80 ; 4-byte Folded Reload
	s_branch .LBB30_13
.LBB30_17:
	buffer_load_dword v0, off, s[28:31], 0 offset:88 ; 4-byte Folded Reload
	buffer_load_dword v1, off, s[28:31], 0 offset:92 ; 4-byte Folded Reload
	s_mul_i32 s7, s7, s16
	v_mov_b32_e32 v3, s15
	s_mov_b64 s[0:1], 0
	s_waitcnt vmcnt(1)
	v_add_u32_e32 v0, s7, v0
	s_waitcnt vmcnt(0)
	v_ashrrev_i32_e32 v1, 31, v0
	v_lshlrev_b64 v[1:2], 1, v[0:1]
	v_add_co_u32_e32 v1, vcc, s14, v1
	v_addc_co_u32_e32 v2, vcc, v3, v2, vcc
	global_load_dword v4, v[1:2], off
.LBB30_18:                              ; =>This Inner Loop Header: Depth=1
	s_waitcnt vmcnt(0)
	v_pk_add_f16 v3, v16, v4
	global_atomic_cmpswap v3, v[1:2], v[3:4], off glc
	s_waitcnt vmcnt(0)
	v_cmp_eq_u32_e32 vcc, v4, v3
	s_or_b64 s[0:1], vcc, s[0:1]
	v_mov_b32_e32 v4, v3
	s_andn2_b64 exec, exec, s[0:1]
	s_cbranch_execnz .LBB30_18
; %bb.19:
	s_or_b64 exec, exec, s[0:1]
	global_load_dword v4, v[1:2], off offset:4
	s_mov_b64 s[0:1], 0
.LBB30_20:                              ; =>This Inner Loop Header: Depth=1
	s_waitcnt vmcnt(0)
	v_pk_add_f16 v3, v15, v4
	global_atomic_cmpswap v3, v[1:2], v[3:4], off offset:4 glc
	s_waitcnt vmcnt(0)
	v_cmp_eq_u32_e32 vcc, v4, v3
	s_or_b64 s[0:1], vcc, s[0:1]
	v_mov_b32_e32 v4, v3
	s_andn2_b64 exec, exec, s[0:1]
	s_cbranch_execnz .LBB30_20
; %bb.21:
	s_or_b64 exec, exec, s[0:1]
	v_add_u32_e32 v0, s16, v0
	v_ashrrev_i32_e32 v1, 31, v0
	v_lshlrev_b64 v[1:2], 1, v[0:1]
	v_mov_b32_e32 v3, s15
	v_add_co_u32_e32 v1, vcc, s14, v1
	v_addc_co_u32_e32 v2, vcc, v3, v2, vcc
	global_load_dword v4, v[1:2], off
	s_mov_b64 s[0:1], 0
.LBB30_22:                              ; =>This Inner Loop Header: Depth=1
	s_waitcnt vmcnt(0)
	v_pk_add_f16 v3, v36, v4
	global_atomic_cmpswap v3, v[1:2], v[3:4], off glc
	s_waitcnt vmcnt(0)
	v_cmp_eq_u32_e32 vcc, v4, v3
	s_or_b64 s[0:1], vcc, s[0:1]
	v_mov_b32_e32 v4, v3
	s_andn2_b64 exec, exec, s[0:1]
	s_cbranch_execnz .LBB30_22
; %bb.23:
	s_or_b64 exec, exec, s[0:1]
	global_load_dword v4, v[1:2], off offset:4
	s_mov_b64 s[0:1], 0
.LBB30_24:                              ; =>This Inner Loop Header: Depth=1
	s_waitcnt vmcnt(0)
	v_pk_add_f16 v3, v6, v4
	global_atomic_cmpswap v3, v[1:2], v[3:4], off offset:4 glc
	s_waitcnt vmcnt(0)
	v_cmp_eq_u32_e32 vcc, v4, v3
	s_or_b64 s[0:1], vcc, s[0:1]
	v_mov_b32_e32 v4, v3
	s_andn2_b64 exec, exec, s[0:1]
	s_cbranch_execnz .LBB30_24
; %bb.25:
	s_or_b64 exec, exec, s[0:1]
	v_add_u32_e32 v0, s16, v0
	v_ashrrev_i32_e32 v1, 31, v0
	v_lshlrev_b64 v[1:2], 1, v[0:1]
	v_mov_b32_e32 v3, s15
	v_add_co_u32_e32 v1, vcc, s14, v1
	v_addc_co_u32_e32 v2, vcc, v3, v2, vcc
	global_load_dword v4, v[1:2], off
	s_mov_b64 s[0:1], 0
	;; [unrolled: 34-line block ×3, first 2 shown]
.LBB30_30:                              ; =>This Inner Loop Header: Depth=1
	s_waitcnt vmcnt(0)
	v_pk_add_f16 v2, v8, v3
	global_atomic_cmpswap v2, v[0:1], v[2:3], off glc
	s_waitcnt vmcnt(0)
	v_cmp_eq_u32_e32 vcc, v3, v2
	s_or_b64 s[0:1], vcc, s[0:1]
	v_mov_b32_e32 v3, v2
	s_andn2_b64 exec, exec, s[0:1]
	s_cbranch_execnz .LBB30_30
; %bb.31:
	s_or_b64 exec, exec, s[0:1]
	global_load_dword v3, v[0:1], off offset:4
	s_mov_b64 s[0:1], 0
.LBB30_32:                              ; =>This Inner Loop Header: Depth=1
	s_waitcnt vmcnt(0)
	v_pk_add_f16 v2, v17, v3
	global_atomic_cmpswap v2, v[0:1], v[2:3], off offset:4 glc
	s_waitcnt vmcnt(0)
	v_cmp_eq_u32_e32 vcc, v3, v2
	s_or_b64 s[0:1], vcc, s[0:1]
	v_mov_b32_e32 v3, v2
	s_andn2_b64 exec, exec, s[0:1]
	s_cbranch_execnz .LBB30_32
.LBB30_33:
	s_endpgm
	.section	.rodata,"a",@progbits
	.p2align	6, 0x0
	.amdhsa_kernel _ZN4vllm4gptq33gemm_half_q_half_gptq_8bit_kernelILb1ELi4EEEvPK6__halfPKjS6_S4_PS2_iiiibPKi
		.amdhsa_group_segment_fixed_size 1024
		.amdhsa_private_segment_fixed_size 104
		.amdhsa_kernarg_size 72
		.amdhsa_user_sgpr_count 6
		.amdhsa_user_sgpr_private_segment_buffer 1
		.amdhsa_user_sgpr_dispatch_ptr 0
		.amdhsa_user_sgpr_queue_ptr 0
		.amdhsa_user_sgpr_kernarg_segment_ptr 1
		.amdhsa_user_sgpr_dispatch_id 0
		.amdhsa_user_sgpr_flat_scratch_init 0
		.amdhsa_user_sgpr_private_segment_size 0
		.amdhsa_uses_dynamic_stack 0
		.amdhsa_system_sgpr_private_segment_wavefront_offset 1
		.amdhsa_system_sgpr_workgroup_id_x 1
		.amdhsa_system_sgpr_workgroup_id_y 1
		.amdhsa_system_sgpr_workgroup_id_z 1
		.amdhsa_system_sgpr_workgroup_info 0
		.amdhsa_system_vgpr_workitem_id 0
		.amdhsa_next_free_vgpr 64
		.amdhsa_next_free_sgpr 32
		.amdhsa_reserve_vcc 1
		.amdhsa_reserve_flat_scratch 0
		.amdhsa_float_round_mode_32 0
		.amdhsa_float_round_mode_16_64 0
		.amdhsa_float_denorm_mode_32 3
		.amdhsa_float_denorm_mode_16_64 3
		.amdhsa_dx10_clamp 1
		.amdhsa_ieee_mode 1
		.amdhsa_fp16_overflow 0
		.amdhsa_exception_fp_ieee_invalid_op 0
		.amdhsa_exception_fp_denorm_src 0
		.amdhsa_exception_fp_ieee_div_zero 0
		.amdhsa_exception_fp_ieee_overflow 0
		.amdhsa_exception_fp_ieee_underflow 0
		.amdhsa_exception_fp_ieee_inexact 0
		.amdhsa_exception_int_div_zero 0
	.end_amdhsa_kernel
	.section	.text._ZN4vllm4gptq33gemm_half_q_half_gptq_8bit_kernelILb1ELi4EEEvPK6__halfPKjS6_S4_PS2_iiiibPKi,"axG",@progbits,_ZN4vllm4gptq33gemm_half_q_half_gptq_8bit_kernelILb1ELi4EEEvPK6__halfPKjS6_S4_PS2_iiiibPKi,comdat
.Lfunc_end30:
	.size	_ZN4vllm4gptq33gemm_half_q_half_gptq_8bit_kernelILb1ELi4EEEvPK6__halfPKjS6_S4_PS2_iiiibPKi, .Lfunc_end30-_ZN4vllm4gptq33gemm_half_q_half_gptq_8bit_kernelILb1ELi4EEEvPK6__halfPKjS6_S4_PS2_iiiibPKi
                                        ; -- End function
	.set _ZN4vllm4gptq33gemm_half_q_half_gptq_8bit_kernelILb1ELi4EEEvPK6__halfPKjS6_S4_PS2_iiiibPKi.num_vgpr, 64
	.set _ZN4vllm4gptq33gemm_half_q_half_gptq_8bit_kernelILb1ELi4EEEvPK6__halfPKjS6_S4_PS2_iiiibPKi.num_agpr, 0
	.set _ZN4vllm4gptq33gemm_half_q_half_gptq_8bit_kernelILb1ELi4EEEvPK6__halfPKjS6_S4_PS2_iiiibPKi.numbered_sgpr, 32
	.set _ZN4vllm4gptq33gemm_half_q_half_gptq_8bit_kernelILb1ELi4EEEvPK6__halfPKjS6_S4_PS2_iiiibPKi.num_named_barrier, 0
	.set _ZN4vllm4gptq33gemm_half_q_half_gptq_8bit_kernelILb1ELi4EEEvPK6__halfPKjS6_S4_PS2_iiiibPKi.private_seg_size, 104
	.set _ZN4vllm4gptq33gemm_half_q_half_gptq_8bit_kernelILb1ELi4EEEvPK6__halfPKjS6_S4_PS2_iiiibPKi.uses_vcc, 1
	.set _ZN4vllm4gptq33gemm_half_q_half_gptq_8bit_kernelILb1ELi4EEEvPK6__halfPKjS6_S4_PS2_iiiibPKi.uses_flat_scratch, 0
	.set _ZN4vllm4gptq33gemm_half_q_half_gptq_8bit_kernelILb1ELi4EEEvPK6__halfPKjS6_S4_PS2_iiiibPKi.has_dyn_sized_stack, 0
	.set _ZN4vllm4gptq33gemm_half_q_half_gptq_8bit_kernelILb1ELi4EEEvPK6__halfPKjS6_S4_PS2_iiiibPKi.has_recursion, 0
	.set _ZN4vllm4gptq33gemm_half_q_half_gptq_8bit_kernelILb1ELi4EEEvPK6__halfPKjS6_S4_PS2_iiiibPKi.has_indirect_call, 0
	.section	.AMDGPU.csdata,"",@progbits
; Kernel info:
; codeLenInByte = 10232
; TotalNumSgprs: 36
; NumVgprs: 64
; ScratchSize: 104
; MemoryBound: 0
; FloatMode: 240
; IeeeMode: 1
; LDSByteSize: 1024 bytes/workgroup (compile time only)
; SGPRBlocks: 4
; VGPRBlocks: 15
; NumSGPRsForWavesPerEU: 36
; NumVGPRsForWavesPerEU: 64
; Occupancy: 4
; WaveLimiterHint : 0
; COMPUTE_PGM_RSRC2:SCRATCH_EN: 1
; COMPUTE_PGM_RSRC2:USER_SGPR: 6
; COMPUTE_PGM_RSRC2:TRAP_HANDLER: 0
; COMPUTE_PGM_RSRC2:TGID_X_EN: 1
; COMPUTE_PGM_RSRC2:TGID_Y_EN: 1
; COMPUTE_PGM_RSRC2:TGID_Z_EN: 1
; COMPUTE_PGM_RSRC2:TIDIG_COMP_CNT: 0
	.section	.text._ZN4vllm4gptq33gemm_half_q_half_gptq_2bit_kernelILb1ELi5EEEvPK6__halfPKjS6_S4_PS2_iiiibPKi,"axG",@progbits,_ZN4vllm4gptq33gemm_half_q_half_gptq_2bit_kernelILb1ELi5EEEvPK6__halfPKjS6_S4_PS2_iiiibPKi,comdat
	.protected	_ZN4vllm4gptq33gemm_half_q_half_gptq_2bit_kernelILb1ELi5EEEvPK6__halfPKjS6_S4_PS2_iiiibPKi ; -- Begin function _ZN4vllm4gptq33gemm_half_q_half_gptq_2bit_kernelILb1ELi5EEEvPK6__halfPKjS6_S4_PS2_iiiibPKi
	.globl	_ZN4vllm4gptq33gemm_half_q_half_gptq_2bit_kernelILb1ELi5EEEvPK6__halfPKjS6_S4_PS2_iiiibPKi
	.p2align	8
	.type	_ZN4vllm4gptq33gemm_half_q_half_gptq_2bit_kernelILb1ELi5EEEvPK6__halfPKjS6_S4_PS2_iiiibPKi,@function
_ZN4vllm4gptq33gemm_half_q_half_gptq_2bit_kernelILb1ELi5EEEvPK6__halfPKjS6_S4_PS2_iiiibPKi: ; @_ZN4vllm4gptq33gemm_half_q_half_gptq_2bit_kernelILb1ELi5EEEvPK6__halfPKjS6_S4_PS2_iiiibPKi
; %bb.0:
	s_mov_b64 s[30:31], s[2:3]
	s_load_dwordx4 s[16:19], s[4:5], 0x2c
	s_mov_b64 s[28:29], s[0:1]
	s_add_u32 s28, s28, s9
	s_addc_u32 s29, s29, 0
	s_lshl_b32 s24, s8, 7
	s_add_i32 s0, s24, 0x80
	v_cvt_f64_u32_e32 v[1:2], s0
	s_waitcnt lgkmcnt(0)
	v_cvt_f64_i32_e32 v[3:4], s17
	s_load_dwordx8 s[8:15], s[4:5], 0x8
	s_mul_i32 s7, s7, 5
	v_min_f64 v[1:2], v[1:2], v[3:4]
	v_cvt_i32_f64_e32 v2, v[1:2]
	v_add_u32_e32 v1, s24, v0
	v_readfirstlane_b32 s25, v2
	v_cmp_lt_u32_e32 vcc, v1, v2
	s_and_saveexec_b64 s[2:3], vcc
	s_cbranch_execz .LBB31_12
; %bb.1:
	s_load_dwordx2 s[0:1], s[4:5], 0x40
	s_load_dwordx2 s[20:21], s[4:5], 0x0
	v_mov_b32_e32 v2, 0
	v_lshlrev_b64 v[3:4], 2, v[1:2]
	s_waitcnt lgkmcnt(0)
	v_mov_b32_e32 v5, s1
	v_add_co_u32_e32 v3, vcc, s0, v3
	s_cmp_lg_u64 s[0:1], 0
	v_addc_co_u32_e32 v4, vcc, v5, v4, vcc
	v_mov_b32_e32 v6, v2
	s_cselect_b64 s[4:5], -1, 0
	s_cmp_eq_u64 s[0:1], 0
	v_mov_b32_e32 v5, v1
	s_cbranch_scc1 .LBB31_3
; %bb.2:
	global_load_dword v5, v[3:4], off
	s_waitcnt vmcnt(0)
	v_ashrrev_i32_e32 v6, 31, v5
.LBB31_3:
	s_mul_i32 s22, s7, s17
	s_ashr_i32 s23, s22, 31
	s_lshl_b64 s[0:1], s[22:23], 1
	s_add_u32 s0, s20, s0
	v_lshlrev_b64 v[5:6], 1, v[5:6]
	s_addc_u32 s1, s21, s1
	v_mov_b32_e32 v7, s1
	v_add_co_u32_e32 v5, vcc, s0, v5
	v_addc_co_u32_e32 v6, vcc, v7, v6, vcc
	global_load_ushort v5, v[5:6], off
	v_lshlrev_b32_e32 v7, 1, v0
	v_cndmask_b32_e64 v6, 0, 1, s[4:5]
	v_cmp_ne_u32_e64 s[0:1], 1, v6
	s_andn2_b64 vcc, exec, s[4:5]
	s_waitcnt vmcnt(0)
	ds_write_b16 v7, v5
	v_mov_b32_e32 v6, v2
	v_mov_b32_e32 v5, v1
	s_cbranch_vccnz .LBB31_5
; %bb.4:
	global_load_dword v5, v[3:4], off
	s_waitcnt vmcnt(0)
	v_ashrrev_i32_e32 v6, 31, v5
.LBB31_5:
	s_add_i32 s4, s22, s17
	s_ashr_i32 s5, s4, 31
	s_lshl_b64 s[22:23], s[4:5], 1
	s_add_u32 s5, s20, s22
	v_lshlrev_b64 v[5:6], 1, v[5:6]
	s_addc_u32 s22, s21, s23
	v_mov_b32_e32 v8, s22
	v_add_co_u32_e32 v5, vcc, s5, v5
	v_addc_co_u32_e32 v6, vcc, v8, v6, vcc
	global_load_ushort v5, v[5:6], off
	s_and_b64 vcc, exec, s[0:1]
	s_waitcnt vmcnt(0)
	ds_write_b16 v7, v5 offset:256
	v_mov_b32_e32 v6, v2
	v_mov_b32_e32 v5, v1
	s_cbranch_vccnz .LBB31_7
; %bb.6:
	global_load_dword v5, v[3:4], off
	s_waitcnt vmcnt(0)
	v_ashrrev_i32_e32 v6, 31, v5
.LBB31_7:
	s_add_i32 s4, s4, s17
	s_ashr_i32 s5, s4, 31
	s_lshl_b64 s[22:23], s[4:5], 1
	s_add_u32 s5, s20, s22
	v_lshlrev_b64 v[5:6], 1, v[5:6]
	s_addc_u32 s22, s21, s23
	v_mov_b32_e32 v8, s22
	v_add_co_u32_e32 v5, vcc, s5, v5
	v_addc_co_u32_e32 v6, vcc, v8, v6, vcc
	global_load_ushort v5, v[5:6], off
	s_and_b64 vcc, exec, s[0:1]
	s_waitcnt vmcnt(0)
	ds_write_b16 v7, v5 offset:512
	;; [unrolled: 21-line block ×3, first 2 shown]
	s_cbranch_vccnz .LBB31_11
; %bb.10:
	global_load_dword v1, v[3:4], off
	s_waitcnt vmcnt(0)
	v_ashrrev_i32_e32 v2, 31, v1
.LBB31_11:
	s_add_i32 s0, s4, s17
	s_ashr_i32 s1, s0, 31
	s_lshl_b64 s[0:1], s[0:1], 1
	s_add_u32 s0, s20, s0
	v_lshlrev_b64 v[1:2], 1, v[1:2]
	s_addc_u32 s1, s21, s1
	v_mov_b32_e32 v3, s1
	v_add_co_u32_e32 v1, vcc, s0, v1
	v_addc_co_u32_e32 v2, vcc, v3, v2, vcc
	global_load_ushort v1, v[1:2], off
	s_waitcnt vmcnt(0)
	ds_write_b16 v7, v1 offset:1024
.LBB31_12:
	s_or_b64 exec, exec, s[2:3]
	v_lshlrev_b32_e32 v1, 2, v0
	v_lshl_add_u32 v2, s6, 9, v1
	v_mov_b32_e32 v1, v2
	buffer_store_dword v1, off, s[28:31], 0 offset:28 ; 4-byte Folded Spill
	s_nop 0
	buffer_store_dword v2, off, s[28:31], 0 offset:32 ; 4-byte Folded Spill
	v_cmp_gt_i32_e32 vcc, s16, v2
	s_and_saveexec_b64 s[0:1], vcc
	s_cbranch_execz .LBB31_39
; %bb.13:
	s_abs_i32 s0, s18
	v_cvt_f32_u32_e32 v1, s0
	s_mov_b32 s2, 0
	v_mov_b32_e32 v5, 0
	v_mov_b32_e32 v23, 0
	v_rcp_iflag_f32_e32 v1, v1
	v_mov_b32_e32 v22, 0
	v_mov_b32_e32 v20, 0
	s_cmp_ge_i32 s24, s25
	v_mul_f32_e32 v1, 0x4f7ffffe, v1
	v_cvt_u32_f32_e32 v1, v1
	v_mov_b32_e32 v19, 0
	v_mov_b32_e32 v18, 0
	;; [unrolled: 1-line block ×3, first 2 shown]
	v_readfirstlane_b32 s1, v1
	v_mov_b32_e32 v16, 0
	v_mov_b32_e32 v14, 0
	;; [unrolled: 1-line block ×3, first 2 shown]
	s_waitcnt vmcnt(0) lgkmcnt(0)
	s_barrier
	s_cbranch_scc1 .LBB31_19
; %bb.14:
	buffer_load_dword v8, off, s[28:31], 0 offset:28 ; 4-byte Folded Reload
	buffer_load_dword v9, off, s[28:31], 0 offset:32 ; 4-byte Folded Reload
	s_sub_i32 s6, 0, s0
	s_mul_i32 s6, s6, s1
	s_mul_hi_u32 s6, s1, s6
	s_abs_i32 s5, s17
	s_add_i32 s1, s1, s6
	s_ashr_i32 s3, s17, 31
	s_ashr_i32 s4, s18, 31
	s_mul_hi_u32 s1, s5, s1
	s_xor_b32 s3, s3, s4
	s_mul_i32 s4, s1, s0
	s_sub_i32 s4, s5, s4
	s_add_i32 s5, s1, 1
	s_sub_i32 s6, s4, s0
	s_cmp_ge_u32 s4, s0
	s_cselect_b32 s1, s5, s1
	s_cselect_b32 s4, s6, s4
	s_add_i32 s5, s1, 1
	s_cmp_ge_u32 s4, s0
	s_cselect_b32 s0, s5, s1
	s_xor_b32 s0, s0, s3
	s_sub_i32 s3, s0, s3
	v_cvt_f32_u32_e32 v1, s3
	s_bitcmp1_b32 s19, 0
	s_cselect_b64 s[0:1], -1, 0
	s_sub_i32 s4, 0, s3
	v_rcp_iflag_f32_e32 v1, v1
	s_xor_b64 s[0:1], s[0:1], -1
	v_mov_b32_e32 v3, s11
	v_mov_b32_e32 v4, s13
	v_mul_f32_e32 v1, 0x4f7ffffe, v1
	v_cvt_u32_f32_e32 v1, v1
	v_mov_b32_e32 v10, 0
	s_movk_i32 s18, 0x2c00
	s_movk_i32 s19, 0x2400
	v_readfirstlane_b32 s5, v1
	s_mul_i32 s4, s4, s5
	s_mul_hi_u32 s4, s5, s4
	s_add_i32 s5, s5, s4
	s_mul_hi_u32 s4, s24, s5
	s_mul_i32 s5, s4, s3
	s_sub_i32 s5, s24, s5
	s_add_i32 s6, s4, 1
	s_sub_i32 s17, s5, s3
	s_cmp_ge_u32 s5, s3
	s_cselect_b32 s4, s6, s4
	s_cselect_b32 s5, s17, s5
	s_add_i32 s6, s4, 1
	s_cmp_ge_u32 s5, s3
	s_cselect_b32 s4, s6, s4
	s_mul_i32 s5, s4, s16
	s_ashr_i32 s6, s5, 31
	s_lshr_b32 s6, s6, 28
	s_add_i32 s6, s5, s6
	s_ashr_i32 s6, s6, 4
	s_add_i32 s21, s3, s24
	s_ashr_i32 s17, s16, 31
	s_mov_b32 s20, 0x7060302
	v_mov_b32_e32 v14, 0
	v_mov_b32_e32 v16, 0
	v_mov_b32_e32 v17, 0
	v_mov_b32_e32 v18, 0
	v_mov_b32_e32 v19, 0
	v_mov_b32_e32 v20, 0
	v_mov_b32_e32 v22, 0
	v_mov_b32_e32 v23, 0
	s_waitcnt vmcnt(0)
	v_ashrrev_i32_e32 v9, 31, v8
	v_lshrrev_b32_e32 v2, 28, v9
	v_add_u32_e32 v2, v8, v2
	v_ashrrev_i32_e32 v2, 4, v2
	v_add_u32_e32 v1, s6, v2
	buffer_store_dword v2, off, s[28:31], 0 offset:36 ; 4-byte Folded Spill
	v_ashrrev_i32_e32 v2, 31, v1
	v_lshlrev_b64 v[1:2], 2, v[1:2]
	s_movk_i32 s6, 0x3400
	v_add_co_u32_e32 v1, vcc, s10, v1
	v_addc_co_u32_e32 v2, vcc, v3, v2, vcc
	global_load_dword v3, v[1:2], off
	v_add_u32_e32 v1, s5, v8
	v_ashrrev_i32_e32 v2, 31, v1
	v_lshlrev_b64 v[1:2], 1, v[1:2]
	s_mov_b32 s5, 0x10001
	v_add_co_u32_e32 v1, vcc, s12, v1
	v_addc_co_u32_e32 v2, vcc, v4, v2, vcc
	global_load_dwordx2 v[6:7], v[1:2], off
	v_cndmask_b32_e64 v4, 0, 1, s[0:1]
	s_lshr_b32 s0, s24, 4
	s_mul_i32 s0, s16, s0
	v_lshlrev_b32_e32 v2, 3, v0
	v_mov_b32_e32 v0, v8
	s_ashr_i32 s1, s0, 31
	buffer_store_dword v0, off, s[28:31], 0 offset:28 ; 4-byte Folded Spill
	s_nop 0
	buffer_store_dword v1, off, s[28:31], 0 offset:32 ; 4-byte Folded Spill
	s_lshl_b64 s[0:1], s[0:1], 2
	v_lshlrev_b64 v[0:1], 2, v[8:9]
	s_add_u32 s8, s8, s0
	s_addc_u32 s9, s9, s1
	buffer_store_dword v4, off, s[28:31], 0 offset:24 ; 4-byte Folded Spill
	v_mov_b32_e32 v4, s9
	v_add_co_u32_e32 v0, vcc, s8, v0
	v_addc_co_u32_e32 v1, vcc, v4, v1, vcc
	v_and_b32_e32 v5, 24, v2
	v_add_co_u32_e32 v8, vcc, 8, v0
	v_addc_co_u32_e32 v9, vcc, 0, v1, vcc
	s_lshl_b64 s[0:1], s[16:17], 2
	buffer_store_dword v5, off, s[28:31], 0 offset:40 ; 4-byte Folded Spill
	s_waitcnt vmcnt(5)
	v_lshrrev_b32_e32 v0, v2, v3
	v_bfe_u32 v1, v3, v5, 2
	buffer_store_dword v1, off, s[28:31], 0 offset:16 ; 4-byte Folded Spill
	v_bfe_u32 v1, v0, 6, 2
	v_bfe_u32 v11, v0, 4, 2
	;; [unrolled: 1-line block ×3, first 2 shown]
	v_mov_b32_e32 v5, 0
	buffer_store_dword v1, off, s[28:31], 0 offset:20 ; 4-byte Folded Spill
	s_cmp_lg_u32 s24, s21
	buffer_store_dword v10, off, s[28:31], 0 ; 4-byte Folded Spill
	buffer_store_dword v14, off, s[28:31], 0 offset:4 ; 4-byte Folded Spill
	s_cbranch_scc1 .LBB31_16
.LBB31_15:
	buffer_load_dword v0, off, s[28:31], 0 offset:36 ; 4-byte Folded Reload
	s_add_i32 s4, s4, 1
	s_mul_i32 s8, s4, s16
	s_ashr_i32 s9, s8, 31
	s_lshr_b32 s9, s9, 28
	s_add_i32 s9, s8, s9
	s_ashr_i32 s9, s9, 4
	v_mov_b32_e32 v2, s11
	v_mov_b32_e32 v3, s13
	s_add_i32 s21, s21, s3
	s_waitcnt vmcnt(0)
	v_add_u32_e32 v0, s9, v0
	v_ashrrev_i32_e32 v1, 31, v0
	v_lshlrev_b64 v[0:1], 2, v[0:1]
	v_add_co_u32_e32 v0, vcc, s10, v0
	v_addc_co_u32_e32 v1, vcc, v2, v1, vcc
	global_load_dword v2, v[0:1], off
	s_nop 0
	buffer_load_dword v0, off, s[28:31], 0 offset:28 ; 4-byte Folded Reload
	buffer_load_dword v1, off, s[28:31], 0 offset:32 ; 4-byte Folded Reload
	s_waitcnt vmcnt(1)
	v_add_u32_e32 v0, s8, v0
	s_waitcnt vmcnt(0)
	v_ashrrev_i32_e32 v1, 31, v0
	v_lshlrev_b64 v[0:1], 1, v[0:1]
	v_add_co_u32_e32 v0, vcc, s12, v0
	v_addc_co_u32_e32 v1, vcc, v3, v1, vcc
	global_load_dwordx2 v[6:7], v[0:1], off
	s_nop 0
	buffer_load_dword v1, off, s[28:31], 0 offset:40 ; 4-byte Folded Reload
	s_waitcnt vmcnt(0)
	v_lshrrev_b32_e32 v0, v1, v2
	v_bfe_u32 v10, v2, v1, 2
	v_bfe_u32 v12, v0, 2, 2
	;; [unrolled: 1-line block ×4, first 2 shown]
	s_branch .LBB31_17
.LBB31_16:
	buffer_load_dword v10, off, s[28:31], 0 offset:16 ; 4-byte Folded Reload
	buffer_load_dword v14, off, s[28:31], 0 offset:20 ; 4-byte Folded Reload
.LBB31_17:
	buffer_load_dword v4, off, s[28:31], 0 offset:24 ; 4-byte Folded Reload
	global_load_dwordx4 v[0:3], v[8:9], off offset:-8
	s_add_i32 s8, s2, 0x400
	s_waitcnt vmcnt(6)
	buffer_store_dword v12, off, s[28:31], 0 offset:12 ; 4-byte Folded Spill
	buffer_store_dword v11, off, s[28:31], 0 offset:8 ; 4-byte Folded Spill
	s_waitcnt vmcnt(4)
	buffer_store_dword v14, off, s[28:31], 0 offset:20 ; 4-byte Folded Spill
	buffer_store_dword v10, off, s[28:31], 0 offset:16 ; 4-byte Folded Spill
	s_add_i32 s24, s24, 16
	v_add_co_u32_e32 v8, vcc, s0, v8
	s_waitcnt vmcnt(5)
	v_add_u32_e32 v13, v10, v4
	v_add_u32_e32 v12, v12, v4
	;; [unrolled: 1-line block ×4, first 2 shown]
	v_mov_b32_e32 v14, 0xe400e400
	v_cvt_f32_u32_e32 v24, v13
	v_mad_u32_u24 v28, v13, s5, v14
	v_cvt_f32_u32_e32 v13, v12
	v_mad_u32_u24 v27, v12, s5, v14
	v_cvt_f32_u32_e32 v12, v11
	v_mad_u32_u24 v25, v11, s5, v14
	v_cvt_f32_u32_e32 v11, v4
	v_cvt_f16_f32_e32 v35, v13
	v_mad_u32_u24 v21, v4, s5, v14
	v_cvt_f16_f32_e32 v24, v24
	v_cvt_f16_f32_e32 v36, v12
	;; [unrolled: 1-line block ×3, first 2 shown]
	s_waitcnt vmcnt(4)
	v_and_b32_e32 v31, 0x30003, v0
	v_and_b32_e32 v32, 0xc000c, v0
	v_and_b32_e32 v40, 0x300030, v0
	v_and_b32_e32 v45, 0xc000c0, v0
	v_lshrrev_b32_e32 v13, 8, v0
	v_and_b32_e32 v0, 0x30003, v1
	v_and_b32_e32 v33, 0xc000c, v1
	v_and_b32_e32 v46, 0x300030, v1
	v_and_b32_e32 v51, 0xc000c0, v1
	v_lshrrev_b32_e32 v12, 8, v1
	;; [unrolled: 5-line block ×4, first 2 shown]
	v_sub_f16_e32 v3, 0xdc00, v35
	v_mov_b32_e32 v10, s2
	v_mul_u32_u24_e32 v41, 0x10001, v3
	v_or_b32_e32 v3, 0x64006400, v31
	v_or_b32_e32 v31, 0x64006400, v0
	;; [unrolled: 1-line block ×4, first 2 shown]
	v_pk_add_f16 v0, v28, v3
	v_pk_add_f16 v37, v27, v31
	;; [unrolled: 1-line block ×3, first 2 shown]
	ds_read2_b32 v[2:3], v10 offset1:1
	v_sub_f16_e32 v26, 0xdc00, v24
	v_sub_f16_e32 v29, 0xdc00, v36
	v_mul_u32_u24_e32 v42, 0x10001, v26
	v_or_b32_e32 v26, 0x64006400, v32
	v_or_b32_e32 v32, 0x64006400, v33
	;; [unrolled: 1-line block ×3, first 2 shown]
	v_sub_f16_e32 v38, 0xdc00, v39
	v_mul_u32_u24_e32 v30, 0x10001, v29
	v_or_b32_e32 v34, 0x64006400, v34
	v_pk_add_f16 v33, v25, v33
	v_mul_u32_u24_e32 v29, 0x10001, v38
	v_pk_fma_f16 v34, v34, s6, v30 op_sel_hi:[1,0,1]
	s_waitcnt lgkmcnt(0)
	v_pk_fma_f16 v44, v33, v2, 0
	v_pk_fma_f16 v1, v26, s6, v42 op_sel_hi:[1,0,1]
	v_pk_fma_f16 v38, v32, s6, v41 op_sel_hi:[1,0,1]
	;; [unrolled: 1-line block ×3, first 2 shown]
	v_pk_fma_f16 v26, v0, v2, 0
	v_pk_fma_f16 v43, v37, v2, 0
	;; [unrolled: 1-line block ×4, first 2 shown]
	v_sub_f16_e32 v44, 0xd400, v35
	v_sub_f16_e32 v35, 0xcc00, v35
	v_pk_fma_f16 v26, v1, v3, v26
	v_pk_fma_f16 v43, v38, v3, v43
	;; [unrolled: 1-line block ×3, first 2 shown]
	v_sub_f16_e32 v3, 0xcc00, v24
	v_sub_f16_e32 v47, 0xd400, v36
	v_sub_f16_e32 v36, 0xcc00, v36
	v_mul_u32_u24_e32 v57, 0x10001, v44
	v_mul_u32_u24_e32 v54, 0x10001, v35
	v_or_b32_e32 v35, 0x64006400, v46
	v_mul_u32_u24_e32 v58, 0x10001, v3
	v_mul_u32_u24_e32 v48, 0x10001, v36
	v_or_b32_e32 v3, 0x64006400, v45
	v_or_b32_e32 v36, 0x64006400, v51
	v_pk_fma_f16 v45, v35, s18, v57 op_sel_hi:[1,0,1]
	v_or_b32_e32 v35, 0x64006400, v52
	ds_read2_b32 v[51:52], v10 offset0:2 offset1:3
	v_sub_f16_e32 v60, 0xd400, v39
	v_sub_f16_e32 v39, 0xcc00, v39
	v_mul_u32_u24_e32 v53, 0x10001, v47
	v_sub_f16_e32 v2, 0xd400, v24
	v_mul_u32_u24_e32 v47, 0x10001, v60
	v_mul_u32_u24_e32 v44, 0x10001, v39
	v_pk_fma_f16 v46, v36, s19, v54 op_sel_hi:[1,0,1]
	v_or_b32_e32 v36, 0x64006400, v55
	v_pk_fma_f16 v39, v35, s18, v53 op_sel_hi:[1,0,1]
	v_or_b32_e32 v35, 0x64006400, v56
	s_waitcnt lgkmcnt(0)
	v_pk_fma_f16 v43, v45, v51, v43
	v_mul_u32_u24_e32 v24, 0x10001, v2
	v_or_b32_e32 v2, 0x64006400, v40
	v_pk_fma_f16 v40, v36, s19, v48 op_sel_hi:[1,0,1]
	v_or_b32_e32 v36, 0x64006400, v59
	v_pk_fma_f16 v35, v35, s18, v47 op_sel_hi:[1,0,1]
	v_pk_fma_f16 v59, v46, v52, v43
	v_pk_fma_f16 v43, v39, v51, v49
	v_pk_fma_f16 v36, v36, s19, v44 op_sel_hi:[1,0,1]
	v_pk_fma_f16 v60, v40, v52, v43
	v_pk_fma_f16 v43, v35, v51, v50
	;; [unrolled: 1-line block ×3, first 2 shown]
	v_and_b32_e32 v43, 0x30003, v13
	v_or_b32_e32 v43, 0x64006400, v43
	v_pk_add_f16 v55, v28, v43
	v_and_b32_e32 v28, 0xc000c, v13
	v_or_b32_e32 v28, 0x64006400, v28
	v_pk_fma_f16 v56, v28, s6, v42 op_sel_hi:[1,0,1]
	v_and_b32_e32 v28, 0x30003, v12
	v_pk_fma_f16 v2, v2, s18, v24 op_sel_hi:[1,0,1]
	v_or_b32_e32 v28, 0x64006400, v28
	v_pk_fma_f16 v26, v2, v51, v26
	v_pk_add_f16 v51, v27, v28
	v_and_b32_e32 v27, 0xc000c, v12
	v_pk_fma_f16 v3, v3, s19, v58 op_sel_hi:[1,0,1]
	v_or_b32_e32 v27, 0x64006400, v27
	v_pk_fma_f16 v26, v3, v52, v26
	v_pk_fma_f16 v52, v27, s6, v41 op_sel_hi:[1,0,1]
	v_and_b32_e32 v27, 0x30003, v11
	v_or_b32_e32 v27, 0x64006400, v27
	v_pk_add_f16 v49, v25, v27
	v_and_b32_e32 v25, 0xc000c, v11
	v_or_b32_e32 v25, 0x64006400, v25
	ds_read2_b32 v[27:28], v10 offset0:4 offset1:5
	v_pk_fma_f16 v50, v25, s6, v30 op_sel_hi:[1,0,1]
	v_and_b32_e32 v25, 0x30003, v4
	v_or_b32_e32 v25, 0x64006400, v25
	v_pk_add_f16 v41, v21, v25
	v_and_b32_e32 v21, 0xc000c, v4
	v_or_b32_e32 v21, 0x64006400, v21
	v_pk_fma_f16 v43, v21, s6, v29 op_sel_hi:[1,0,1]
	s_waitcnt lgkmcnt(0)
	v_pk_fma_f16 v21, v55, v27, v26
	v_pk_fma_f16 v25, v51, v27, v59
	;; [unrolled: 1-line block ×8, first 2 shown]
	v_and_b32_e32 v28, 0x300030, v13
	v_and_b32_e32 v13, 0xc000c0, v13
	v_or_b32_e32 v13, 0x64006400, v13
	v_pk_fma_f16 v62, v13, s19, v58 op_sel_hi:[1,0,1]
	v_and_b32_e32 v13, 0x300030, v12
	v_and_b32_e32 v12, 0xc000c0, v12
	v_or_b32_e32 v12, 0x64006400, v12
	v_pk_fma_f16 v58, v12, s19, v54 op_sel_hi:[1,0,1]
	;; [unrolled: 4-line block ×3, first 2 shown]
	v_and_b32_e32 v11, 0x300030, v4
	v_or_b32_e32 v12, 0x64006400, v12
	v_or_b32_e32 v11, 0x64006400, v11
	v_pk_fma_f16 v53, v12, s18, v53 op_sel_hi:[1,0,1]
	v_pk_fma_f16 v42, v11, s18, v47 op_sel_hi:[1,0,1]
	ds_read2_b32 v[11:12], v10 offset0:6 offset1:7
	v_or_b32_e32 v13, 0x64006400, v13
	v_or_b32_e32 v28, 0x64006400, v28
	v_pk_fma_f16 v57, v13, s18, v57 op_sel_hi:[1,0,1]
	v_and_b32_e32 v4, 0xc000c0, v4
	v_pk_fma_f16 v61, v28, s18, v24 op_sel_hi:[1,0,1]
	v_or_b32_e32 v4, 0x64006400, v4
	s_waitcnt lgkmcnt(0)
	v_pk_fma_f16 v13, v57, v11, v25
	v_pk_fma_f16 v44, v4, s19, v44 op_sel_hi:[1,0,1]
	v_pk_fma_f16 v4, v61, v11, v21
	v_pk_fma_f16 v25, v58, v12, v13
	v_pk_fma_f16 v13, v53, v11, v26
	v_pk_fma_f16 v11, v42, v11, v27
	v_pk_fma_f16 v4, v62, v12, v4
	v_pk_fma_f16 v47, v54, v12, v13
	v_pk_fma_f16 v48, v44, v12, v11
	ds_read2_b32 v[11:12], v10 offset0:64 offset1:65
	s_waitcnt lgkmcnt(0)
	v_pk_fma_f16 v13, v0, v11, 0
	v_pk_fma_f16 v21, v37, v11, 0
	v_pk_fma_f16 v24, v33, v11, 0
	v_pk_fma_f16 v11, v31, v11, 0
	v_pk_fma_f16 v13, v1, v12, v13
	v_pk_fma_f16 v21, v38, v12, v21
	v_pk_fma_f16 v24, v34, v12, v24
	v_pk_fma_f16 v26, v32, v12, v11
	ds_read2_b32 v[11:12], v10 offset0:66 offset1:67
	s_waitcnt lgkmcnt(0)
	v_pk_fma_f16 v13, v2, v11, v13
	;; [unrolled: 10-line block ×12, first 2 shown]
	v_pk_fma_f16 v14, v62, v11, v13
	v_pk_fma_f16 v13, v57, v10, v27
	;; [unrolled: 1-line block ×6, first 2 shown]
	v_mov_b32_e32 v10, s8
	v_pk_fma_f16 v27, v54, v11, v13
	ds_read2_b32 v[12:13], v10 offset1:1
	s_add_i32 s8, s2, 0x408
	s_waitcnt lgkmcnt(0)
	v_pk_fma_f16 v0, v0, v12, 0
	v_pk_fma_f16 v0, v1, v13, v0
	v_mov_b32_e32 v1, s8
	ds_read2_b32 v[10:11], v1 offset1:1
	s_add_i32 s8, s2, 0x410
	v_mov_b32_e32 v1, s8
	s_add_i32 s8, s2, 0x418
	v_pk_fma_f16 v37, v37, v12, 0
	s_waitcnt lgkmcnt(0)
	v_pk_fma_f16 v0, v2, v10, v0
	v_pk_fma_f16 v0, v3, v11, v0
	ds_read2_b32 v[2:3], v1 offset1:1
	v_pk_fma_f16 v37, v38, v13, v37
	v_pack_b32_f16 v38, v4, v25
	v_perm_b32 v4, v25, v4, s20
	v_pk_add_f16 v4, v38, v4
	s_waitcnt lgkmcnt(0)
	v_pk_fma_f16 v0, v55, v2, v0
	v_pk_fma_f16 v55, v56, v3, v0
	v_mov_b32_e32 v0, s8
	ds_read2_b32 v[0:1], v0 offset1:1
	v_pk_fma_f16 v37, v45, v10, v37
	v_pk_fma_f16 v5, v4, v6, v5
	v_pack_b32_f16 v4, v29, v30
	v_perm_b32 v25, v30, v29, s20
	v_pk_fma_f16 v37, v46, v11, v37
	v_pk_add_f16 v4, v4, v25
	v_pk_fma_f16 v37, v51, v2, v37
	v_pk_fma_f16 v22, v4, v6, v22
	v_pack_b32_f16 v4, v24, v26
	v_perm_b32 v24, v26, v24, s20
	v_pk_fma_f16 v37, v52, v3, v37
	v_pk_add_f16 v4, v4, v24
	s_waitcnt lgkmcnt(0)
	v_pk_fma_f16 v55, v61, v0, v55
	v_pk_fma_f16 v37, v57, v0, v37
	;; [unrolled: 1-line block ×3, first 2 shown]
	v_pack_b32_f16 v4, v14, v15
	v_perm_b32 v14, v15, v14, s20
	v_pk_fma_f16 v55, v62, v1, v55
	v_pk_fma_f16 v37, v58, v1, v37
	v_pk_add_f16 v4, v4, v14
	v_pk_fma_f16 v17, v4, v6, v17
	v_pack_b32_f16 v4, v55, v37
	v_perm_b32 v14, v37, v55, s20
	v_pk_add_f16 v4, v4, v14
	buffer_load_dword v14, off, s[28:31], 0 offset:4 ; 4-byte Folded Reload
	s_add_i32 s2, s2, 32
	s_cmp_ge_i32 s24, s25
	s_waitcnt vmcnt(0)
	v_pk_fma_f16 v14, v4, v6, v14
	v_pk_fma_f16 v4, v33, v12, 0
	;; [unrolled: 1-line block ×11, first 2 shown]
	buffer_load_dword v10, off, s[28:31], 0 ; 4-byte Folded Reload
	v_pk_fma_f16 v4, v50, v3, v4
	v_pk_fma_f16 v2, v43, v3, v2
	v_pk_fma_f16 v4, v53, v0, v4
	v_pk_fma_f16 v0, v42, v0, v2
	v_pk_fma_f16 v4, v54, v1, v4
	v_pk_fma_f16 v0, v44, v1, v0
	v_pack_b32_f16 v1, v47, v48
	v_perm_b32 v2, v48, v47, s20
	v_pk_add_f16 v1, v1, v2
	v_pk_fma_f16 v23, v1, v7, v23
	v_pack_b32_f16 v1, v59, v60
	v_perm_b32 v2, v60, v59, s20
	v_pk_add_f16 v1, v1, v2
	v_pk_fma_f16 v20, v1, v7, v20
	;; [unrolled: 4-line block ×4, first 2 shown]
	v_pack_b32_f16 v1, v4, v0
	v_perm_b32 v0, v0, v4, s20
	v_pk_add_f16 v0, v1, v0
	s_waitcnt vmcnt(0)
	v_pk_fma_f16 v10, v0, v7, v10
	v_mov_b32_e32 v0, s1
	v_addc_co_u32_e32 v9, vcc, v9, v0, vcc
	s_cbranch_scc1 .LBB31_19
; %bb.18:
	buffer_load_dword v11, off, s[28:31], 0 offset:8 ; 4-byte Folded Reload
	buffer_load_dword v12, off, s[28:31], 0 offset:12 ; 4-byte Folded Reload
	s_cmp_lg_u32 s24, s21
	buffer_store_dword v10, off, s[28:31], 0 ; 4-byte Folded Spill
	buffer_store_dword v14, off, s[28:31], 0 offset:4 ; 4-byte Folded Spill
	s_cbranch_scc1 .LBB31_16
	s_branch .LBB31_15
.LBB31_19:
	buffer_load_dword v0, off, s[28:31], 0 offset:28 ; 4-byte Folded Reload
	buffer_load_dword v1, off, s[28:31], 0 offset:32 ; 4-byte Folded Reload
	s_mul_i32 s7, s7, s16
	v_mov_b32_e32 v3, s15
	s_mov_b64 s[0:1], 0
	s_waitcnt vmcnt(1)
	v_add_u32_e32 v0, s7, v0
	s_waitcnt vmcnt(0)
	v_ashrrev_i32_e32 v1, 31, v0
	v_lshlrev_b64 v[1:2], 1, v[0:1]
	v_add_co_u32_e32 v1, vcc, s14, v1
	v_addc_co_u32_e32 v2, vcc, v3, v2, vcc
	global_load_dword v4, v[1:2], off
.LBB31_20:                              ; =>This Inner Loop Header: Depth=1
	s_waitcnt vmcnt(0)
	v_pk_add_f16 v3, v5, v4
	global_atomic_cmpswap v3, v[1:2], v[3:4], off glc
	s_waitcnt vmcnt(0)
	v_cmp_eq_u32_e32 vcc, v4, v3
	s_or_b64 s[0:1], vcc, s[0:1]
	v_mov_b32_e32 v4, v3
	s_andn2_b64 exec, exec, s[0:1]
	s_cbranch_execnz .LBB31_20
; %bb.21:
	s_or_b64 exec, exec, s[0:1]
	global_load_dword v4, v[1:2], off offset:4
	s_mov_b64 s[0:1], 0
.LBB31_22:                              ; =>This Inner Loop Header: Depth=1
	s_waitcnt vmcnt(0)
	v_pk_add_f16 v3, v23, v4
	global_atomic_cmpswap v3, v[1:2], v[3:4], off offset:4 glc
	s_waitcnt vmcnt(0)
	v_cmp_eq_u32_e32 vcc, v4, v3
	s_or_b64 s[0:1], vcc, s[0:1]
	v_mov_b32_e32 v4, v3
	s_andn2_b64 exec, exec, s[0:1]
	s_cbranch_execnz .LBB31_22
; %bb.23:
	s_or_b64 exec, exec, s[0:1]
	v_add_u32_e32 v0, s16, v0
	v_ashrrev_i32_e32 v1, 31, v0
	v_lshlrev_b64 v[1:2], 1, v[0:1]
	v_mov_b32_e32 v3, s15
	v_add_co_u32_e32 v1, vcc, s14, v1
	v_addc_co_u32_e32 v2, vcc, v3, v2, vcc
	global_load_dword v4, v[1:2], off
	s_mov_b64 s[0:1], 0
.LBB31_24:                              ; =>This Inner Loop Header: Depth=1
	s_waitcnt vmcnt(0)
	v_pk_add_f16 v3, v22, v4
	global_atomic_cmpswap v3, v[1:2], v[3:4], off glc
	s_waitcnt vmcnt(0)
	v_cmp_eq_u32_e32 vcc, v4, v3
	s_or_b64 s[0:1], vcc, s[0:1]
	v_mov_b32_e32 v4, v3
	s_andn2_b64 exec, exec, s[0:1]
	s_cbranch_execnz .LBB31_24
; %bb.25:
	s_or_b64 exec, exec, s[0:1]
	global_load_dword v4, v[1:2], off offset:4
	s_mov_b64 s[0:1], 0
.LBB31_26:                              ; =>This Inner Loop Header: Depth=1
	s_waitcnt vmcnt(0)
	v_pk_add_f16 v3, v20, v4
	global_atomic_cmpswap v3, v[1:2], v[3:4], off offset:4 glc
	s_waitcnt vmcnt(0)
	v_cmp_eq_u32_e32 vcc, v4, v3
	s_or_b64 s[0:1], vcc, s[0:1]
	v_mov_b32_e32 v4, v3
	s_andn2_b64 exec, exec, s[0:1]
	s_cbranch_execnz .LBB31_26
; %bb.27:
	s_or_b64 exec, exec, s[0:1]
	v_add_u32_e32 v0, s16, v0
	v_ashrrev_i32_e32 v1, 31, v0
	v_lshlrev_b64 v[1:2], 1, v[0:1]
	v_mov_b32_e32 v3, s15
	v_add_co_u32_e32 v1, vcc, s14, v1
	v_addc_co_u32_e32 v2, vcc, v3, v2, vcc
	global_load_dword v4, v[1:2], off
	s_mov_b64 s[0:1], 0
	;; [unrolled: 34-line block ×4, first 2 shown]
.LBB31_36:                              ; =>This Inner Loop Header: Depth=1
	s_waitcnt vmcnt(0)
	v_pk_add_f16 v2, v14, v3
	global_atomic_cmpswap v2, v[0:1], v[2:3], off glc
	s_waitcnt vmcnt(0)
	v_cmp_eq_u32_e32 vcc, v3, v2
	s_or_b64 s[0:1], vcc, s[0:1]
	v_mov_b32_e32 v3, v2
	s_andn2_b64 exec, exec, s[0:1]
	s_cbranch_execnz .LBB31_36
; %bb.37:
	s_or_b64 exec, exec, s[0:1]
	global_load_dword v3, v[0:1], off offset:4
	s_mov_b64 s[0:1], 0
.LBB31_38:                              ; =>This Inner Loop Header: Depth=1
	s_waitcnt vmcnt(0)
	v_pk_add_f16 v2, v10, v3
	global_atomic_cmpswap v2, v[0:1], v[2:3], off offset:4 glc
	s_waitcnt vmcnt(0)
	v_cmp_eq_u32_e32 vcc, v3, v2
	s_or_b64 s[0:1], vcc, s[0:1]
	v_mov_b32_e32 v3, v2
	s_andn2_b64 exec, exec, s[0:1]
	s_cbranch_execnz .LBB31_38
.LBB31_39:
	s_endpgm
	.section	.rodata,"a",@progbits
	.p2align	6, 0x0
	.amdhsa_kernel _ZN4vllm4gptq33gemm_half_q_half_gptq_2bit_kernelILb1ELi5EEEvPK6__halfPKjS6_S4_PS2_iiiibPKi
		.amdhsa_group_segment_fixed_size 1280
		.amdhsa_private_segment_fixed_size 48
		.amdhsa_kernarg_size 72
		.amdhsa_user_sgpr_count 6
		.amdhsa_user_sgpr_private_segment_buffer 1
		.amdhsa_user_sgpr_dispatch_ptr 0
		.amdhsa_user_sgpr_queue_ptr 0
		.amdhsa_user_sgpr_kernarg_segment_ptr 1
		.amdhsa_user_sgpr_dispatch_id 0
		.amdhsa_user_sgpr_flat_scratch_init 0
		.amdhsa_user_sgpr_private_segment_size 0
		.amdhsa_uses_dynamic_stack 0
		.amdhsa_system_sgpr_private_segment_wavefront_offset 1
		.amdhsa_system_sgpr_workgroup_id_x 1
		.amdhsa_system_sgpr_workgroup_id_y 1
		.amdhsa_system_sgpr_workgroup_id_z 1
		.amdhsa_system_sgpr_workgroup_info 0
		.amdhsa_system_vgpr_workitem_id 0
		.amdhsa_next_free_vgpr 64
		.amdhsa_next_free_sgpr 32
		.amdhsa_reserve_vcc 1
		.amdhsa_reserve_flat_scratch 0
		.amdhsa_float_round_mode_32 0
		.amdhsa_float_round_mode_16_64 0
		.amdhsa_float_denorm_mode_32 3
		.amdhsa_float_denorm_mode_16_64 3
		.amdhsa_dx10_clamp 1
		.amdhsa_ieee_mode 1
		.amdhsa_fp16_overflow 0
		.amdhsa_exception_fp_ieee_invalid_op 0
		.amdhsa_exception_fp_denorm_src 0
		.amdhsa_exception_fp_ieee_div_zero 0
		.amdhsa_exception_fp_ieee_overflow 0
		.amdhsa_exception_fp_ieee_underflow 0
		.amdhsa_exception_fp_ieee_inexact 0
		.amdhsa_exception_int_div_zero 0
	.end_amdhsa_kernel
	.section	.text._ZN4vllm4gptq33gemm_half_q_half_gptq_2bit_kernelILb1ELi5EEEvPK6__halfPKjS6_S4_PS2_iiiibPKi,"axG",@progbits,_ZN4vllm4gptq33gemm_half_q_half_gptq_2bit_kernelILb1ELi5EEEvPK6__halfPKjS6_S4_PS2_iiiibPKi,comdat
.Lfunc_end31:
	.size	_ZN4vllm4gptq33gemm_half_q_half_gptq_2bit_kernelILb1ELi5EEEvPK6__halfPKjS6_S4_PS2_iiiibPKi, .Lfunc_end31-_ZN4vllm4gptq33gemm_half_q_half_gptq_2bit_kernelILb1ELi5EEEvPK6__halfPKjS6_S4_PS2_iiiibPKi
                                        ; -- End function
	.set _ZN4vllm4gptq33gemm_half_q_half_gptq_2bit_kernelILb1ELi5EEEvPK6__halfPKjS6_S4_PS2_iiiibPKi.num_vgpr, 64
	.set _ZN4vllm4gptq33gemm_half_q_half_gptq_2bit_kernelILb1ELi5EEEvPK6__halfPKjS6_S4_PS2_iiiibPKi.num_agpr, 0
	.set _ZN4vllm4gptq33gemm_half_q_half_gptq_2bit_kernelILb1ELi5EEEvPK6__halfPKjS6_S4_PS2_iiiibPKi.numbered_sgpr, 32
	.set _ZN4vllm4gptq33gemm_half_q_half_gptq_2bit_kernelILb1ELi5EEEvPK6__halfPKjS6_S4_PS2_iiiibPKi.num_named_barrier, 0
	.set _ZN4vllm4gptq33gemm_half_q_half_gptq_2bit_kernelILb1ELi5EEEvPK6__halfPKjS6_S4_PS2_iiiibPKi.private_seg_size, 48
	.set _ZN4vllm4gptq33gemm_half_q_half_gptq_2bit_kernelILb1ELi5EEEvPK6__halfPKjS6_S4_PS2_iiiibPKi.uses_vcc, 1
	.set _ZN4vllm4gptq33gemm_half_q_half_gptq_2bit_kernelILb1ELi5EEEvPK6__halfPKjS6_S4_PS2_iiiibPKi.uses_flat_scratch, 0
	.set _ZN4vllm4gptq33gemm_half_q_half_gptq_2bit_kernelILb1ELi5EEEvPK6__halfPKjS6_S4_PS2_iiiibPKi.has_dyn_sized_stack, 0
	.set _ZN4vllm4gptq33gemm_half_q_half_gptq_2bit_kernelILb1ELi5EEEvPK6__halfPKjS6_S4_PS2_iiiibPKi.has_recursion, 0
	.set _ZN4vllm4gptq33gemm_half_q_half_gptq_2bit_kernelILb1ELi5EEEvPK6__halfPKjS6_S4_PS2_iiiibPKi.has_indirect_call, 0
	.section	.AMDGPU.csdata,"",@progbits
; Kernel info:
; codeLenInByte = 5436
; TotalNumSgprs: 36
; NumVgprs: 64
; ScratchSize: 48
; MemoryBound: 0
; FloatMode: 240
; IeeeMode: 1
; LDSByteSize: 1280 bytes/workgroup (compile time only)
; SGPRBlocks: 4
; VGPRBlocks: 15
; NumSGPRsForWavesPerEU: 36
; NumVGPRsForWavesPerEU: 64
; Occupancy: 4
; WaveLimiterHint : 0
; COMPUTE_PGM_RSRC2:SCRATCH_EN: 1
; COMPUTE_PGM_RSRC2:USER_SGPR: 6
; COMPUTE_PGM_RSRC2:TRAP_HANDLER: 0
; COMPUTE_PGM_RSRC2:TGID_X_EN: 1
; COMPUTE_PGM_RSRC2:TGID_Y_EN: 1
; COMPUTE_PGM_RSRC2:TGID_Z_EN: 1
; COMPUTE_PGM_RSRC2:TIDIG_COMP_CNT: 0
	.section	.text._ZN4vllm4gptq33gemm_half_q_half_gptq_3bit_kernelILb1ELi5EEEvPK6__halfPKjS6_S4_PS2_iiiibPKi,"axG",@progbits,_ZN4vllm4gptq33gemm_half_q_half_gptq_3bit_kernelILb1ELi5EEEvPK6__halfPKjS6_S4_PS2_iiiibPKi,comdat
	.protected	_ZN4vllm4gptq33gemm_half_q_half_gptq_3bit_kernelILb1ELi5EEEvPK6__halfPKjS6_S4_PS2_iiiibPKi ; -- Begin function _ZN4vllm4gptq33gemm_half_q_half_gptq_3bit_kernelILb1ELi5EEEvPK6__halfPKjS6_S4_PS2_iiiibPKi
	.globl	_ZN4vllm4gptq33gemm_half_q_half_gptq_3bit_kernelILb1ELi5EEEvPK6__halfPKjS6_S4_PS2_iiiibPKi
	.p2align	8
	.type	_ZN4vllm4gptq33gemm_half_q_half_gptq_3bit_kernelILb1ELi5EEEvPK6__halfPKjS6_S4_PS2_iiiibPKi,@function
_ZN4vllm4gptq33gemm_half_q_half_gptq_3bit_kernelILb1ELi5EEEvPK6__halfPKjS6_S4_PS2_iiiibPKi: ; @_ZN4vllm4gptq33gemm_half_q_half_gptq_3bit_kernelILb1ELi5EEEvPK6__halfPKjS6_S4_PS2_iiiibPKi
; %bb.0:
	s_mov_b64 s[42:43], s[2:3]
	s_load_dwordx4 s[16:19], s[4:5], 0x2c
	s_mov_b64 s[40:41], s[0:1]
	s_add_u32 s40, s40, s9
	s_addc_u32 s41, s41, 0
	s_lshl_b32 s25, s8, 7
	s_add_i32 s0, s25, 0x80
	v_cvt_f64_u32_e32 v[1:2], s0
	s_waitcnt lgkmcnt(0)
	v_cvt_f64_i32_e32 v[3:4], s17
	s_load_dwordx8 s[8:15], s[4:5], 0x8
	s_mul_i32 s24, s7, 5
	v_min_f64 v[1:2], v[1:2], v[3:4]
	v_cvt_i32_f64_e32 v2, v[1:2]
	v_add_u32_e32 v1, s25, v0
	v_readfirstlane_b32 s26, v2
	v_cmp_lt_u32_e32 vcc, v1, v2
	s_and_saveexec_b64 s[2:3], vcc
	s_cbranch_execz .LBB32_12
; %bb.1:
	s_load_dwordx2 s[0:1], s[4:5], 0x40
	s_load_dwordx2 s[20:21], s[4:5], 0x0
	v_mov_b32_e32 v2, 0
	v_lshlrev_b64 v[3:4], 2, v[1:2]
	s_waitcnt lgkmcnt(0)
	v_mov_b32_e32 v5, s1
	v_add_co_u32_e32 v3, vcc, s0, v3
	s_cmp_lg_u64 s[0:1], 0
	v_addc_co_u32_e32 v4, vcc, v5, v4, vcc
	v_mov_b32_e32 v6, v2
	s_cselect_b64 s[4:5], -1, 0
	s_cmp_eq_u64 s[0:1], 0
	v_mov_b32_e32 v5, v1
	s_cbranch_scc1 .LBB32_3
; %bb.2:
	global_load_dword v5, v[3:4], off
	s_waitcnt vmcnt(0)
	v_ashrrev_i32_e32 v6, 31, v5
.LBB32_3:
	s_mul_i32 s22, s24, s17
	s_ashr_i32 s23, s22, 31
	s_lshl_b64 s[0:1], s[22:23], 1
	s_add_u32 s0, s20, s0
	v_lshlrev_b64 v[5:6], 1, v[5:6]
	s_addc_u32 s1, s21, s1
	v_mov_b32_e32 v7, s1
	v_add_co_u32_e32 v5, vcc, s0, v5
	v_addc_co_u32_e32 v6, vcc, v7, v6, vcc
	global_load_ushort v5, v[5:6], off
	v_lshlrev_b32_e32 v7, 1, v0
	v_cndmask_b32_e64 v6, 0, 1, s[4:5]
	v_cmp_ne_u32_e64 s[0:1], 1, v6
	s_andn2_b64 vcc, exec, s[4:5]
	s_waitcnt vmcnt(0)
	ds_write_b16 v7, v5
	v_mov_b32_e32 v6, v2
	v_mov_b32_e32 v5, v1
	s_cbranch_vccnz .LBB32_5
; %bb.4:
	global_load_dword v5, v[3:4], off
	s_waitcnt vmcnt(0)
	v_ashrrev_i32_e32 v6, 31, v5
.LBB32_5:
	s_add_i32 s4, s22, s17
	s_ashr_i32 s5, s4, 31
	s_lshl_b64 s[22:23], s[4:5], 1
	s_add_u32 s5, s20, s22
	v_lshlrev_b64 v[5:6], 1, v[5:6]
	s_addc_u32 s7, s21, s23
	v_mov_b32_e32 v8, s7
	v_add_co_u32_e32 v5, vcc, s5, v5
	v_addc_co_u32_e32 v6, vcc, v8, v6, vcc
	global_load_ushort v5, v[5:6], off
	s_and_b64 vcc, exec, s[0:1]
	s_waitcnt vmcnt(0)
	ds_write_b16 v7, v5 offset:256
	v_mov_b32_e32 v6, v2
	v_mov_b32_e32 v5, v1
	s_cbranch_vccnz .LBB32_7
; %bb.6:
	global_load_dword v5, v[3:4], off
	s_waitcnt vmcnt(0)
	v_ashrrev_i32_e32 v6, 31, v5
.LBB32_7:
	s_add_i32 s4, s4, s17
	s_ashr_i32 s5, s4, 31
	s_lshl_b64 s[22:23], s[4:5], 1
	s_add_u32 s5, s20, s22
	v_lshlrev_b64 v[5:6], 1, v[5:6]
	s_addc_u32 s7, s21, s23
	v_mov_b32_e32 v8, s7
	v_add_co_u32_e32 v5, vcc, s5, v5
	v_addc_co_u32_e32 v6, vcc, v8, v6, vcc
	global_load_ushort v5, v[5:6], off
	s_and_b64 vcc, exec, s[0:1]
	s_waitcnt vmcnt(0)
	ds_write_b16 v7, v5 offset:512
	;; [unrolled: 21-line block ×3, first 2 shown]
	s_cbranch_vccnz .LBB32_11
; %bb.10:
	global_load_dword v1, v[3:4], off
	s_waitcnt vmcnt(0)
	v_ashrrev_i32_e32 v2, 31, v1
.LBB32_11:
	s_add_i32 s0, s4, s17
	s_ashr_i32 s1, s0, 31
	s_lshl_b64 s[0:1], s[0:1], 1
	s_add_u32 s0, s20, s0
	v_lshlrev_b64 v[1:2], 1, v[1:2]
	s_addc_u32 s1, s21, s1
	v_mov_b32_e32 v3, s1
	v_add_co_u32_e32 v1, vcc, s0, v1
	v_addc_co_u32_e32 v2, vcc, v3, v2, vcc
	global_load_ushort v1, v[1:2], off
	s_waitcnt vmcnt(0)
	ds_write_b16 v7, v1 offset:1024
.LBB32_12:
	s_or_b64 exec, exec, s[2:3]
	v_lshlrev_b32_e32 v0, 2, v0
	v_lshl_add_u32 v2, s6, 9, v0
	v_mov_b32_e32 v1, v2
	buffer_store_dword v1, off, s[40:43], 0 offset:220 ; 4-byte Folded Spill
	s_nop 0
	buffer_store_dword v2, off, s[40:43], 0 offset:224 ; 4-byte Folded Spill
	v_cmp_gt_i32_e32 vcc, s16, v2
	s_and_saveexec_b64 s[0:1], vcc
	s_cbranch_execz .LBB32_70
; %bb.13:
	s_abs_i32 s0, s18
	v_cvt_f32_u32_e32 v1, s0
	s_sub_i32 s3, 0, s0
	s_abs_i32 s2, s17
	s_xor_b32 s1, s17, s18
	v_rcp_iflag_f32_e32 v1, v1
	s_ashr_i32 s1, s1, 31
	v_and_b32_e32 v0, 28, v0
	v_cmp_lt_u32_e32 vcc, 4, v0
	v_mul_f32_e32 v1, 0x4f7ffffe, v1
	v_cvt_u32_f32_e32 v1, v1
	s_waitcnt vmcnt(0) lgkmcnt(0)
	s_barrier
	v_readfirstlane_b32 s4, v1
	s_mul_i32 s3, s3, s4
	s_mul_hi_u32 s3, s4, s3
	s_add_i32 s4, s4, s3
	s_mul_hi_u32 s3, s2, s4
	s_mul_i32 s4, s3, s0
	s_sub_i32 s2, s2, s4
	s_add_i32 s5, s3, 1
	s_sub_i32 s4, s2, s0
	s_cmp_ge_u32 s2, s0
	s_cselect_b32 s3, s5, s3
	s_cselect_b32 s2, s4, s2
	s_add_i32 s4, s3, 1
	s_cmp_ge_u32 s2, s0
	s_cselect_b32 s0, s4, s3
	s_xor_b32 s0, s0, s1
	s_sub_i32 s27, s0, s1
	v_cvt_f32_u32_e32 v1, s27
	s_sub_i32 s0, 0, s27
                                        ; implicit-def: $vgpr3
	v_rcp_iflag_f32_e32 v1, v1
	v_mul_f32_e32 v1, 0x4f7ffffe, v1
	v_cvt_u32_f32_e32 v1, v1
	v_readfirstlane_b32 s1, v1
	s_mul_i32 s0, s0, s1
	s_mul_hi_u32 s0, s1, s0
	s_add_i32 s1, s1, s0
	s_mul_hi_u32 s0, s25, s1
	s_mul_i32 s1, s0, s27
	s_sub_i32 s1, s25, s1
	s_add_i32 s2, s0, 1
	s_sub_i32 s3, s1, s27
	s_cmp_ge_u32 s1, s27
	s_cselect_b32 s0, s2, s0
	s_cselect_b32 s1, s3, s1
	s_add_i32 s2, s0, 1
	s_cmp_ge_u32 s1, s27
	s_cselect_b32 s28, s2, s0
                                        ; implicit-def: $vgpr1
	s_and_saveexec_b64 s[0:1], vcc
	s_xor_b64 s[2:3], exec, s[0:1]
	s_cbranch_execz .LBB32_27
; %bb.14:
	v_cmp_ne_u32_e64 s[0:1], 8, v0
                                        ; implicit-def: $vgpr3
                                        ; implicit-def: $vgpr1
	s_and_saveexec_b64 s[4:5], s[0:1]
	s_xor_b64 s[4:5], exec, s[4:5]
	s_cbranch_execz .LBB32_24
; %bb.15:
	v_cmp_lt_u32_e64 s[0:1], 16, v0
                                        ; implicit-def: $vgpr3
                                        ; implicit-def: $vgpr1
	s_and_saveexec_b64 s[6:7], s[0:1]
	s_xor_b64 s[6:7], exec, s[6:7]
	s_cbranch_execz .LBB32_21
; %bb.16:
	buffer_load_dword v1, off, s[40:43], 0 offset:220 ; 4-byte Folded Reload
	buffer_load_dword v2, off, s[40:43], 0 offset:224 ; 4-byte Folded Reload
	s_mul_i32 s17, s28, s16
	s_ashr_i32 s0, s17, 31
	s_lshr_b32 s0, s0, 27
	s_add_i32 s0, s17, s0
	s_ashr_i32 s0, s0, 5
	v_mov_b32_e32 v3, s11
	s_waitcnt vmcnt(1)
	v_lshl_add_u32 v1, v1, 1, v1
	s_waitcnt vmcnt(0)
	v_ashrrev_i32_e32 v2, 31, v1
	v_lshrrev_b32_e32 v2, 27, v2
	v_add_u32_e32 v1, v1, v2
	v_ashrrev_i32_e32 v1, 5, v1
	v_mad_u64_u32 v[1:2], s[0:1], s0, 3, v[1:2]
	v_ashrrev_i32_e32 v2, 31, v1
	v_lshlrev_b64 v[1:2], 2, v[1:2]
	v_add_co_u32_e64 v1, s[0:1], s10, v1
	v_addc_co_u32_e64 v2, s[0:1], v3, v2, s[0:1]
	global_load_dword v4, v[1:2], off
	v_cmp_ne_u32_e64 s[0:1], 20, v0
                                        ; implicit-def: $vgpr3
	s_and_saveexec_b64 s[20:21], s[0:1]
	s_xor_b64 s[0:1], exec, s[20:21]
	s_cbranch_execz .LBB32_18
; %bb.17:
	v_not_b32_e32 v1, 63
	v_mad_u32_u24 v1, v0, 3, v1
	s_waitcnt vmcnt(0)
	v_lshrrev_b32_e32 v3, v1, v4
                                        ; implicit-def: $vgpr1_vgpr2
                                        ; implicit-def: $vgpr4
.LBB32_18:
	s_andn2_saveexec_b64 s[0:1], s[0:1]
	s_cbranch_execz .LBB32_20
; %bb.19:
	global_load_dword v1, v[1:2], off offset:4
	s_waitcnt vmcnt(0)
	v_alignbit_b32 v1, v1, v4, 28
	v_and_b32_e32 v3, 0xfff, v1
.LBB32_20:
	s_or_b64 exec, exec, s[0:1]
	v_mov_b32_e32 v1, s17
.LBB32_21:
	s_andn2_saveexec_b64 s[6:7], s[6:7]
	s_cbranch_execz .LBB32_23
; %bb.22:
	buffer_load_dword v1, off, s[40:43], 0 offset:220 ; 4-byte Folded Reload
	buffer_load_dword v2, off, s[40:43], 0 offset:224 ; 4-byte Folded Reload
	s_mul_i32 s17, s28, s16
	s_ashr_i32 s0, s17, 31
	s_lshr_b32 s0, s0, 27
	s_add_i32 s0, s17, s0
	s_ashr_i32 s0, s0, 5
	v_mov_b32_e32 v3, s11
	s_waitcnt vmcnt(1)
	v_lshl_add_u32 v1, v1, 1, v1
	s_waitcnt vmcnt(0)
	v_ashrrev_i32_e32 v2, 31, v1
	v_lshrrev_b32_e32 v2, 27, v2
	v_add_u32_e32 v1, v1, v2
	v_ashrrev_i32_e32 v1, 5, v1
	v_mad_u64_u32 v[1:2], s[0:1], s0, 3, v[1:2]
	v_ashrrev_i32_e32 v2, 31, v1
	v_lshlrev_b64 v[1:2], 2, v[1:2]
	v_add_co_u32_e64 v1, s[0:1], s10, v1
	v_addc_co_u32_e64 v2, s[0:1], v3, v2, s[0:1]
	global_load_dword v1, v[1:2], off
	v_not_b32_e32 v2, 31
	v_mad_u32_u24 v2, v0, 3, v2
	s_waitcnt vmcnt(0)
	v_lshrrev_b32_e32 v3, v2, v1
	v_mov_b32_e32 v1, s17
.LBB32_23:
	s_or_b64 exec, exec, s[6:7]
.LBB32_24:
	s_andn2_saveexec_b64 s[4:5], s[4:5]
	s_cbranch_execz .LBB32_26
; %bb.25:
	buffer_load_dword v1, off, s[40:43], 0 offset:220 ; 4-byte Folded Reload
	buffer_load_dword v2, off, s[40:43], 0 offset:224 ; 4-byte Folded Reload
	s_mul_i32 s6, s28, s16
	s_ashr_i32 s0, s6, 31
	s_lshr_b32 s0, s0, 27
	s_add_i32 s0, s6, s0
	s_ashr_i32 s0, s0, 5
	v_mov_b32_e32 v3, s11
	s_waitcnt vmcnt(1)
	v_lshl_add_u32 v1, v1, 1, v1
	s_waitcnt vmcnt(0)
	v_ashrrev_i32_e32 v2, 31, v1
	v_lshrrev_b32_e32 v2, 27, v2
	v_add_u32_e32 v1, v1, v2
	v_ashrrev_i32_e32 v1, 5, v1
	v_mad_u64_u32 v[1:2], s[0:1], s0, 3, v[1:2]
	v_ashrrev_i32_e32 v2, 31, v1
	v_lshlrev_b64 v[1:2], 2, v[1:2]
	v_add_co_u32_e64 v1, s[0:1], s10, v1
	v_addc_co_u32_e64 v2, s[0:1], v3, v2, s[0:1]
	global_load_dwordx2 v[1:2], v[1:2], off
	s_mov_b32 s0, 0x2010007
	s_waitcnt vmcnt(0)
	v_perm_b32 v1, v1, v2, s0
	v_and_b32_e32 v3, 0xfff, v1
	v_mov_b32_e32 v1, s6
.LBB32_26:
	s_or_b64 exec, exec, s[4:5]
.LBB32_27:
	s_or_saveexec_b64 s[2:3], s[2:3]
	buffer_load_dword v4, off, s[40:43], 0 offset:220 ; 4-byte Folded Reload
	buffer_load_dword v5, off, s[40:43], 0 offset:224 ; 4-byte Folded Reload
	s_waitcnt vmcnt(0)
	v_mul_u32_u24_e32 v5, 3, v0
	buffer_store_dword v5, off, s[40:43], 0 offset:236 ; 4-byte Folded Spill
	v_lshl_add_u32 v2, v4, 1, v4
	v_ashrrev_i32_e32 v4, 31, v2
	s_xor_b64 exec, exec, s[2:3]
	s_cbranch_execz .LBB32_29
; %bb.28:
	s_mul_i32 s4, s28, s16
	s_ashr_i32 s0, s4, 31
	s_lshr_b32 s0, s0, 27
	v_lshrrev_b32_e32 v1, 27, v4
	s_add_i32 s0, s4, s0
	v_add_u32_e32 v1, v2, v1
	s_ashr_i32 s0, s0, 5
	v_ashrrev_i32_e32 v1, 5, v1
	v_mad_u64_u32 v[5:6], s[0:1], s0, 3, v[1:2]
	v_mov_b32_e32 v1, s11
	v_mul_u32_u24_e32 v3, 3, v0
	v_ashrrev_i32_e32 v6, 31, v5
	v_lshlrev_b64 v[5:6], 2, v[5:6]
	v_add_co_u32_e64 v5, s[0:1], s10, v5
	v_addc_co_u32_e64 v6, s[0:1], v1, v6, s[0:1]
	global_load_dword v1, v[5:6], off
	s_waitcnt vmcnt(0)
	v_lshrrev_b32_e32 v3, v3, v1
	v_mov_b32_e32 v1, s4
.LBB32_29:
	s_or_b64 exec, exec, s[2:3]
	s_mov_b32 s29, 0
	v_mov_b32_e32 v24, 0
	s_cmp_ge_i32 s25, s26
	v_mov_b32_e32 v11, 0
	v_mov_b32_e32 v23, 0
	;; [unrolled: 1-line block ×9, first 2 shown]
	s_cbranch_scc1 .LBB32_50
; %bb.30:
	buffer_load_dword v5, off, s[40:43], 0 offset:220 ; 4-byte Folded Reload
	buffer_load_dword v6, off, s[40:43], 0 offset:224 ; 4-byte Folded Reload
	s_add_i32 s30, s27, s25
	v_cmp_lt_u32_e64 s[2:3], 16, v0
	v_cmp_ne_u32_e64 s[4:5], 20, v0
	s_mul_hi_i32 s31, s16, 12
	s_mul_i32 s33, s16, 12
	s_mov_b32 s34, 0x10001
	s_mov_b32 s35, 0x64006400
	s_movk_i32 s36, 0x3000
	s_movk_i32 s37, 0x2400
	s_mov_b32 s38, 0x7060302
	v_mov_b32_e32 v19, 0
	v_mov_b32_e32 v21, 0
	;; [unrolled: 1-line block ×8, first 2 shown]
	s_waitcnt vmcnt(1)
	v_mov_b32_e32 v7, v5
	v_add_u32_e32 v5, v1, v7
	s_waitcnt vmcnt(0)
	v_ashrrev_i32_e32 v6, 31, v5
	v_lshlrev_b64 v[5:6], 1, v[5:6]
	v_mov_b32_e32 v1, s13
	v_add_co_u32_e64 v5, s[0:1], s12, v5
	v_addc_co_u32_e64 v6, s[0:1], v1, v6, s[0:1]
	global_load_dwordx2 v[5:6], v[5:6], off
	s_lshr_b32 s0, s25, 5
	s_mul_i32 s0, s0, s16
	s_mul_i32 s6, s0, 3
	s_ashr_i32 s7, s6, 31
	s_bitcmp1_b32 s19, 0
	s_cselect_b64 s[0:1], -1, 0
	s_xor_b64 s[0:1], s[0:1], -1
	v_cndmask_b32_e64 v1, 0, 1, s[0:1]
	v_cmp_ne_u32_e64 s[0:1], 8, v0
	v_ashrrev_i32_e32 v8, 31, v7
	s_ashr_i32 s17, s16, 31
	s_lshl_b64 s[6:7], s[6:7], 2
	s_add_u32 s6, s8, s6
	s_addc_u32 s7, s9, s7
	s_lshl_b64 s[8:9], s[16:17], 2
	s_mov_b32 s17, 0x2010007
	s_waitcnt vmcnt(0)
	buffer_store_dword v5, off, s[40:43], 0 offset:192 ; 4-byte Folded Spill
	s_nop 0
	buffer_store_dword v6, off, s[40:43], 0 offset:196 ; 4-byte Folded Spill
	buffer_store_dword v1, off, s[40:43], 0 offset:216 ; 4-byte Folded Spill
	v_bfe_u32 v1, v3, 9, 3
	buffer_store_dword v1, off, s[40:43], 0 offset:200 ; 4-byte Folded Spill
	v_bfe_u32 v1, v3, 6, 3
	;; [unrolled: 2-line block ×3, first 2 shown]
	buffer_store_dword v1, off, s[40:43], 0 offset:208 ; 4-byte Folded Spill
	v_and_b32_e32 v1, 7, v3
	buffer_store_dword v1, off, s[40:43], 0 offset:212 ; 4-byte Folded Spill
	v_lshrrev_b32_e32 v1, 27, v4
	v_add_u32_e32 v1, v2, v1
	v_ashrrev_i32_e32 v1, 5, v1
	buffer_store_dword v1, off, s[40:43], 0 offset:228 ; 4-byte Folded Spill
	s_nop 0
	buffer_store_dword v2, off, s[40:43], 0 offset:232 ; 4-byte Folded Spill
	v_not_b32_e32 v1, 63
	v_mad_u32_u24 v1, v0, 3, v1
	buffer_store_dword v1, off, s[40:43], 0 offset:244 ; 4-byte Folded Spill
	v_not_b32_e32 v1, 31
	v_mad_u32_u24 v0, v0, 3, v1
	buffer_store_dword v0, off, s[40:43], 0 offset:240 ; 4-byte Folded Spill
	v_mov_b32_e32 v0, v7
	buffer_store_dword v0, off, s[40:43], 0 offset:220 ; 4-byte Folded Spill
	s_nop 0
	buffer_store_dword v1, off, s[40:43], 0 offset:224 ; 4-byte Folded Spill
	v_lshlrev_b64 v[0:1], 2, v[7:8]
	v_mov_b32_e32 v2, s7
	v_add_co_u32_e64 v12, s[6:7], s6, v0
	v_addc_co_u32_e64 v13, s[6:7], v2, v1, s[6:7]
	v_mov_b32_e32 v7, 0
	v_mov_b32_e32 v8, 0
	s_branch .LBB32_33
.LBB32_31:                              ;   in Loop: Header=BB32_33 Depth=1
	s_or_b64 exec, exec, s[6:7]
	buffer_load_dword v1, off, s[40:43], 0 offset:220 ; 4-byte Folded Reload
	buffer_load_dword v2, off, s[40:43], 0 offset:224 ; 4-byte Folded Reload
	v_mov_b32_e32 v3, s13
	s_add_i32 s30, s30, s27
	s_waitcnt vmcnt(1)
	v_add_u32_e32 v1, s39, v1
	s_waitcnt vmcnt(0)
	v_ashrrev_i32_e32 v2, 31, v1
	v_lshlrev_b64 v[1:2], 1, v[1:2]
	v_add_co_u32_e64 v1, s[6:7], s12, v1
	v_addc_co_u32_e64 v2, s[6:7], v3, v2, s[6:7]
	global_load_dwordx2 v[1:2], v[1:2], off
	s_waitcnt vmcnt(0)
	buffer_store_dword v1, off, s[40:43], 0 offset:192 ; 4-byte Folded Spill
	s_nop 0
	buffer_store_dword v2, off, s[40:43], 0 offset:196 ; 4-byte Folded Spill
	v_and_b32_e32 v1, 7, v0
	buffer_store_dword v1, off, s[40:43], 0 offset:212 ; 4-byte Folded Spill
	v_bfe_u32 v1, v0, 3, 3
	buffer_store_dword v1, off, s[40:43], 0 offset:208 ; 4-byte Folded Spill
	v_bfe_u32 v1, v0, 6, 3
	v_bfe_u32 v0, v0, 9, 3
	buffer_store_dword v1, off, s[40:43], 0 offset:204 ; 4-byte Folded Spill
	buffer_store_dword v0, off, s[40:43], 0 offset:200 ; 4-byte Folded Spill
.LBB32_32:                              ;   in Loop: Header=BB32_33 Depth=1
	buffer_store_dword v24, off, s[40:43], 0 offset:44 ; 4-byte Folded Spill
	buffer_store_dword v11, off, s[40:43], 0 offset:40 ; 4-byte Folded Spill
	;; [unrolled: 1-line block ×10, first 2 shown]
	buffer_store_dword v12, off, s[40:43], 0 ; 4-byte Folded Spill
	s_nop 0
	buffer_store_dword v13, off, s[40:43], 0 offset:4 ; 4-byte Folded Spill
	buffer_load_dword v0, off, s[40:43], 0  ; 4-byte Folded Reload
	buffer_load_dword v1, off, s[40:43], 0 offset:4 ; 4-byte Folded Reload
	v_mov_b32_e32 v2, s9
	s_add_i32 s25, s25, 32
	s_waitcnt vmcnt(0)
	global_load_dwordx4 v[9:12], v[0:1], off
	s_nop 0
	buffer_load_dword v0, off, s[40:43], 0  ; 4-byte Folded Reload
	buffer_load_dword v1, off, s[40:43], 0 offset:4 ; 4-byte Folded Reload
	buffer_load_dword v3, off, s[40:43], 0  ; 4-byte Folded Reload
	buffer_load_dword v4, off, s[40:43], 0 offset:4 ; 4-byte Folded Reload
	s_waitcnt vmcnt(3)
	v_add_co_u32_e64 v0, s[6:7], s8, v0
	s_waitcnt vmcnt(0)
	v_addc_co_u32_e64 v1, s[6:7], v4, v2, s[6:7]
	global_load_dwordx4 v[13:16], v[0:1], off
	v_add_co_u32_e64 v7, s[6:7], s8, v0
	v_addc_co_u32_e64 v8, s[6:7], v1, v2, s[6:7]
	v_lshrrev_b32_e32 v2, 15, v9
	buffer_store_dword v2, off, s[40:43], 0 offset:60 ; 4-byte Folded Spill
	v_and_b32_e32 v2, 0x70007, v10
	v_and_b32_e32 v3, 0x380038, v10
	v_lshrrev_b32_e32 v45, 6, v10
	v_lshrrev_b32_e32 v4, 15, v10
	;; [unrolled: 1-line block ×3, first 2 shown]
	buffer_store_dword v10, off, s[40:43], 0 offset:48 ; 4-byte Folded Spill
	v_lshrrev_b32_e32 v6, 15, v11
	v_and_b32_e32 v0, 0x70007, v9
	v_and_b32_e32 v1, 0x380038, v9
	v_lshrrev_b32_e32 v46, 6, v9
	buffer_store_dword v4, off, s[40:43], 0 offset:56 ; 4-byte Folded Spill
	v_and_b32_e32 v4, 0x70007, v11
	v_and_b32_e32 v5, 0x380038, v11
	v_lshrrev_b32_e32 v44, 6, v11
	buffer_store_dword v6, off, s[40:43], 0 offset:52 ; 4-byte Folded Spill
	v_and_b32_e32 v6, 0x70007, v12
	v_and_b32_e32 v9, 0x380038, v12
	v_lshrrev_b32_e32 v43, 6, v12
	v_or_b32_e32 v0, 0x64006400, v0
	v_or_b32_e32 v1, 0x64006400, v1
	s_add_i32 s6, s29, 0x400
	s_waitcnt vmcnt(4)
	v_lshrrev_b32_e32 v10, 14, v13
	buffer_store_dword v10, off, s[40:43], 0 offset:76 ; 4-byte Folded Spill
	v_and_b32_e32 v10, 0x380038, v14
	buffer_store_dword v10, off, s[40:43], 0 offset:88 ; 4-byte Folded Spill
	v_lshrrev_b32_e32 v10, 14, v14
	buffer_store_dword v10, off, s[40:43], 0 offset:72 ; 4-byte Folded Spill
	v_and_b32_e32 v10, 0x70007, v15
	buffer_store_dword v10, off, s[40:43], 0 offset:92 ; 4-byte Folded Spill
	v_and_b32_e32 v10, 0x380038, v15
	buffer_store_dword v10, off, s[40:43], 0 offset:84 ; 4-byte Folded Spill
	v_lshrrev_b32_e32 v10, 14, v15
	buffer_store_dword v10, off, s[40:43], 0 offset:68 ; 4-byte Folded Spill
	v_and_b32_e32 v10, 0x380038, v16
	buffer_store_dword v10, off, s[40:43], 0 offset:80 ; 4-byte Folded Spill
	v_lshrrev_b32_e32 v10, 14, v16
	v_and_b32_e32 v48, 0x70007, v13
	v_and_b32_e32 v63, 0x380038, v13
	v_lshrrev_b32_e32 v50, 6, v13
	buffer_store_dword v10, off, s[40:43], 0 offset:64 ; 4-byte Folded Spill
	global_load_dwordx4 v[10:13], v[7:8], off
	v_and_b32_e32 v53, 0x70007, v16
	v_lshrrev_b32_e32 v41, 6, v16
	v_mov_b32_e32 v16, 0xe400e400
	v_lshrrev_b32_e32 v36, 6, v15
	v_and_b32_e32 v49, 0x70007, v14
	v_lshrrev_b32_e32 v47, 6, v14
	s_waitcnt vmcnt(0)
	v_and_b32_e32 v7, 0x70007, v10
	buffer_store_dword v7, off, s[40:43], 0 offset:124 ; 4-byte Folded Spill
	v_and_b32_e32 v7, 0x380038, v10
	buffer_store_dword v7, off, s[40:43], 0 offset:128 ; 4-byte Folded Spill
	v_lshrrev_b32_e32 v7, 13, v10
	buffer_store_dword v7, off, s[40:43], 0 offset:116 ; 4-byte Folded Spill
	v_and_b32_e32 v7, 0x70007, v11
	buffer_store_dword v7, off, s[40:43], 0 offset:132 ; 4-byte Folded Spill
	v_and_b32_e32 v7, 0x380038, v11
	buffer_store_dword v7, off, s[40:43], 0 offset:136 ; 4-byte Folded Spill
	v_lshrrev_b32_e32 v7, 13, v11
	buffer_store_dword v7, off, s[40:43], 0 offset:112 ; 4-byte Folded Spill
	;; [unrolled: 6-line block ×3, first 2 shown]
	v_and_b32_e32 v7, 0x70007, v13
	buffer_store_dword v7, off, s[40:43], 0 offset:148 ; 4-byte Folded Spill
	v_lshrrev_b32_e32 v7, 13, v13
	buffer_store_dword v7, off, s[40:43], 0 offset:120 ; 4-byte Folded Spill
	v_lshrrev_b32_e32 v54, 6, v11
	buffer_load_dword v11, off, s[40:43], 0 offset:216 ; 4-byte Folded Reload
	buffer_load_dword v7, off, s[40:43], 0 offset:212 ; 4-byte Folded Reload
	v_lshrrev_b32_e32 v40, 6, v12
	v_lshrrev_b32_e32 v57, 6, v10
	v_and_b32_e32 v42, 0x380038, v13
	v_lshrrev_b32_e32 v39, 6, v13
	s_waitcnt vmcnt(0)
	v_add_u32_e32 v7, v7, v11
	v_cvt_f32_u32_e32 v8, v7
	v_mad_u32_u24 v12, v7, s34, v16
	buffer_load_dword v7, off, s[40:43], 0 offset:208 ; 4-byte Folded Reload
	v_cvt_f16_f32_e32 v21, v8
	v_pk_add_f16 v8, v12, v0
	v_or_b32_e32 v0, 0x64006400, v2
	s_waitcnt vmcnt(0)
	v_add_u32_e32 v7, v7, v11
	v_cvt_f32_u32_e32 v10, v7
	v_mad_u32_u24 v15, v7, s34, v16
	buffer_load_dword v7, off, s[40:43], 0 offset:204 ; 4-byte Folded Reload
	s_waitcnt vmcnt(0)
	v_add_u32_e32 v7, v7, v11
	v_cvt_f32_u32_e32 v13, v7
	v_mad_u32_u24 v25, v7, s34, v16
	buffer_load_dword v7, off, s[40:43], 0 offset:200 ; 4-byte Folded Reload
	v_cvt_f16_f32_e32 v17, v13
	s_waitcnt vmcnt(0)
	v_add_u32_e32 v7, v7, v11
	v_cvt_f32_u32_e32 v14, v7
	v_cvt_f16_f32_e32 v11, v10
	v_mad_u32_u24 v32, v7, s34, v16
	v_sub_f16_e32 v7, 0xd800, v21
	v_cvt_f16_f32_e32 v18, v14
	v_mul_u32_u24_e32 v52, 0x10001, v7
	v_sub_f16_e32 v7, 0xd800, v11
	v_mul_u32_u24_e32 v51, 0x10001, v7
	v_sub_f16_e32 v7, 0xd800, v17
	v_pk_fma_f16 v10, v1, s36, v52 op_sel_hi:[1,0,1]
	v_or_b32_e32 v1, 0x64006400, v3
	v_mul_u32_u24_e32 v19, 0x10001, v7
	v_sub_f16_e32 v7, 0xd800, v18
	v_pk_add_f16 v3, v15, v0
	v_pk_fma_f16 v13, v1, s36, v51 op_sel_hi:[1,0,1]
	v_or_b32_e32 v0, 0x64006400, v4
	v_or_b32_e32 v1, 0x64006400, v5
	v_mul_u32_u24_e32 v20, 0x10001, v7
	v_pk_add_f16 v4, v25, v0
	v_pk_fma_f16 v5, v1, s36, v19 op_sel_hi:[1,0,1]
	v_or_b32_e32 v0, 0x64006400, v6
	v_or_b32_e32 v1, 0x64006400, v9
	v_mov_b32_e32 v7, s29
	v_pk_add_f16 v6, v32, v0
	v_pk_fma_f16 v9, v1, s36, v20 op_sel_hi:[1,0,1]
	ds_read2_b32 v[0:1], v7 offset1:1
	s_waitcnt lgkmcnt(0)
	v_pk_fma_f16 v2, v8, v0, 0
	v_pk_fma_f16 v22, v10, v1, v2
	v_pk_fma_f16 v2, v3, v0, 0
	v_pk_fma_f16 v14, v4, v0, 0
	v_pk_fma_f16 v0, v6, v0, 0
	v_pk_fma_f16 v2, v13, v1, v2
	v_pk_fma_f16 v27, v5, v1, v14
	v_pk_fma_f16 v35, v9, v1, v0
	ds_read2_b32 v[0:1], v7 offset0:64 offset1:65
	s_waitcnt lgkmcnt(0)
	v_pk_fma_f16 v14, v8, v0, 0
	v_pk_fma_f16 v37, v10, v1, v14
	v_pk_fma_f16 v14, v3, v0, 0
	v_pk_fma_f16 v38, v13, v1, v14
	v_pk_fma_f16 v14, v4, v0, 0
	v_pk_fma_f16 v0, v6, v0, 0
	v_pk_fma_f16 v28, v5, v1, v14
	v_pk_fma_f16 v29, v9, v1, v0
	ds_read2_b32 v[0:1], v7 offset0:128 offset1:129
	;; [unrolled: 10-line block ×3, first 2 shown]
	s_waitcnt lgkmcnt(0)
	v_pk_fma_f16 v14, v8, v0, 0
	v_pk_fma_f16 v58, v10, v1, v14
	;; [unrolled: 1-line block ×7, first 2 shown]
	v_mov_b32_e32 v0, s6
	v_pk_fma_f16 v61, v5, v1, v14
	ds_read2_b32 v[0:1], v0 offset1:1
	s_add_i32 s6, s29, 0x408
	s_waitcnt lgkmcnt(0)
	v_pk_fma_f16 v3, v3, v0, 0
	v_pk_fma_f16 v8, v8, v0, 0
	;; [unrolled: 1-line block ×6, first 2 shown]
	v_and_b32_e32 v0, 0x70007, v46
	v_or_b32_e32 v0, 0x64006400, v0
	v_pk_fma_f16 v31, v10, v1, v8
	v_pk_add_f16 v10, v12, v0
	v_and_b32_e32 v0, 0x70007, v45
	v_pk_fma_f16 v24, v5, v1, v3
	v_and_b32_e32 v1, 0x380038, v46
	v_or_b32_e32 v0, 0x64006400, v0
	ds_read2_b32 v[13:14], v7 offset0:2 offset1:3
	v_or_b32_e32 v1, 0x64006400, v1
	v_pk_add_f16 v9, v15, v0
	v_and_b32_e32 v0, 0x70007, v44
	v_pk_fma_f16 v16, v1, s36, v52 op_sel_hi:[1,0,1]
	v_and_b32_e32 v1, 0x380038, v45
	v_or_b32_e32 v0, 0x64006400, v0
	v_or_b32_e32 v1, 0x64006400, v1
	v_pk_add_f16 v6, v25, v0
	v_and_b32_e32 v0, 0x70007, v43
	v_pk_fma_f16 v8, v1, s36, v51 op_sel_hi:[1,0,1]
	v_and_b32_e32 v1, 0x380038, v44
	v_or_b32_e32 v0, 0x64006400, v0
	v_or_b32_e32 v1, 0x64006400, v1
	v_pk_add_f16 v3, v32, v0
	s_waitcnt lgkmcnt(0)
	v_pk_fma_f16 v0, v10, v13, v22
	v_pk_fma_f16 v5, v1, s36, v19 op_sel_hi:[1,0,1]
	v_and_b32_e32 v1, 0x380038, v43
	v_pk_fma_f16 v22, v16, v14, v0
	v_pk_fma_f16 v0, v9, v13, v2
	v_or_b32_e32 v1, 0x64006400, v1
	v_pk_fma_f16 v23, v8, v14, v0
	v_pk_fma_f16 v0, v6, v13, v27
	v_pk_fma_f16 v4, v1, s36, v20 op_sel_hi:[1,0,1]
	v_pk_fma_f16 v27, v5, v14, v0
	v_pk_fma_f16 v0, v3, v13, v35
	;; [unrolled: 1-line block ×3, first 2 shown]
	ds_read2_b32 v[0:1], v7 offset0:66 offset1:67
	s_waitcnt lgkmcnt(0)
	v_pk_fma_f16 v13, v10, v0, v37
	v_pk_fma_f16 v59, v16, v1, v13
	;; [unrolled: 1-line block ×8, first 2 shown]
	buffer_store_dword v0, off, s[40:43], 0 offset:188 ; 4-byte Folded Spill
	ds_read2_b32 v[0:1], v7 offset0:130 offset1:131
	s_waitcnt lgkmcnt(0)
	v_pk_fma_f16 v28, v10, v0, v30
	v_pk_fma_f16 v28, v16, v1, v28
	buffer_store_dword v28, off, s[40:43], 0 offset:172 ; 4-byte Folded Spill
	v_pk_fma_f16 v28, v9, v0, v34
	v_pk_fma_f16 v28, v8, v1, v28
	buffer_store_dword v28, off, s[40:43], 0 offset:176 ; 4-byte Folded Spill
	v_pk_fma_f16 v28, v6, v0, v55
	v_pk_fma_f16 v0, v3, v0, v56
	;; [unrolled: 1-line block ×4, first 2 shown]
	buffer_store_dword v0, off, s[40:43], 0 offset:184 ; 4-byte Folded Spill
	ds_read2_b32 v[0:1], v7 offset0:194 offset1:195
	buffer_store_dword v28, off, s[40:43], 0 offset:180 ; 4-byte Folded Spill
	s_waitcnt lgkmcnt(0)
	v_pk_fma_f16 v28, v10, v0, v58
	v_pk_fma_f16 v28, v16, v1, v28
	buffer_store_dword v28, off, s[40:43], 0 offset:156 ; 4-byte Folded Spill
	v_pk_fma_f16 v28, v9, v0, v60
	v_pk_fma_f16 v28, v8, v1, v28
	buffer_store_dword v28, off, s[40:43], 0 offset:160 ; 4-byte Folded Spill
	v_pk_fma_f16 v28, v6, v0, v61
	v_pk_fma_f16 v0, v3, v0, v62
	;; [unrolled: 1-line block ×3, first 2 shown]
	buffer_store_dword v0, off, s[40:43], 0 offset:168 ; 4-byte Folded Spill
	v_mov_b32_e32 v0, s6
	v_pk_fma_f16 v28, v5, v1, v28
	ds_read2_b32 v[0:1], v0 offset1:1
	buffer_store_dword v28, off, s[40:43], 0 offset:164 ; 4-byte Folded Spill
	s_add_i32 s6, s29, 0x410
	s_waitcnt lgkmcnt(0)
	v_pk_fma_f16 v10, v10, v0, v31
	v_pk_fma_f16 v9, v9, v0, v33
	;; [unrolled: 1-line block ×5, first 2 shown]
	buffer_store_dword v0, off, s[40:43], 0 offset:96 ; 4-byte Folded Spill
	v_sub_f16_e32 v0, 0xcc00, v21
	v_pk_fma_f16 v10, v16, v1, v10
	v_pk_fma_f16 v8, v8, v1, v9
	;; [unrolled: 1-line block ×3, first 2 shown]
	v_mul_u32_u24_e32 v1, 0x10001, v0
	v_sub_f16_e32 v0, 0xcc00, v11
	buffer_store_dword v5, off, s[40:43], 0 offset:100 ; 4-byte Folded Spill
	v_mul_u32_u24_e32 v5, 0x10001, v0
	buffer_load_dword v0, off, s[40:43], 0 offset:92 ; 4-byte Folded Reload
	v_sub_f16_e32 v3, 0xcc00, v17
	v_or_b32_e32 v4, 0x64006400, v48
	v_mul_u32_u24_e32 v6, 0x10001, v3
	v_sub_f16_e32 v3, 0xcc00, v18
	v_pk_add_f16 v18, v12, v4
	v_or_b32_e32 v4, 0x64006400, v49
	v_pk_add_f16 v61, v15, v4
	v_mul_u32_u24_e32 v11, 0x10001, v3
	v_and_b32_e32 v3, 0x1c001c0, v46
	v_or_b32_e32 v3, 0x64006400, v3
	v_pk_fma_f16 v17, v3, s37, v1 op_sel_hi:[1,0,1]
	v_and_b32_e32 v3, 0x1c001c0, v45
	v_or_b32_e32 v3, 0x64006400, v3
	v_pk_fma_f16 v60, v3, s37, v5 op_sel_hi:[1,0,1]
	;; [unrolled: 3-line block ×4, first 2 shown]
	buffer_store_dword v10, off, s[40:43], 0 offset:152 ; 4-byte Folded Spill
	buffer_store_dword v8, off, s[40:43], 0 offset:108 ; 4-byte Folded Spill
	s_waitcnt vmcnt(2)
	v_or_b32_e32 v4, 0x64006400, v0
	buffer_load_dword v0, off, s[40:43], 0 offset:88 ; 4-byte Folded Reload
	v_pk_add_f16 v49, v25, v4
	v_or_b32_e32 v4, 0x64006400, v53
	v_pk_add_f16 v44, v32, v4
	ds_read2_b32 v[3:4], v7 offset0:4 offset1:5
	s_waitcnt lgkmcnt(0)
	v_pk_fma_f16 v8, v17, v3, v22
	v_pk_fma_f16 v9, v60, v3, v23
	;; [unrolled: 1-line block ×8, first 2 shown]
	v_or_b32_e32 v2, 0x64006400, v63
	v_pk_fma_f16 v62, v2, s36, v52 op_sel_hi:[1,0,1]
	v_and_b32_e32 v3, 0x70007, v50
	v_or_b32_e32 v3, 0x64006400, v3
	v_pk_add_f16 v33, v12, v3
	v_and_b32_e32 v3, 0x70007, v47
	v_or_b32_e32 v3, 0x64006400, v3
	v_pk_add_f16 v58, v15, v3
	;; [unrolled: 3-line block ×4, first 2 shown]
	s_waitcnt vmcnt(0)
	v_or_b32_e32 v2, 0x64006400, v0
	buffer_load_dword v0, off, s[40:43], 0 offset:84 ; 4-byte Folded Reload
	v_pk_fma_f16 v56, v2, s36, v51 op_sel_hi:[1,0,1]
	s_waitcnt vmcnt(0)
	v_or_b32_e32 v2, 0x64006400, v0
	buffer_load_dword v0, off, s[40:43], 0 offset:80 ; 4-byte Folded Reload
	v_pk_fma_f16 v53, v2, s36, v19 op_sel_hi:[1,0,1]
	;; [unrolled: 4-line block ×3, first 2 shown]
	ds_read2_b32 v[2:3], v7 offset0:6 offset1:7
	s_waitcnt lgkmcnt(0)
	v_pk_fma_f16 v8, v62, v2, v8
	v_pk_fma_f16 v9, v56, v2, v9
	;; [unrolled: 1-line block ×8, first 2 shown]
	v_and_b32_e32 v2, 0x380038, v50
	v_and_b32_e32 v3, 0x1c001c0, v50
	v_or_b32_e32 v2, 0x64006400, v2
	v_or_b32_e32 v3, 0x64006400, v3
	v_pk_fma_f16 v22, v2, s36, v52 op_sel_hi:[1,0,1]
	v_pk_fma_f16 v23, v3, s37, v1 op_sel_hi:[1,0,1]
	v_and_b32_e32 v2, 0x380038, v47
	v_and_b32_e32 v3, 0x1c001c0, v47
	v_or_b32_e32 v2, 0x64006400, v2
	v_or_b32_e32 v3, 0x64006400, v3
	v_pk_fma_f16 v34, v2, s36, v51 op_sel_hi:[1,0,1]
	v_pk_fma_f16 v30, v3, s37, v5 op_sel_hi:[1,0,1]
	;; [unrolled: 6-line block ×4, first 2 shown]
	ds_read2_b32 v[2:3], v7 offset0:8 offset1:9
	s_waitcnt lgkmcnt(0)
	v_pk_fma_f16 v8, v22, v2, v8
	v_pk_fma_f16 v9, v34, v2, v9
	;; [unrolled: 1-line block ×8, first 2 shown]
	s_waitcnt vmcnt(0)
	v_or_b32_e32 v2, 0x64006400, v0
	buffer_load_dword v0, off, s[40:43], 0 offset:128 ; 4-byte Folded Reload
	v_pk_add_f16 v26, v12, v2
	s_waitcnt vmcnt(0)
	v_or_b32_e32 v3, 0x64006400, v0
	buffer_load_dword v0, off, s[40:43], 0 offset:132 ; 4-byte Folded Reload
	v_pk_fma_f16 v27, v3, s36, v52 op_sel_hi:[1,0,1]
	s_waitcnt vmcnt(0)
	v_or_b32_e32 v2, 0x64006400, v0
	buffer_load_dword v0, off, s[40:43], 0 offset:136 ; 4-byte Folded Reload
	v_pk_add_f16 v41, v15, v2
	s_waitcnt vmcnt(0)
	v_or_b32_e32 v3, 0x64006400, v0
	buffer_load_dword v0, off, s[40:43], 0 offset:140 ; 4-byte Folded Reload
	v_pk_fma_f16 v21, v3, s36, v51 op_sel_hi:[1,0,1]
	;; [unrolled: 8-line block ×3, first 2 shown]
	v_or_b32_e32 v3, 0x64006400, v42
	v_pk_fma_f16 v46, v3, s36, v20 op_sel_hi:[1,0,1]
	s_waitcnt vmcnt(0)
	v_or_b32_e32 v2, 0x64006400, v0
	v_pk_add_f16 v45, v32, v2
	ds_read2_b32 v[2:3], v7 offset0:10 offset1:11
	s_waitcnt lgkmcnt(0)
	v_pk_fma_f16 v8, v26, v2, v8
	v_pk_fma_f16 v16, v27, v3, v8
	;; [unrolled: 1-line block ×8, first 2 shown]
	v_and_b32_e32 v3, 0x380038, v57
	v_or_b32_e32 v3, 0x64006400, v3
	v_pk_fma_f16 v29, v3, s36, v52 op_sel_hi:[1,0,1]
	v_and_b32_e32 v3, 0x380038, v54
	v_or_b32_e32 v3, 0x64006400, v3
	v_and_b32_e32 v4, 0x70007, v54
	ds_read2_b32 v[8:9], v7 offset0:12 offset1:13
	v_pk_fma_f16 v24, v3, s36, v51 op_sel_hi:[1,0,1]
	v_and_b32_e32 v3, 0x380038, v40
	v_or_b32_e32 v4, 0x64006400, v4
	v_or_b32_e32 v3, 0x64006400, v3
	v_pk_add_f16 v28, v15, v4
	v_and_b32_e32 v4, 0x70007, v40
	v_pk_fma_f16 v51, v3, s36, v19 op_sel_hi:[1,0,1]
	v_and_b32_e32 v3, 0x380038, v39
	v_or_b32_e32 v4, 0x64006400, v4
	v_or_b32_e32 v3, 0x64006400, v3
	v_pk_add_f16 v52, v25, v4
	v_and_b32_e32 v4, 0x70007, v39
	v_pk_fma_f16 v20, v3, s36, v20 op_sel_hi:[1,0,1]
	v_and_b32_e32 v3, 0x70007, v57
	v_or_b32_e32 v4, 0x64006400, v4
	s_waitcnt lgkmcnt(0)
	v_pk_fma_f16 v0, v28, v8, v0
	v_or_b32_e32 v3, 0x64006400, v3
	v_pk_add_f16 v42, v32, v4
	v_pk_fma_f16 v19, v24, v9, v0
	v_pk_fma_f16 v0, v52, v8, v10
	v_pk_add_f16 v3, v12, v3
	v_pk_fma_f16 v10, v51, v9, v0
	v_pk_fma_f16 v0, v42, v8, v2
	;; [unrolled: 1-line block ×4, first 2 shown]
	buffer_load_dword v0, off, s[40:43], 0 offset:76 ; 4-byte Folded Reload
	buffer_load_dword v2, off, s[40:43], 0 offset:60 ; 4-byte Folded Reload
	v_pk_fma_f16 v16, v29, v9, v4
	buffer_load_dword v9, off, s[40:43], 0 offset:52 ; 4-byte Folded Reload
	s_waitcnt vmcnt(2)
	v_and_b32_e32 v0, 0x20002, v0
	s_waitcnt vmcnt(1)
	v_and_or_b32 v0, v2, s34, v0
	buffer_load_dword v2, off, s[40:43], 0 offset:116 ; 4-byte Folded Reload
	s_waitcnt vmcnt(0)
	v_and_b32_e32 v2, 0x40004, v2
	v_or3_b32 v0, v0, v2, s35
	v_and_b32_e32 v2, 0x1c001c0, v57
	v_or_b32_e32 v2, 0x64006400, v2
	v_pk_add_f16 v4, v12, v0
	buffer_load_dword v0, off, s[40:43], 0 offset:72 ; 4-byte Folded Reload
	v_pk_fma_f16 v1, v2, s37, v1 op_sel_hi:[1,0,1]
	buffer_load_dword v2, off, s[40:43], 0 offset:56 ; 4-byte Folded Reload
	s_waitcnt vmcnt(1)
	v_and_b32_e32 v0, 0x20002, v0
	s_waitcnt vmcnt(0)
	v_and_or_b32 v0, v2, s34, v0
	buffer_load_dword v2, off, s[40:43], 0 offset:112 ; 4-byte Folded Reload
	s_waitcnt vmcnt(0)
	v_and_b32_e32 v2, 0x40004, v2
	v_or3_b32 v2, v0, v2, s35
	v_and_b32_e32 v0, 0x1c001c0, v54
	v_or_b32_e32 v0, 0x64006400, v0
	v_pk_fma_f16 v0, v0, s37, v5 op_sel_hi:[1,0,1]
	buffer_load_dword v5, off, s[40:43], 0 offset:68 ; 4-byte Folded Reload
	v_pk_add_f16 v2, v15, v2
	s_waitcnt vmcnt(0)
	v_and_b32_e32 v5, 0x20002, v5
	v_and_or_b32 v5, v9, s34, v5
	buffer_load_dword v9, off, s[40:43], 0 offset:104 ; 4-byte Folded Reload
	s_waitcnt vmcnt(0)
	v_and_b32_e32 v9, 0x40004, v9
	v_or3_b32 v5, v5, v9, s35
	v_and_b32_e32 v9, 0x1c001c0, v40
	v_or_b32_e32 v9, 0x64006400, v9
	v_pk_add_f16 v57, v25, v5
	buffer_load_dword v5, off, s[40:43], 0 offset:64 ; 4-byte Folded Reload
	v_pk_fma_f16 v54, v9, s37, v6 op_sel_hi:[1,0,1]
	buffer_load_dword v6, off, s[40:43], 0 offset:48 ; 4-byte Folded Reload
	s_waitcnt vmcnt(1)
	v_and_b32_e32 v5, 0x20002, v5
	s_waitcnt vmcnt(0)
	v_and_or_b32 v5, v6, s34, v5
	buffer_load_dword v6, off, s[40:43], 0 offset:120 ; 4-byte Folded Reload
	s_waitcnt vmcnt(0)
	v_and_b32_e32 v6, 0x40004, v6
	v_or3_b32 v5, v5, v6, s35
	v_and_b32_e32 v6, 0x1c001c0, v39
	v_or_b32_e32 v6, 0x64006400, v6
	v_pk_fma_f16 v39, v6, s37, v11 op_sel_hi:[1,0,1]
	buffer_load_dword v11, off, s[40:43], 0 offset:188 ; 4-byte Folded Reload
	v_pk_add_f16 v40, v32, v5
	ds_read2_b32 v[5:6], v7 offset0:14 offset1:15
	s_waitcnt lgkmcnt(0)
	v_pk_fma_f16 v9, v1, v5, v16
	v_pk_fma_f16 v9, v4, v6, v9
	buffer_store_dword v9, off, s[40:43], 0 offset:80 ; 4-byte Folded Spill
	v_pk_fma_f16 v9, v0, v5, v19
	v_pk_fma_f16 v9, v2, v6, v9
	buffer_store_dword v9, off, s[40:43], 0 offset:84 ; 4-byte Folded Spill
	v_pk_fma_f16 v9, v54, v5, v10
	v_pk_fma_f16 v5, v39, v5, v8
	;; [unrolled: 1-line block ×4, first 2 shown]
	buffer_store_dword v5, off, s[40:43], 0 offset:52 ; 4-byte Folded Spill
	ds_read2_b32 v[5:6], v7 offset0:68 offset1:69
	buffer_store_dword v9, off, s[40:43], 0 offset:48 ; 4-byte Folded Spill
	s_waitcnt lgkmcnt(0)
	v_pk_fma_f16 v8, v17, v5, v59
	v_pk_fma_f16 v9, v60, v5, v13
	;; [unrolled: 1-line block ×6, first 2 shown]
	s_waitcnt vmcnt(4)
	v_pk_fma_f16 v5, v43, v5, v11
	v_pk_fma_f16 v11, v44, v6, v5
	ds_read2_b32 v[5:6], v7 offset0:70 offset1:71
	s_waitcnt lgkmcnt(0)
	v_pk_fma_f16 v8, v62, v5, v8
	v_pk_fma_f16 v9, v56, v5, v9
	v_pk_fma_f16 v10, v53, v5, v10
	v_pk_fma_f16 v5, v63, v5, v11
	v_pk_fma_f16 v8, v33, v6, v8
	v_pk_fma_f16 v9, v58, v6, v9
	v_pk_fma_f16 v10, v55, v6, v10
	v_pk_fma_f16 v11, v31, v6, v5
	ds_read2_b32 v[5:6], v7 offset0:72 offset1:73
	s_waitcnt lgkmcnt(0)
	v_pk_fma_f16 v8, v22, v5, v8
	v_pk_fma_f16 v9, v34, v5, v9
	v_pk_fma_f16 v10, v37, v5, v10
	v_pk_fma_f16 v5, v47, v5, v11
	v_pk_fma_f16 v8, v23, v6, v8
	v_pk_fma_f16 v9, v30, v6, v9
	v_pk_fma_f16 v10, v38, v6, v10
	v_pk_fma_f16 v11, v50, v6, v5
	ds_read2_b32 v[5:6], v7 offset0:74 offset1:75
	s_waitcnt lgkmcnt(0)
	v_pk_fma_f16 v8, v26, v5, v8
	v_pk_fma_f16 v9, v41, v5, v9
	v_pk_fma_f16 v10, v35, v5, v10
	v_pk_fma_f16 v5, v45, v5, v11
	v_pk_fma_f16 v8, v27, v6, v8
	v_pk_fma_f16 v9, v21, v6, v9
	v_pk_fma_f16 v10, v36, v6, v10
	v_pk_fma_f16 v11, v46, v6, v5
	ds_read2_b32 v[5:6], v7 offset0:76 offset1:77
	s_waitcnt lgkmcnt(0)
	v_pk_fma_f16 v8, v3, v5, v8
	v_pk_fma_f16 v9, v28, v5, v9
	v_pk_fma_f16 v10, v52, v5, v10
	v_pk_fma_f16 v5, v42, v5, v11
	v_pk_fma_f16 v8, v29, v6, v8
	v_pk_fma_f16 v9, v24, v6, v9
	v_pk_fma_f16 v10, v51, v6, v10
	v_pk_fma_f16 v11, v20, v6, v5
	ds_read2_b32 v[5:6], v7 offset0:78 offset1:79
	s_waitcnt lgkmcnt(0)
	v_pk_fma_f16 v8, v1, v5, v8
	v_pk_fma_f16 v32, v4, v6, v8
	v_pk_fma_f16 v8, v0, v5, v9
	v_pk_fma_f16 v25, v2, v6, v8
	v_pk_fma_f16 v8, v54, v5, v10
	v_pk_fma_f16 v8, v57, v6, v8
	buffer_store_dword v8, off, s[40:43], 0 offset:56 ; 4-byte Folded Spill
	v_pk_fma_f16 v5, v39, v5, v11
	buffer_load_dword v8, off, s[40:43], 0 offset:172 ; 4-byte Folded Reload
	buffer_load_dword v9, off, s[40:43], 0 offset:176 ; 4-byte Folded Reload
	;; [unrolled: 1-line block ×4, first 2 shown]
	v_pk_fma_f16 v5, v40, v6, v5
	buffer_store_dword v5, off, s[40:43], 0 offset:60 ; 4-byte Folded Spill
	ds_read2_b32 v[5:6], v7 offset0:132 offset1:133
	s_waitcnt vmcnt(4) lgkmcnt(0)
	v_pk_fma_f16 v8, v17, v5, v8
	s_waitcnt vmcnt(3)
	v_pk_fma_f16 v9, v60, v5, v9
	s_waitcnt vmcnt(2)
	;; [unrolled: 2-line block ×3, first 2 shown]
	v_pk_fma_f16 v5, v43, v5, v11
	v_pk_fma_f16 v8, v18, v6, v8
	v_pk_fma_f16 v9, v61, v6, v9
	v_pk_fma_f16 v10, v49, v6, v10
	v_pk_fma_f16 v11, v44, v6, v5
	ds_read2_b32 v[5:6], v7 offset0:134 offset1:135
	s_waitcnt lgkmcnt(0)
	v_pk_fma_f16 v8, v62, v5, v8
	v_pk_fma_f16 v9, v56, v5, v9
	v_pk_fma_f16 v10, v53, v5, v10
	v_pk_fma_f16 v5, v63, v5, v11
	v_pk_fma_f16 v8, v33, v6, v8
	v_pk_fma_f16 v9, v58, v6, v9
	v_pk_fma_f16 v10, v55, v6, v10
	v_pk_fma_f16 v11, v31, v6, v5
	ds_read2_b32 v[5:6], v7 offset0:136 offset1:137
	s_waitcnt lgkmcnt(0)
	v_pk_fma_f16 v8, v22, v5, v8
	v_pk_fma_f16 v9, v34, v5, v9
	v_pk_fma_f16 v10, v37, v5, v10
	;; [unrolled: 10-line block ×4, first 2 shown]
	v_pk_fma_f16 v13, v24, v6, v8
	v_pk_fma_f16 v8, v52, v5, v10
	;; [unrolled: 1-line block ×3, first 2 shown]
	ds_read2_b32 v[8:9], v7 offset0:142 offset1:143
	v_pk_fma_f16 v5, v42, v5, v11
	v_pk_fma_f16 v5, v20, v6, v5
	buffer_load_dword v11, off, s[40:43], 0 offset:164 ; 4-byte Folded Reload
	s_waitcnt lgkmcnt(0)
	v_pk_fma_f16 v10, v54, v8, v10
	v_pk_fma_f16 v5, v39, v8, v5
	;; [unrolled: 1-line block ×5, first 2 shown]
	buffer_store_dword v10, off, s[40:43], 0 offset:64 ; 4-byte Folded Spill
	buffer_store_dword v5, off, s[40:43], 0 offset:68 ; 4-byte Folded Spill
	buffer_load_dword v5, off, s[40:43], 0 offset:156 ; 4-byte Folded Reload
	v_pk_fma_f16 v19, v4, v9, v6
	buffer_load_dword v10, off, s[40:43], 0 offset:160 ; 4-byte Folded Reload
	buffer_load_dword v12, off, s[40:43], 0 offset:168 ; 4-byte Folded Reload
	v_pk_fma_f16 v6, v0, v8, v13
	v_pk_fma_f16 v6, v2, v9, v6
	ds_read2_b32 v[8:9], v7 offset0:196 offset1:197
	s_waitcnt vmcnt(5) lgkmcnt(0)
	v_pk_fma_f16 v11, v48, v8, v11
	v_pk_fma_f16 v11, v49, v9, v11
	s_waitcnt vmcnt(2)
	v_pk_fma_f16 v5, v17, v8, v5
	v_pk_fma_f16 v5, v18, v9, v5
	s_waitcnt vmcnt(1)
	v_pk_fma_f16 v10, v60, v8, v10
	s_waitcnt vmcnt(0)
	v_pk_fma_f16 v8, v43, v8, v12
	v_pk_fma_f16 v10, v61, v9, v10
	v_pk_fma_f16 v12, v44, v9, v8
	ds_read2_b32 v[8:9], v7 offset0:198 offset1:199
	s_waitcnt lgkmcnt(0)
	v_pk_fma_f16 v5, v62, v8, v5
	v_pk_fma_f16 v10, v56, v8, v10
	v_pk_fma_f16 v11, v53, v8, v11
	v_pk_fma_f16 v8, v63, v8, v12
	v_pk_fma_f16 v5, v33, v9, v5
	v_pk_fma_f16 v10, v58, v9, v10
	v_pk_fma_f16 v11, v55, v9, v11
	v_pk_fma_f16 v12, v31, v9, v8
	ds_read2_b32 v[8:9], v7 offset0:200 offset1:201
	s_waitcnt lgkmcnt(0)
	v_pk_fma_f16 v5, v22, v8, v5
	v_pk_fma_f16 v10, v34, v8, v10
	v_pk_fma_f16 v11, v37, v8, v11
	v_pk_fma_f16 v8, v47, v8, v12
	v_pk_fma_f16 v5, v23, v9, v5
	;; [unrolled: 10-line block ×5, first 2 shown]
	v_pk_fma_f16 v7, v40, v8, v7
	v_pk_fma_f16 v10, v57, v8, v10
	buffer_store_dword v7, off, s[40:43], 0 offset:76 ; 4-byte Folded Spill
	v_mov_b32_e32 v7, s6
	buffer_store_dword v10, off, s[40:43], 0 offset:72 ; 4-byte Folded Spill
	ds_read2_b32 v[9:10], v7 offset1:1
	buffer_load_dword v7, off, s[40:43], 0 offset:152 ; 4-byte Folded Reload
	s_add_i32 s6, s29, 0x418
	v_pk_fma_f16 v5, v2, v8, v5
	s_waitcnt vmcnt(0) lgkmcnt(0)
	v_pk_fma_f16 v7, v17, v9, v7
	v_pk_fma_f16 v11, v18, v10, v7
	v_mov_b32_e32 v7, s6
	ds_read2_b32 v[7:8], v7 offset1:1
	s_add_i32 s6, s29, 0x420
	v_mov_b32_e32 v12, s6
	ds_read2_b32 v[17:18], v12 offset1:1
	s_add_i32 s6, s29, 0x428
	;; [unrolled: 3-line block ×3, first 2 shown]
	s_waitcnt lgkmcnt(2)
	v_pk_fma_f16 v11, v62, v7, v11
	v_mov_b32_e32 v12, s6
	v_pk_fma_f16 v11, v33, v8, v11
	ds_read2_b32 v[13:14], v12 offset1:1
	s_waitcnt lgkmcnt(2)
	v_pk_fma_f16 v11, v22, v17, v11
	v_pk_fma_f16 v11, v23, v18, v11
	s_waitcnt lgkmcnt(1)
	v_pk_fma_f16 v11, v26, v15, v11
	v_pk_fma_f16 v11, v27, v16, v11
	s_add_i32 s6, s29, 0x438
	s_waitcnt lgkmcnt(0)
	v_pk_fma_f16 v3, v3, v13, v11
	v_mov_b32_e32 v11, s6
	ds_read2_b32 v[11:12], v11 offset1:1
	v_pk_fma_f16 v3, v29, v14, v3
	s_add_i32 s29, s29, 64
	s_cmp_ge_i32 s25, s26
	s_waitcnt lgkmcnt(0)
	v_pk_fma_f16 v1, v1, v11, v3
	buffer_load_dword v3, off, s[40:43], 0 offset:108 ; 4-byte Folded Reload
	v_pk_fma_f16 v1, v4, v12, v1
	s_waitcnt vmcnt(0)
	v_pk_fma_f16 v3, v60, v9, v3
	v_pk_fma_f16 v3, v61, v10, v3
	;; [unrolled: 1-line block ×11, first 2 shown]
	buffer_load_dword v3, off, s[40:43], 0 offset:80 ; 4-byte Folded Reload
	buffer_load_dword v4, off, s[40:43], 0 offset:84 ; 4-byte Folded Reload
	;; [unrolled: 1-line block ×8, first 2 shown]
	v_pk_fma_f16 v0, v2, v12, v0
	s_waitcnt vmcnt(6)
	v_pack_b32_f16 v2, v3, v4
	v_perm_b32 v3, v4, v3, s38
	v_pk_add_f16 v2, v2, v3
	s_waitcnt vmcnt(4)
	v_pk_fma_f16 v24, v2, v26, v24
	v_pack_b32_f16 v2, v32, v25
	v_perm_b32 v3, v25, v32, s38
	v_pk_add_f16 v2, v2, v3
	s_waitcnt vmcnt(2)
	v_pk_fma_f16 v23, v2, v26, v23
	v_pack_b32_f16 v2, v19, v6
	v_perm_b32 v3, v6, v19, s38
	buffer_load_dword v19, off, s[40:43], 0 offset:12 ; 4-byte Folded Reload
	v_pk_add_f16 v2, v2, v3
	s_waitcnt vmcnt(2)
	v_pk_fma_f16 v22, v2, v26, v22
	v_pack_b32_f16 v2, v59, v5
	v_perm_b32 v3, v5, v59, s38
	v_pk_add_f16 v2, v2, v3
	s_waitcnt vmcnt(1)
	v_pk_fma_f16 v21, v2, v26, v21
	v_pack_b32_f16 v2, v1, v0
	v_perm_b32 v0, v0, v1, s38
	v_pk_add_f16 v0, v2, v0
	buffer_load_dword v1, off, s[40:43], 0 offset:96 ; 4-byte Folded Reload
	s_waitcnt vmcnt(1)
	v_pk_fma_f16 v19, v0, v26, v19
	buffer_load_dword v0, off, s[40:43], 0 offset:100 ; 4-byte Folded Reload
	s_waitcnt vmcnt(1)
	v_pk_fma_f16 v1, v43, v9, v1
	v_pk_fma_f16 v1, v44, v10, v1
	v_pk_fma_f16 v1, v63, v7, v1
	v_pk_fma_f16 v1, v31, v8, v1
	v_pk_fma_f16 v1, v47, v17, v1
	v_pk_fma_f16 v1, v50, v18, v1
	v_pk_fma_f16 v1, v45, v15, v1
	v_pk_fma_f16 v1, v46, v16, v1
	v_pk_fma_f16 v1, v42, v13, v1
	v_pk_fma_f16 v1, v20, v14, v1
	v_pk_fma_f16 v1, v39, v11, v1
	v_pk_fma_f16 v1, v40, v12, v1
	s_waitcnt vmcnt(0)
	v_pk_fma_f16 v0, v48, v9, v0
	v_pk_fma_f16 v0, v49, v10, v0
	;; [unrolled: 1-line block ×12, first 2 shown]
	buffer_load_dword v12, off, s[40:43], 0 ; 4-byte Folded Reload
	buffer_load_dword v13, off, s[40:43], 0 offset:4 ; 4-byte Folded Reload
	buffer_load_dword v3, off, s[40:43], 0 offset:48 ; 4-byte Folded Reload
	;; [unrolled: 1-line block ×4, first 2 shown]
	s_waitcnt vmcnt(4)
	v_add_co_u32_e64 v12, s[6:7], s33, v12
	s_waitcnt vmcnt(1)
	v_pack_b32_f16 v2, v3, v4
	v_perm_b32 v3, v4, v3, s38
	v_pk_add_f16 v2, v2, v3
	buffer_load_dword v3, off, s[40:43], 0 offset:56 ; 4-byte Folded Reload
	buffer_load_dword v4, off, s[40:43], 0 offset:60 ; 4-byte Folded Reload
	s_waitcnt vmcnt(2)
	v_pk_fma_f16 v11, v2, v27, v11
	buffer_load_dword v10, off, s[40:43], 0 offset:32 ; 4-byte Folded Reload
	s_waitcnt vmcnt(1)
	v_pack_b32_f16 v2, v3, v4
	v_perm_b32 v3, v4, v3, s38
	v_pk_add_f16 v2, v2, v3
	buffer_load_dword v3, off, s[40:43], 0 offset:64 ; 4-byte Folded Reload
	buffer_load_dword v4, off, s[40:43], 0 offset:68 ; 4-byte Folded Reload
	s_waitcnt vmcnt(2)
	v_pk_fma_f16 v10, v2, v27, v10
	buffer_load_dword v9, off, s[40:43], 0 offset:24 ; 4-byte Folded Reload
	s_waitcnt vmcnt(1)
	v_pack_b32_f16 v2, v3, v4
	v_perm_b32 v3, v4, v3, s38
	v_pk_add_f16 v2, v2, v3
	buffer_load_dword v3, off, s[40:43], 0 offset:72 ; 4-byte Folded Reload
	buffer_load_dword v4, off, s[40:43], 0 offset:76 ; 4-byte Folded Reload
	;; [unrolled: 1-line block ×4, first 2 shown]
	s_waitcnt vmcnt(4)
	v_pk_fma_f16 v9, v2, v27, v9
	s_waitcnt vmcnt(2)
	v_pack_b32_f16 v2, v3, v4
	v_perm_b32 v3, v4, v3, s38
	v_pk_add_f16 v2, v2, v3
	s_waitcnt vmcnt(1)
	v_pk_fma_f16 v8, v2, v27, v8
	v_pack_b32_f16 v2, v0, v1
	v_perm_b32 v0, v1, v0, s38
	v_pk_add_f16 v0, v2, v0
	s_waitcnt vmcnt(0)
	v_pk_fma_f16 v7, v0, v27, v7
	v_mov_b32_e32 v0, s31
	v_addc_co_u32_e64 v13, s[6:7], v13, v0, s[6:7]
	s_cbranch_scc1 .LBB32_50
.LBB32_33:                              ; =>This Inner Loop Header: Depth=1
	s_cmp_lg_u32 s25, s30
	s_cbranch_scc1 .LBB32_32
; %bb.34:                               ;   in Loop: Header=BB32_33 Depth=1
	buffer_load_dword v0, off, s[40:43], 0 offset:228 ; 4-byte Folded Reload
	buffer_load_dword v1, off, s[40:43], 0 offset:232 ; 4-byte Folded Reload
	s_add_i32 s28, s28, 1
	s_mul_i32 s39, s28, s16
	s_ashr_i32 s6, s39, 31
	s_lshr_b32 s6, s6, 27
	s_add_i32 s6, s39, s6
	s_ashr_i32 s6, s6, 5
	v_mov_b32_e32 v2, s11
	s_waitcnt vmcnt(0)
	v_mad_u64_u32 v[0:1], s[6:7], s6, 3, v[0:1]
	v_ashrrev_i32_e32 v1, 31, v0
	v_lshlrev_b64 v[0:1], 2, v[0:1]
	v_add_co_u32_e64 v5, s[6:7], s10, v0
	v_addc_co_u32_e64 v6, s[6:7], v2, v1, s[6:7]
	global_load_dword v1, v[5:6], off
                                        ; implicit-def: $vgpr0
	s_and_saveexec_b64 s[6:7], vcc
	s_xor_b64 s[6:7], exec, s[6:7]
	s_cbranch_execz .LBB32_48
; %bb.35:                               ;   in Loop: Header=BB32_33 Depth=1
                                        ; implicit-def: $vgpr0
	s_and_saveexec_b64 s[18:19], s[0:1]
	s_xor_b64 s[18:19], exec, s[18:19]
	s_cbranch_execz .LBB32_45
; %bb.36:                               ;   in Loop: Header=BB32_33 Depth=1
                                        ; implicit-def: $vgpr0
	s_and_saveexec_b64 s[20:21], s[2:3]
	;; [unrolled: 5-line block ×3, first 2 shown]
	s_xor_b64 s[22:23], exec, s[22:23]
	s_cbranch_execz .LBB32_39
; %bb.38:                               ;   in Loop: Header=BB32_33 Depth=1
	buffer_load_dword v0, off, s[40:43], 0 offset:244 ; 4-byte Folded Reload
                                        ; implicit-def: $vgpr5_vgpr6
	s_waitcnt vmcnt(0)
	v_lshrrev_b32_e32 v0, v0, v1
                                        ; implicit-def: $vgpr1
.LBB32_39:                              ;   in Loop: Header=BB32_33 Depth=1
	s_andn2_saveexec_b64 s[22:23], s[22:23]
	s_cbranch_execz .LBB32_41
; %bb.40:                               ;   in Loop: Header=BB32_33 Depth=1
	global_load_dword v0, v[5:6], off offset:4
	s_waitcnt vmcnt(0)
	v_alignbit_b32 v0, v0, v1, 28
	v_and_b32_e32 v0, 0xfff, v0
.LBB32_41:                              ;   in Loop: Header=BB32_33 Depth=1
	s_or_b64 exec, exec, s[22:23]
                                        ; implicit-def: $vgpr1
.LBB32_42:                              ;   in Loop: Header=BB32_33 Depth=1
	s_andn2_saveexec_b64 s[20:21], s[20:21]
	s_cbranch_execz .LBB32_44
; %bb.43:                               ;   in Loop: Header=BB32_33 Depth=1
	buffer_load_dword v0, off, s[40:43], 0 offset:240 ; 4-byte Folded Reload
	s_waitcnt vmcnt(0)
	v_lshrrev_b32_e32 v0, v0, v1
.LBB32_44:                              ;   in Loop: Header=BB32_33 Depth=1
	s_or_b64 exec, exec, s[20:21]
                                        ; implicit-def: $vgpr5_vgpr6
                                        ; implicit-def: $vgpr1
.LBB32_45:                              ;   in Loop: Header=BB32_33 Depth=1
	s_andn2_saveexec_b64 s[18:19], s[18:19]
	s_cbranch_execz .LBB32_47
; %bb.46:                               ;   in Loop: Header=BB32_33 Depth=1
	global_load_dword v0, v[5:6], off offset:4
	s_waitcnt vmcnt(0)
	v_perm_b32 v0, v1, v0, s17
	v_and_b32_e32 v0, 0xfff, v0
.LBB32_47:                              ;   in Loop: Header=BB32_33 Depth=1
	s_or_b64 exec, exec, s[18:19]
                                        ; implicit-def: $vgpr1
.LBB32_48:                              ;   in Loop: Header=BB32_33 Depth=1
	s_andn2_saveexec_b64 s[6:7], s[6:7]
	s_cbranch_execz .LBB32_31
; %bb.49:                               ;   in Loop: Header=BB32_33 Depth=1
	buffer_load_dword v0, off, s[40:43], 0 offset:236 ; 4-byte Folded Reload
	s_waitcnt vmcnt(0)
	v_lshrrev_b32_e32 v0, v0, v1
	s_branch .LBB32_31
.LBB32_50:
	buffer_load_dword v0, off, s[40:43], 0 offset:220 ; 4-byte Folded Reload
	buffer_load_dword v1, off, s[40:43], 0 offset:224 ; 4-byte Folded Reload
	s_mul_i32 s24, s24, s16
	v_mov_b32_e32 v3, s15
	s_mov_b64 s[0:1], 0
	s_waitcnt vmcnt(1)
	v_add_u32_e32 v0, s24, v0
	s_waitcnt vmcnt(0)
	v_ashrrev_i32_e32 v1, 31, v0
	v_lshlrev_b64 v[1:2], 1, v[0:1]
	v_add_co_u32_e32 v1, vcc, s14, v1
	v_addc_co_u32_e32 v2, vcc, v3, v2, vcc
	global_load_dword v4, v[1:2], off
.LBB32_51:                              ; =>This Inner Loop Header: Depth=1
	s_waitcnt vmcnt(0)
	v_pk_add_f16 v3, v24, v4
	global_atomic_cmpswap v3, v[1:2], v[3:4], off glc
	s_waitcnt vmcnt(0)
	v_cmp_eq_u32_e32 vcc, v4, v3
	s_or_b64 s[0:1], vcc, s[0:1]
	v_mov_b32_e32 v4, v3
	s_andn2_b64 exec, exec, s[0:1]
	s_cbranch_execnz .LBB32_51
; %bb.52:
	s_or_b64 exec, exec, s[0:1]
	global_load_dword v4, v[1:2], off offset:4
	s_mov_b64 s[0:1], 0
.LBB32_53:                              ; =>This Inner Loop Header: Depth=1
	s_waitcnt vmcnt(0)
	v_pk_add_f16 v3, v11, v4
	global_atomic_cmpswap v3, v[1:2], v[3:4], off offset:4 glc
	s_waitcnt vmcnt(0)
	v_cmp_eq_u32_e32 vcc, v4, v3
	s_or_b64 s[0:1], vcc, s[0:1]
	v_mov_b32_e32 v4, v3
	s_andn2_b64 exec, exec, s[0:1]
	s_cbranch_execnz .LBB32_53
; %bb.54:
	s_or_b64 exec, exec, s[0:1]
	v_add_u32_e32 v0, s16, v0
	v_ashrrev_i32_e32 v1, 31, v0
	v_lshlrev_b64 v[1:2], 1, v[0:1]
	v_mov_b32_e32 v3, s15
	v_add_co_u32_e32 v1, vcc, s14, v1
	v_addc_co_u32_e32 v2, vcc, v3, v2, vcc
	global_load_dword v4, v[1:2], off
	s_mov_b64 s[0:1], 0
.LBB32_55:                              ; =>This Inner Loop Header: Depth=1
	s_waitcnt vmcnt(0)
	v_pk_add_f16 v3, v23, v4
	global_atomic_cmpswap v3, v[1:2], v[3:4], off glc
	s_waitcnt vmcnt(0)
	v_cmp_eq_u32_e32 vcc, v4, v3
	s_or_b64 s[0:1], vcc, s[0:1]
	v_mov_b32_e32 v4, v3
	s_andn2_b64 exec, exec, s[0:1]
	s_cbranch_execnz .LBB32_55
; %bb.56:
	s_or_b64 exec, exec, s[0:1]
	global_load_dword v4, v[1:2], off offset:4
	s_mov_b64 s[0:1], 0
.LBB32_57:                              ; =>This Inner Loop Header: Depth=1
	s_waitcnt vmcnt(0)
	v_pk_add_f16 v3, v10, v4
	global_atomic_cmpswap v3, v[1:2], v[3:4], off offset:4 glc
	s_waitcnt vmcnt(0)
	v_cmp_eq_u32_e32 vcc, v4, v3
	s_or_b64 s[0:1], vcc, s[0:1]
	v_mov_b32_e32 v4, v3
	s_andn2_b64 exec, exec, s[0:1]
	s_cbranch_execnz .LBB32_57
; %bb.58:
	s_or_b64 exec, exec, s[0:1]
	v_add_u32_e32 v0, s16, v0
	v_ashrrev_i32_e32 v1, 31, v0
	v_lshlrev_b64 v[1:2], 1, v[0:1]
	v_mov_b32_e32 v3, s15
	v_add_co_u32_e32 v1, vcc, s14, v1
	v_addc_co_u32_e32 v2, vcc, v3, v2, vcc
	global_load_dword v4, v[1:2], off
	s_mov_b64 s[0:1], 0
	;; [unrolled: 34-line block ×4, first 2 shown]
.LBB32_67:                              ; =>This Inner Loop Header: Depth=1
	s_waitcnt vmcnt(0)
	v_pk_add_f16 v2, v19, v3
	global_atomic_cmpswap v2, v[0:1], v[2:3], off glc
	s_waitcnt vmcnt(0)
	v_cmp_eq_u32_e32 vcc, v3, v2
	s_or_b64 s[0:1], vcc, s[0:1]
	v_mov_b32_e32 v3, v2
	s_andn2_b64 exec, exec, s[0:1]
	s_cbranch_execnz .LBB32_67
; %bb.68:
	s_or_b64 exec, exec, s[0:1]
	global_load_dword v3, v[0:1], off offset:4
	s_mov_b64 s[0:1], 0
.LBB32_69:                              ; =>This Inner Loop Header: Depth=1
	s_waitcnt vmcnt(0)
	v_pk_add_f16 v2, v7, v3
	global_atomic_cmpswap v2, v[0:1], v[2:3], off offset:4 glc
	s_waitcnt vmcnt(0)
	v_cmp_eq_u32_e32 vcc, v3, v2
	s_or_b64 s[0:1], vcc, s[0:1]
	v_mov_b32_e32 v3, v2
	s_andn2_b64 exec, exec, s[0:1]
	s_cbranch_execnz .LBB32_69
.LBB32_70:
	s_endpgm
	.section	.rodata,"a",@progbits
	.p2align	6, 0x0
	.amdhsa_kernel _ZN4vllm4gptq33gemm_half_q_half_gptq_3bit_kernelILb1ELi5EEEvPK6__halfPKjS6_S4_PS2_iiiibPKi
		.amdhsa_group_segment_fixed_size 1280
		.amdhsa_private_segment_fixed_size 252
		.amdhsa_kernarg_size 72
		.amdhsa_user_sgpr_count 6
		.amdhsa_user_sgpr_private_segment_buffer 1
		.amdhsa_user_sgpr_dispatch_ptr 0
		.amdhsa_user_sgpr_queue_ptr 0
		.amdhsa_user_sgpr_kernarg_segment_ptr 1
		.amdhsa_user_sgpr_dispatch_id 0
		.amdhsa_user_sgpr_flat_scratch_init 0
		.amdhsa_user_sgpr_private_segment_size 0
		.amdhsa_uses_dynamic_stack 0
		.amdhsa_system_sgpr_private_segment_wavefront_offset 1
		.amdhsa_system_sgpr_workgroup_id_x 1
		.amdhsa_system_sgpr_workgroup_id_y 1
		.amdhsa_system_sgpr_workgroup_id_z 1
		.amdhsa_system_sgpr_workgroup_info 0
		.amdhsa_system_vgpr_workitem_id 0
		.amdhsa_next_free_vgpr 64
		.amdhsa_next_free_sgpr 44
		.amdhsa_reserve_vcc 1
		.amdhsa_reserve_flat_scratch 0
		.amdhsa_float_round_mode_32 0
		.amdhsa_float_round_mode_16_64 0
		.amdhsa_float_denorm_mode_32 3
		.amdhsa_float_denorm_mode_16_64 3
		.amdhsa_dx10_clamp 1
		.amdhsa_ieee_mode 1
		.amdhsa_fp16_overflow 0
		.amdhsa_exception_fp_ieee_invalid_op 0
		.amdhsa_exception_fp_denorm_src 0
		.amdhsa_exception_fp_ieee_div_zero 0
		.amdhsa_exception_fp_ieee_overflow 0
		.amdhsa_exception_fp_ieee_underflow 0
		.amdhsa_exception_fp_ieee_inexact 0
		.amdhsa_exception_int_div_zero 0
	.end_amdhsa_kernel
	.section	.text._ZN4vllm4gptq33gemm_half_q_half_gptq_3bit_kernelILb1ELi5EEEvPK6__halfPKjS6_S4_PS2_iiiibPKi,"axG",@progbits,_ZN4vllm4gptq33gemm_half_q_half_gptq_3bit_kernelILb1ELi5EEEvPK6__halfPKjS6_S4_PS2_iiiibPKi,comdat
.Lfunc_end32:
	.size	_ZN4vllm4gptq33gemm_half_q_half_gptq_3bit_kernelILb1ELi5EEEvPK6__halfPKjS6_S4_PS2_iiiibPKi, .Lfunc_end32-_ZN4vllm4gptq33gemm_half_q_half_gptq_3bit_kernelILb1ELi5EEEvPK6__halfPKjS6_S4_PS2_iiiibPKi
                                        ; -- End function
	.set _ZN4vllm4gptq33gemm_half_q_half_gptq_3bit_kernelILb1ELi5EEEvPK6__halfPKjS6_S4_PS2_iiiibPKi.num_vgpr, 64
	.set _ZN4vllm4gptq33gemm_half_q_half_gptq_3bit_kernelILb1ELi5EEEvPK6__halfPKjS6_S4_PS2_iiiibPKi.num_agpr, 0
	.set _ZN4vllm4gptq33gemm_half_q_half_gptq_3bit_kernelILb1ELi5EEEvPK6__halfPKjS6_S4_PS2_iiiibPKi.numbered_sgpr, 44
	.set _ZN4vllm4gptq33gemm_half_q_half_gptq_3bit_kernelILb1ELi5EEEvPK6__halfPKjS6_S4_PS2_iiiibPKi.num_named_barrier, 0
	.set _ZN4vllm4gptq33gemm_half_q_half_gptq_3bit_kernelILb1ELi5EEEvPK6__halfPKjS6_S4_PS2_iiiibPKi.private_seg_size, 252
	.set _ZN4vllm4gptq33gemm_half_q_half_gptq_3bit_kernelILb1ELi5EEEvPK6__halfPKjS6_S4_PS2_iiiibPKi.uses_vcc, 1
	.set _ZN4vllm4gptq33gemm_half_q_half_gptq_3bit_kernelILb1ELi5EEEvPK6__halfPKjS6_S4_PS2_iiiibPKi.uses_flat_scratch, 0
	.set _ZN4vllm4gptq33gemm_half_q_half_gptq_3bit_kernelILb1ELi5EEEvPK6__halfPKjS6_S4_PS2_iiiibPKi.has_dyn_sized_stack, 0
	.set _ZN4vllm4gptq33gemm_half_q_half_gptq_3bit_kernelILb1ELi5EEEvPK6__halfPKjS6_S4_PS2_iiiibPKi.has_recursion, 0
	.set _ZN4vllm4gptq33gemm_half_q_half_gptq_3bit_kernelILb1ELi5EEEvPK6__halfPKjS6_S4_PS2_iiiibPKi.has_indirect_call, 0
	.section	.AMDGPU.csdata,"",@progbits
; Kernel info:
; codeLenInByte = 10080
; TotalNumSgprs: 48
; NumVgprs: 64
; ScratchSize: 252
; MemoryBound: 0
; FloatMode: 240
; IeeeMode: 1
; LDSByteSize: 1280 bytes/workgroup (compile time only)
; SGPRBlocks: 5
; VGPRBlocks: 15
; NumSGPRsForWavesPerEU: 48
; NumVGPRsForWavesPerEU: 64
; Occupancy: 4
; WaveLimiterHint : 0
; COMPUTE_PGM_RSRC2:SCRATCH_EN: 1
; COMPUTE_PGM_RSRC2:USER_SGPR: 6
; COMPUTE_PGM_RSRC2:TRAP_HANDLER: 0
; COMPUTE_PGM_RSRC2:TGID_X_EN: 1
; COMPUTE_PGM_RSRC2:TGID_Y_EN: 1
; COMPUTE_PGM_RSRC2:TGID_Z_EN: 1
; COMPUTE_PGM_RSRC2:TIDIG_COMP_CNT: 0
	.section	.text._ZN4vllm4gptq33gemm_half_q_half_gptq_4bit_kernelILb1ELi5EEEvPK6__halfPKjS6_S4_PS2_iiiibPKi,"axG",@progbits,_ZN4vllm4gptq33gemm_half_q_half_gptq_4bit_kernelILb1ELi5EEEvPK6__halfPKjS6_S4_PS2_iiiibPKi,comdat
	.protected	_ZN4vllm4gptq33gemm_half_q_half_gptq_4bit_kernelILb1ELi5EEEvPK6__halfPKjS6_S4_PS2_iiiibPKi ; -- Begin function _ZN4vllm4gptq33gemm_half_q_half_gptq_4bit_kernelILb1ELi5EEEvPK6__halfPKjS6_S4_PS2_iiiibPKi
	.globl	_ZN4vllm4gptq33gemm_half_q_half_gptq_4bit_kernelILb1ELi5EEEvPK6__halfPKjS6_S4_PS2_iiiibPKi
	.p2align	8
	.type	_ZN4vllm4gptq33gemm_half_q_half_gptq_4bit_kernelILb1ELi5EEEvPK6__halfPKjS6_S4_PS2_iiiibPKi,@function
_ZN4vllm4gptq33gemm_half_q_half_gptq_4bit_kernelILb1ELi5EEEvPK6__halfPKjS6_S4_PS2_iiiibPKi: ; @_ZN4vllm4gptq33gemm_half_q_half_gptq_4bit_kernelILb1ELi5EEEvPK6__halfPKjS6_S4_PS2_iiiibPKi
; %bb.0:
	s_mov_b64 s[30:31], s[2:3]
	s_load_dwordx4 s[16:19], s[4:5], 0x2c
	s_mov_b64 s[28:29], s[0:1]
	s_add_u32 s28, s28, s9
	s_addc_u32 s29, s29, 0
	s_lshl_b32 s24, s8, 7
	s_add_i32 s0, s24, 0x80
	v_cvt_f64_u32_e32 v[1:2], s0
	s_waitcnt lgkmcnt(0)
	v_cvt_f64_i32_e32 v[3:4], s17
	s_load_dwordx8 s[8:15], s[4:5], 0x8
	s_mul_i32 s7, s7, 5
	v_min_f64 v[1:2], v[1:2], v[3:4]
	v_cvt_i32_f64_e32 v2, v[1:2]
	v_add_u32_e32 v1, s24, v0
	v_readfirstlane_b32 s25, v2
	v_cmp_lt_u32_e32 vcc, v1, v2
	s_and_saveexec_b64 s[2:3], vcc
	s_cbranch_execz .LBB33_12
; %bb.1:
	s_load_dwordx2 s[0:1], s[4:5], 0x40
	s_load_dwordx2 s[20:21], s[4:5], 0x0
	v_mov_b32_e32 v2, 0
	v_lshlrev_b64 v[3:4], 2, v[1:2]
	s_waitcnt lgkmcnt(0)
	v_mov_b32_e32 v5, s1
	v_add_co_u32_e32 v3, vcc, s0, v3
	s_cmp_lg_u64 s[0:1], 0
	v_addc_co_u32_e32 v4, vcc, v5, v4, vcc
	v_mov_b32_e32 v6, v2
	s_cselect_b64 s[4:5], -1, 0
	s_cmp_eq_u64 s[0:1], 0
	v_mov_b32_e32 v5, v1
	s_cbranch_scc1 .LBB33_3
; %bb.2:
	global_load_dword v5, v[3:4], off
	s_waitcnt vmcnt(0)
	v_ashrrev_i32_e32 v6, 31, v5
.LBB33_3:
	s_mul_i32 s22, s7, s17
	s_ashr_i32 s23, s22, 31
	s_lshl_b64 s[0:1], s[22:23], 1
	s_add_u32 s0, s20, s0
	v_lshlrev_b64 v[5:6], 1, v[5:6]
	s_addc_u32 s1, s21, s1
	v_mov_b32_e32 v7, s1
	v_add_co_u32_e32 v5, vcc, s0, v5
	v_addc_co_u32_e32 v6, vcc, v7, v6, vcc
	global_load_ushort v5, v[5:6], off
	v_lshlrev_b32_e32 v7, 1, v0
	v_cndmask_b32_e64 v6, 0, 1, s[4:5]
	v_cmp_ne_u32_e64 s[0:1], 1, v6
	s_andn2_b64 vcc, exec, s[4:5]
	s_waitcnt vmcnt(0)
	ds_write_b16 v7, v5
	v_mov_b32_e32 v6, v2
	v_mov_b32_e32 v5, v1
	s_cbranch_vccnz .LBB33_5
; %bb.4:
	global_load_dword v5, v[3:4], off
	s_waitcnt vmcnt(0)
	v_ashrrev_i32_e32 v6, 31, v5
.LBB33_5:
	s_add_i32 s4, s22, s17
	s_ashr_i32 s5, s4, 31
	s_lshl_b64 s[22:23], s[4:5], 1
	s_add_u32 s5, s20, s22
	v_lshlrev_b64 v[5:6], 1, v[5:6]
	s_addc_u32 s22, s21, s23
	v_mov_b32_e32 v8, s22
	v_add_co_u32_e32 v5, vcc, s5, v5
	v_addc_co_u32_e32 v6, vcc, v8, v6, vcc
	global_load_ushort v5, v[5:6], off
	s_and_b64 vcc, exec, s[0:1]
	s_waitcnt vmcnt(0)
	ds_write_b16 v7, v5 offset:256
	v_mov_b32_e32 v6, v2
	v_mov_b32_e32 v5, v1
	s_cbranch_vccnz .LBB33_7
; %bb.6:
	global_load_dword v5, v[3:4], off
	s_waitcnt vmcnt(0)
	v_ashrrev_i32_e32 v6, 31, v5
.LBB33_7:
	s_add_i32 s4, s4, s17
	s_ashr_i32 s5, s4, 31
	s_lshl_b64 s[22:23], s[4:5], 1
	s_add_u32 s5, s20, s22
	v_lshlrev_b64 v[5:6], 1, v[5:6]
	s_addc_u32 s22, s21, s23
	v_mov_b32_e32 v8, s22
	v_add_co_u32_e32 v5, vcc, s5, v5
	v_addc_co_u32_e32 v6, vcc, v8, v6, vcc
	global_load_ushort v5, v[5:6], off
	s_and_b64 vcc, exec, s[0:1]
	s_waitcnt vmcnt(0)
	ds_write_b16 v7, v5 offset:512
	v_mov_b32_e32 v6, v2
	v_mov_b32_e32 v5, v1
	s_cbranch_vccnz .LBB33_9
; %bb.8:
	global_load_dword v5, v[3:4], off
	s_waitcnt vmcnt(0)
	v_ashrrev_i32_e32 v6, 31, v5
.LBB33_9:
	s_add_i32 s4, s4, s17
	s_ashr_i32 s5, s4, 31
	s_lshl_b64 s[22:23], s[4:5], 1
	s_add_u32 s5, s20, s22
	v_lshlrev_b64 v[5:6], 1, v[5:6]
	s_addc_u32 s22, s21, s23
	v_mov_b32_e32 v8, s22
	v_add_co_u32_e32 v5, vcc, s5, v5
	v_addc_co_u32_e32 v6, vcc, v8, v6, vcc
	global_load_ushort v5, v[5:6], off
	s_and_b64 vcc, exec, s[0:1]
	s_waitcnt vmcnt(0)
	ds_write_b16 v7, v5 offset:768
	s_cbranch_vccnz .LBB33_11
; %bb.10:
	global_load_dword v1, v[3:4], off
	s_waitcnt vmcnt(0)
	v_ashrrev_i32_e32 v2, 31, v1
.LBB33_11:
	s_add_i32 s0, s4, s17
	s_ashr_i32 s1, s0, 31
	s_lshl_b64 s[0:1], s[0:1], 1
	s_add_u32 s0, s20, s0
	v_lshlrev_b64 v[1:2], 1, v[1:2]
	s_addc_u32 s1, s21, s1
	v_mov_b32_e32 v3, s1
	v_add_co_u32_e32 v1, vcc, s0, v1
	v_addc_co_u32_e32 v2, vcc, v3, v2, vcc
	global_load_ushort v1, v[1:2], off
	s_waitcnt vmcnt(0)
	ds_write_b16 v7, v1 offset:1024
.LBB33_12:
	s_or_b64 exec, exec, s[2:3]
	v_lshlrev_b32_e32 v1, 2, v0
	v_lshl_add_u32 v4, s6, 9, v1
	v_cmp_gt_i32_e32 vcc, s16, v4
	s_and_saveexec_b64 s[0:1], vcc
	s_cbranch_execz .LBB33_39
; %bb.13:
	s_abs_i32 s0, s18
	v_cvt_f32_u32_e32 v1, s0
	v_mov_b32_e32 v5, 0
	v_mov_b32_e32 v6, 0
	;; [unrolled: 1-line block ×3, first 2 shown]
	v_rcp_iflag_f32_e32 v1, v1
	v_mov_b32_e32 v8, 0
	v_mov_b32_e32 v9, 0
	s_cmp_ge_i32 s24, s25
	v_mul_f32_e32 v1, 0x4f7ffffe, v1
	v_cvt_u32_f32_e32 v1, v1
	v_mov_b32_e32 v10, 0
	v_mov_b32_e32 v11, 0
	;; [unrolled: 1-line block ×3, first 2 shown]
	v_readfirstlane_b32 s1, v1
	v_mov_b32_e32 v13, 0
	v_mov_b32_e32 v14, 0
	;; [unrolled: 1-line block ×12, first 2 shown]
	s_waitcnt lgkmcnt(0)
	s_barrier
	s_cbranch_scc1 .LBB33_19
; %bb.14:
	s_sub_i32 s5, 0, s0
	s_mul_i32 s5, s5, s1
	s_mul_hi_u32 s5, s1, s5
	s_abs_i32 s4, s17
	s_add_i32 s1, s1, s5
	s_ashr_i32 s2, s17, 31
	s_ashr_i32 s3, s18, 31
	s_mul_hi_u32 s1, s4, s1
	s_xor_b32 s2, s2, s3
	s_mul_i32 s3, s1, s0
	s_sub_i32 s3, s4, s3
	s_add_i32 s4, s1, 1
	s_sub_i32 s5, s3, s0
	s_cmp_ge_u32 s3, s0
	s_cselect_b32 s1, s4, s1
	s_cselect_b32 s3, s5, s3
	s_add_i32 s4, s1, 1
	s_cmp_ge_u32 s3, s0
	s_cselect_b32 s0, s4, s1
	s_xor_b32 s0, s0, s2
	s_sub_i32 s4, s0, s2
	v_cvt_f32_u32_e32 v1, s4
	s_bitcmp1_b32 s19, 0
	s_cselect_b64 s[0:1], -1, 0
	s_sub_i32 s2, 0, s4
	v_rcp_iflag_f32_e32 v1, v1
	s_xor_b64 s[0:1], s[0:1], -1
	v_ashrrev_i32_e32 v5, 31, v4
	v_lshrrev_b32_e32 v2, 29, v5
	v_mul_f32_e32 v1, 0x4f7ffffe, v1
	v_cvt_u32_f32_e32 v1, v1
	v_add_u32_e32 v2, v4, v2
	v_ashrrev_i32_e32 v6, 3, v2
	buffer_store_dword v6, off, s[28:31], 0 ; 4-byte Folded Spill
	v_readfirstlane_b32 s3, v1
	s_mul_i32 s2, s2, s3
	s_mul_hi_u32 s2, s3, s2
	s_add_i32 s3, s3, s2
	s_mul_hi_u32 s2, s24, s3
	s_mul_i32 s3, s2, s4
	s_sub_i32 s3, s24, s3
	s_add_i32 s5, s2, 1
	s_sub_i32 s6, s3, s4
	s_cmp_ge_u32 s3, s4
	s_cselect_b32 s2, s5, s2
	s_cselect_b32 s3, s6, s3
	s_add_i32 s5, s2, 1
	s_cmp_ge_u32 s3, s4
	s_cselect_b32 s5, s5, s2
	s_mul_i32 s2, s5, s16
	s_ashr_i32 s3, s2, 31
	s_lshr_b32 s3, s3, 29
	v_add_u32_e32 v1, s2, v4
	s_add_i32 s2, s2, s3
	v_ashrrev_i32_e32 v2, 31, v1
	s_ashr_i32 s2, s2, 3
	v_lshlrev_b64 v[1:2], 1, v[1:2]
	v_add_u32_e32 v6, s2, v6
	v_ashrrev_i32_e32 v7, 31, v6
	v_mov_b32_e32 v3, s13
	v_add_co_u32_e32 v1, vcc, s12, v1
	v_lshlrev_b64 v[6:7], 2, v[6:7]
	v_addc_co_u32_e32 v2, vcc, v3, v2, vcc
	v_mov_b32_e32 v3, s11
	v_add_co_u32_e32 v6, vcc, s10, v6
	v_addc_co_u32_e32 v7, vcc, v3, v7, vcc
	global_load_dword v3, v[6:7], off
	v_cndmask_b32_e64 v26, 0, 1, s[0:1]
	global_load_dwordx2 v[1:2], v[1:2], off
	s_lshr_b32 s0, s24, 3
	s_mul_i32 s0, s16, s0
	s_ashr_i32 s1, s0, 31
	v_lshlrev_b32_e32 v0, 4, v0
	s_lshl_b64 s[0:1], s[0:1], 2
	v_and_b32_e32 v25, 16, v0
	v_lshlrev_b64 v[5:6], 2, v[4:5]
	s_add_u32 s20, s8, s0
	s_addc_u32 s0, s9, s1
	s_mov_b32 s18, 0x10001
	v_mov_b32_e32 v10, 0xe400e400
	v_mov_b32_e32 v7, s0
	v_add_co_u32_e32 v5, vcc, s20, v5
	v_addc_co_u32_e32 v6, vcc, v7, v6, vcc
	s_ashr_i32 s17, s16, 31
	s_mov_b32 s6, 0
	s_movk_i32 s19, 0x2c00
	v_mov_b32_e32 v11, 0
	v_mov_b32_e32 v12, 0
	;; [unrolled: 1-line block ×14, first 2 shown]
	s_add_i32 s8, s4, s24
	s_lshl_b64 s[0:1], s[16:17], 4
	s_lshl_b64 s[2:3], s[16:17], 2
	v_mov_b32_e32 v27, 0
	v_mov_b32_e32 v28, 0
	;; [unrolled: 1-line block ×6, first 2 shown]
	s_waitcnt vmcnt(1)
	v_lshrrev_b32_e32 v0, v0, v3
	s_waitcnt vmcnt(0)
	v_cvt_f32_f16_sdwa v33, v2 dst_sel:DWORD dst_unused:UNUSED_PAD src0_sel:WORD_1
	v_cvt_f32_f16_e32 v34, v2
	v_cvt_f32_f16_sdwa v35, v1 dst_sel:DWORD dst_unused:UNUSED_PAD src0_sel:WORD_1
	v_cvt_f32_f16_e32 v36, v1
	v_bfe_u32 v1, v3, v25, 4
	v_bfe_u32 v2, v0, 12, 4
	;; [unrolled: 1-line block ×4, first 2 shown]
	v_add_u32_e32 v1, v1, v26
	v_add_u32_e32 v2, v2, v26
	;; [unrolled: 1-line block ×4, first 2 shown]
	v_cvt_f32_ubyte0_e32 v7, v1
	v_mad_u32_u24 v37, v1, s18, v10
	v_cvt_f32_ubyte0_e32 v1, v2
	v_mad_u32_u24 v40, v2, s18, v10
	v_cvt_f32_ubyte0_e32 v2, v3
	v_mad_u32_u24 v38, v3, s18, v10
	v_cvt_f32_ubyte0_e32 v3, v0
	v_mad_u32_u24 v39, v0, s18, v10
	v_cvt_f16_f32_e32 v0, v7
	v_cvt_f16_f32_e32 v1, v1
	;; [unrolled: 1-line block ×4, first 2 shown]
	v_sub_f16_e32 v0, 0xd400, v0
	v_sub_f16_e32 v1, 0xd400, v1
	;; [unrolled: 1-line block ×4, first 2 shown]
	v_mul_u32_u24_e32 v41, 0x10001, v0
	v_mul_u32_u24_e32 v42, 0x10001, v1
	;; [unrolled: 1-line block ×4, first 2 shown]
	s_branch .LBB33_16
.LBB33_15:                              ;   in Loop: Header=BB33_16 Depth=1
	global_load_dwordx4 v[49:52], v[5:6], off
	s_add_i32 s9, s6, 0x400
	s_add_i32 s24, s24, 32
	s_waitcnt vmcnt(0)
	v_lshrrev_b32_e32 v45, 8, v50
	v_lshrrev_b32_e32 v2, 8, v49
	v_and_b32_e32 v46, 0xf000f, v45
	v_and_b32_e32 v45, 0xf000f0, v45
	;; [unrolled: 1-line block ×6, first 2 shown]
	v_or_b32_e32 v45, 0x64006400, v45
	v_and_b32_e32 v48, 0xf000f0, v51
	v_or_b32_e32 v0, 0x64006400, v0
	v_or_b32_e32 v1, 0x64006400, v1
	;; [unrolled: 1-line block ×4, first 2 shown]
	v_pk_fma_f16 v47, v45, s19, v44 op_sel_hi:[1,0,1]
	v_and_b32_e32 v45, 0xf000f, v51
	v_or_b32_e32 v49, 0x64006400, v48
	v_lshrrev_b32_e32 v48, 8, v51
	v_pk_add_f16 v3, v37, v0
	v_pk_fma_f16 v2, v1, s19, v41 op_sel_hi:[1,0,1]
	v_pk_add_f16 v0, v37, v7
	v_pk_fma_f16 v1, v8, s19, v41 op_sel_hi:[1,0,1]
	v_and_b32_e32 v7, 0xf000f, v50
	v_and_b32_e32 v8, 0xf000f0, v50
	v_or_b32_e32 v45, 0x64006400, v45
	v_and_b32_e32 v50, 0xf000f, v48
	v_and_b32_e32 v48, 0xf000f0, v48
	v_or_b32_e32 v51, 0x64006400, v48
	v_pk_add_f16 v48, v38, v45
	v_and_b32_e32 v45, 0xf000f, v52
	v_and_b32_e32 v53, 0xf000f0, v52
	v_lshrrev_b32_e32 v52, 8, v52
	v_or_b32_e32 v45, 0x64006400, v45
	v_and_b32_e32 v54, 0xf000f, v52
	v_and_b32_e32 v52, 0xf000f0, v52
	v_or_b32_e32 v55, 0x64006400, v52
	v_pk_add_f16 v52, v40, v45
	v_mov_b32_e32 v45, s6
	ds_read2_b32 v[56:57], v45 offset1:1
	v_or_b32_e32 v7, 0x64006400, v7
	v_or_b32_e32 v8, 0x64006400, v8
	v_pk_add_f16 v7, v39, v7
	v_or_b32_e32 v46, 0x64006400, v46
	s_waitcnt lgkmcnt(0)
	v_pk_fma_f16 v58, v3, v56, 0
	v_pk_fma_f16 v60, v2, v57, v58
	ds_read2_b32 v[58:59], v45 offset0:2 offset1:3
	v_pk_fma_f16 v8, v8, s19, v44 op_sel_hi:[1,0,1]
	v_pk_add_f16 v46, v39, v46
	v_or_b32_e32 v53, 0x64006400, v53
	v_or_b32_e32 v54, 0x64006400, v54
	s_waitcnt lgkmcnt(0)
	v_pk_fma_f16 v60, v0, v58, v60
	v_pk_fma_f16 v60, v1, v59, v60
	v_cvt_f32_f16_e32 v61, v60
	v_cvt_f32_f16_sdwa v60, v60 dst_sel:DWORD dst_unused:UNUSED_PAD src0_sel:WORD_1
	v_pk_fma_f16 v53, v53, s19, v42 op_sel_hi:[1,0,1]
	v_pk_add_f16 v54, v40, v54
	v_pk_fma_f16 v55, v55, s19, v42 op_sel_hi:[1,0,1]
	v_add_f32_e32 v60, v61, v60
	v_fmac_f32_e32 v11, v60, v36
	v_pk_fma_f16 v60, v7, v56, 0
	v_pk_fma_f16 v60, v8, v57, v60
	;; [unrolled: 1-line block ×4, first 2 shown]
	v_cvt_f32_f16_e32 v61, v60
	v_cvt_f32_f16_sdwa v60, v60 dst_sel:DWORD dst_unused:UNUSED_PAD src0_sel:WORD_1
	v_pk_fma_f16 v49, v49, s19, v43 op_sel_hi:[1,0,1]
	v_or_b32_e32 v50, 0x64006400, v50
	v_pk_add_f16 v50, v38, v50
	v_add_f32_e32 v60, v61, v60
	v_fmac_f32_e32 v12, v60, v35
	v_pk_fma_f16 v60, v48, v56, 0
	v_pk_fma_f16 v56, v52, v56, 0
	;; [unrolled: 1-line block ×6, first 2 shown]
	v_cvt_f32_f16_e32 v57, v56
	v_cvt_f32_f16_sdwa v56, v56 dst_sel:DWORD dst_unused:UNUSED_PAD src0_sel:WORD_1
	v_pk_fma_f16 v51, v51, s19, v43 op_sel_hi:[1,0,1]
	v_pk_fma_f16 v60, v50, v58, v60
	v_pk_fma_f16 v60, v51, v59, v60
	v_add_f32_e32 v56, v57, v56
	v_fmac_f32_e32 v14, v56, v33
	ds_read2_b32 v[56:57], v45 offset0:64 offset1:65
	v_cvt_f32_f16_e32 v61, v60
	v_cvt_f32_f16_sdwa v60, v60 dst_sel:DWORD dst_unused:UNUSED_PAD src0_sel:WORD_1
	s_waitcnt lgkmcnt(0)
	v_pk_fma_f16 v58, v3, v56, 0
	v_add_f32_e32 v60, v61, v60
	v_fmac_f32_e32 v13, v60, v34
	v_pk_fma_f16 v60, v2, v57, v58
	ds_read2_b32 v[58:59], v45 offset0:66 offset1:67
	s_waitcnt lgkmcnt(0)
	v_pk_fma_f16 v60, v0, v58, v60
	v_pk_fma_f16 v60, v1, v59, v60
	v_cvt_f32_f16_e32 v61, v60
	v_cvt_f32_f16_sdwa v60, v60 dst_sel:DWORD dst_unused:UNUSED_PAD src0_sel:WORD_1
	v_add_f32_e32 v60, v61, v60
	v_fmac_f32_e32 v15, v60, v36
	v_pk_fma_f16 v60, v7, v56, 0
	v_pk_fma_f16 v60, v8, v57, v60
	;; [unrolled: 1-line block ×4, first 2 shown]
	v_cvt_f32_f16_e32 v61, v60
	v_cvt_f32_f16_sdwa v60, v60 dst_sel:DWORD dst_unused:UNUSED_PAD src0_sel:WORD_1
	v_add_f32_e32 v60, v61, v60
	v_fmac_f32_e32 v16, v60, v35
	v_pk_fma_f16 v60, v48, v56, 0
	v_pk_fma_f16 v56, v52, v56, 0
	;; [unrolled: 1-line block ×6, first 2 shown]
	v_cvt_f32_f16_e32 v57, v56
	v_cvt_f32_f16_sdwa v56, v56 dst_sel:DWORD dst_unused:UNUSED_PAD src0_sel:WORD_1
	v_pk_fma_f16 v60, v50, v58, v60
	v_pk_fma_f16 v60, v51, v59, v60
	v_cvt_f32_f16_e32 v61, v60
	v_add_f32_e32 v56, v57, v56
	v_fmac_f32_e32 v18, v56, v33
	ds_read2_b32 v[56:57], v45 offset0:128 offset1:129
	v_cvt_f32_f16_sdwa v60, v60 dst_sel:DWORD dst_unused:UNUSED_PAD src0_sel:WORD_1
	v_add_f32_e32 v60, v61, v60
	s_waitcnt lgkmcnt(0)
	v_pk_fma_f16 v58, v3, v56, 0
	v_fmac_f32_e32 v17, v60, v34
	v_pk_fma_f16 v60, v2, v57, v58
	ds_read2_b32 v[58:59], v45 offset0:130 offset1:131
	s_waitcnt lgkmcnt(0)
	v_pk_fma_f16 v60, v0, v58, v60
	v_pk_fma_f16 v60, v1, v59, v60
	v_cvt_f32_f16_e32 v61, v60
	v_cvt_f32_f16_sdwa v60, v60 dst_sel:DWORD dst_unused:UNUSED_PAD src0_sel:WORD_1
	v_add_f32_e32 v60, v61, v60
	v_fmac_f32_e32 v19, v60, v36
	v_pk_fma_f16 v60, v7, v56, 0
	v_pk_fma_f16 v60, v8, v57, v60
	v_pk_fma_f16 v60, v46, v58, v60
	v_pk_fma_f16 v60, v47, v59, v60
	v_cvt_f32_f16_e32 v61, v60
	v_cvt_f32_f16_sdwa v60, v60 dst_sel:DWORD dst_unused:UNUSED_PAD src0_sel:WORD_1
	v_add_f32_e32 v60, v61, v60
	v_fmac_f32_e32 v20, v60, v35
	v_pk_fma_f16 v60, v48, v56, 0
	v_pk_fma_f16 v56, v52, v56, 0
	;; [unrolled: 1-line block ×6, first 2 shown]
	v_cvt_f32_f16_e32 v57, v56
	v_cvt_f32_f16_sdwa v56, v56 dst_sel:DWORD dst_unused:UNUSED_PAD src0_sel:WORD_1
	v_pk_fma_f16 v60, v50, v58, v60
	v_pk_fma_f16 v60, v51, v59, v60
	v_cvt_f32_f16_e32 v61, v60
	v_add_f32_e32 v56, v57, v56
	v_fmac_f32_e32 v22, v56, v33
	ds_read2_b32 v[56:57], v45 offset0:192 offset1:193
	v_cvt_f32_f16_sdwa v60, v60 dst_sel:DWORD dst_unused:UNUSED_PAD src0_sel:WORD_1
	v_add_f32_e32 v60, v61, v60
	s_waitcnt lgkmcnt(0)
	v_pk_fma_f16 v58, v3, v56, 0
	v_fmac_f32_e32 v21, v60, v34
	v_pk_fma_f16 v60, v2, v57, v58
	ds_read2_b32 v[58:59], v45 offset0:194 offset1:195
	s_waitcnt lgkmcnt(0)
	v_pk_fma_f16 v60, v0, v58, v60
	v_pk_fma_f16 v60, v1, v59, v60
	v_cvt_f32_f16_e32 v61, v60
	v_cvt_f32_f16_sdwa v60, v60 dst_sel:DWORD dst_unused:UNUSED_PAD src0_sel:WORD_1
	v_add_f32_e32 v60, v61, v60
	v_fmac_f32_e32 v23, v60, v36
	v_pk_fma_f16 v60, v7, v56, 0
	v_pk_fma_f16 v60, v8, v57, v60
	;; [unrolled: 1-line block ×4, first 2 shown]
	v_cvt_f32_f16_e32 v61, v60
	v_cvt_f32_f16_sdwa v60, v60 dst_sel:DWORD dst_unused:UNUSED_PAD src0_sel:WORD_1
	v_add_f32_e32 v60, v61, v60
	v_fmac_f32_e32 v24, v60, v35
	v_pk_fma_f16 v60, v48, v56, 0
	v_pk_fma_f16 v56, v52, v56, 0
	;; [unrolled: 1-line block ×6, first 2 shown]
	v_cvt_f32_f16_e32 v57, v56
	v_cvt_f32_f16_sdwa v56, v56 dst_sel:DWORD dst_unused:UNUSED_PAD src0_sel:WORD_1
	v_pk_fma_f16 v60, v50, v58, v60
	v_pk_fma_f16 v60, v51, v59, v60
	v_cvt_f32_f16_e32 v61, v60
	v_add_f32_e32 v56, v57, v56
	v_fmac_f32_e32 v28, v56, v33
	v_mov_b32_e32 v56, s9
	ds_read2_b32 v[56:57], v56 offset1:1
	s_add_i32 s9, s6, 0x408
	v_cvt_f32_f16_sdwa v60, v60 dst_sel:DWORD dst_unused:UNUSED_PAD src0_sel:WORD_1
	s_waitcnt lgkmcnt(0)
	v_pk_fma_f16 v3, v3, v56, 0
	v_pk_fma_f16 v58, v2, v57, v3
	v_mov_b32_e32 v2, s9
	ds_read2_b32 v[2:3], v2 offset1:1
	v_add_f32_e32 v60, v61, v60
	v_fmac_f32_e32 v27, v60, v34
	s_add_i32 s9, s6, 0x410
	s_waitcnt lgkmcnt(0)
	v_pk_fma_f16 v0, v0, v2, v58
	v_pk_fma_f16 v0, v1, v3, v0
	v_cvt_f32_f16_e32 v1, v0
	v_cvt_f32_f16_sdwa v0, v0 dst_sel:DWORD dst_unused:UNUSED_PAD src0_sel:WORD_1
	v_add_f32_e32 v0, v1, v0
	v_fmac_f32_e32 v29, v0, v36
	v_pk_fma_f16 v0, v7, v56, 0
	v_pk_fma_f16 v0, v8, v57, v0
	;; [unrolled: 1-line block ×4, first 2 shown]
	v_cvt_f32_f16_e32 v1, v0
	v_cvt_f32_f16_sdwa v0, v0 dst_sel:DWORD dst_unused:UNUSED_PAD src0_sel:WORD_1
	v_mov_b32_e32 v46, s3
	v_add_f32_e32 v0, v1, v0
	v_fmac_f32_e32 v30, v0, v35
	v_pk_fma_f16 v0, v48, v56, 0
	v_pk_fma_f16 v0, v49, v57, v0
	;; [unrolled: 1-line block ×4, first 2 shown]
	v_cvt_f32_f16_e32 v1, v0
	v_cvt_f32_f16_sdwa v0, v0 dst_sel:DWORD dst_unused:UNUSED_PAD src0_sel:WORD_1
	v_add_f32_e32 v0, v1, v0
	v_fmac_f32_e32 v31, v0, v34
	v_pk_fma_f16 v0, v52, v56, 0
	v_pk_fma_f16 v0, v53, v57, v0
	;; [unrolled: 1-line block ×4, first 2 shown]
	v_cvt_f32_f16_e32 v1, v0
	v_cvt_f32_f16_sdwa v0, v0 dst_sel:DWORD dst_unused:UNUSED_PAD src0_sel:WORD_1
	v_add_f32_e32 v0, v1, v0
	v_fmac_f32_e32 v32, v0, v33
	v_add_co_u32_e32 v0, vcc, s2, v5
	v_addc_co_u32_e32 v1, vcc, v6, v46, vcc
	global_load_dwordx4 v[47:50], v[0:1], off
	s_waitcnt vmcnt(0)
	v_lshrrev_b32_e32 v7, 8, v47
	v_and_b32_e32 v2, 0xf000f, v47
	v_and_b32_e32 v3, 0xf000f0, v47
	;; [unrolled: 1-line block ×4, first 2 shown]
	v_or_b32_e32 v2, 0x64006400, v2
	v_or_b32_e32 v3, 0x64006400, v3
	;; [unrolled: 1-line block ×4, first 2 shown]
	v_pk_add_f16 v62, v37, v2
	v_pk_fma_f16 v61, v3, s19, v41 op_sel_hi:[1,0,1]
	v_pk_fma_f16 v60, v7, s19, v41 op_sel_hi:[1,0,1]
	v_and_b32_e32 v2, 0xf000f, v48
	v_and_b32_e32 v3, 0xf000f0, v48
	v_lshrrev_b32_e32 v7, 8, v48
	v_pk_add_f16 v59, v37, v8
	v_or_b32_e32 v2, 0x64006400, v2
	v_or_b32_e32 v3, 0x64006400, v3
	v_and_b32_e32 v8, 0xf000f, v7
	v_and_b32_e32 v7, 0xf000f0, v7
	v_or_b32_e32 v7, 0x64006400, v7
	v_pk_add_f16 v55, v39, v2
	v_pk_fma_f16 v56, v3, s19, v44 op_sel_hi:[1,0,1]
	v_and_b32_e32 v2, 0xf000f, v49
	v_and_b32_e32 v3, 0xf000f0, v49
	v_or_b32_e32 v8, 0x64006400, v8
	v_pk_fma_f16 v58, v7, s19, v44 op_sel_hi:[1,0,1]
	v_or_b32_e32 v2, 0x64006400, v2
	v_or_b32_e32 v3, 0x64006400, v3
	v_lshrrev_b32_e32 v7, 8, v49
	v_pk_add_f16 v57, v39, v8
	v_and_b32_e32 v8, 0xf000f, v7
	v_and_b32_e32 v7, 0xf000f0, v7
	v_pk_add_f16 v51, v38, v2
	v_pk_fma_f16 v52, v3, s19, v43 op_sel_hi:[1,0,1]
	v_and_b32_e32 v2, 0xf000f, v50
	v_and_b32_e32 v3, 0xf000f0, v50
	v_or_b32_e32 v7, 0x64006400, v7
	v_or_b32_e32 v2, 0x64006400, v2
	;; [unrolled: 1-line block ×3, first 2 shown]
	v_pk_fma_f16 v54, v7, s19, v43 op_sel_hi:[1,0,1]
	v_lshrrev_b32_e32 v7, 8, v50
	v_pk_add_f16 v49, v40, v2
	v_pk_fma_f16 v50, v3, s19, v42 op_sel_hi:[1,0,1]
	ds_read2_b32 v[2:3], v45 offset0:4 offset1:5
	v_or_b32_e32 v8, 0x64006400, v8
	v_pk_add_f16 v53, v38, v8
	v_and_b32_e32 v8, 0xf000f, v7
	v_and_b32_e32 v7, 0xf000f0, v7
	v_or_b32_e32 v7, 0x64006400, v7
	v_or_b32_e32 v8, 0x64006400, v8
	v_pk_fma_f16 v48, v7, s19, v42 op_sel_hi:[1,0,1]
	s_waitcnt lgkmcnt(0)
	v_pk_fma_f16 v7, v62, v2, 0
	v_pk_add_f16 v47, v40, v8
	v_pk_fma_f16 v63, v61, v3, v7
	ds_read2_b32 v[7:8], v45 offset0:6 offset1:7
	s_waitcnt lgkmcnt(0)
	v_pk_fma_f16 v63, v59, v7, v63
	v_pk_fma_f16 v63, v60, v8, v63
	v_cvt_f32_f16_e32 v9, v63
	v_cvt_f32_f16_sdwa v63, v63 dst_sel:DWORD dst_unused:UNUSED_PAD src0_sel:WORD_1
	v_add_f32_e32 v9, v9, v63
	v_fmac_f32_e32 v11, v9, v36
	v_pk_fma_f16 v9, v55, v2, 0
	v_pk_fma_f16 v9, v56, v3, v9
	v_pk_fma_f16 v9, v57, v7, v9
	v_pk_fma_f16 v9, v58, v8, v9
	v_cvt_f32_f16_e32 v63, v9
	v_cvt_f32_f16_sdwa v9, v9 dst_sel:DWORD dst_unused:UNUSED_PAD src0_sel:WORD_1
	v_add_f32_e32 v9, v63, v9
	v_fmac_f32_e32 v12, v9, v35
	v_pk_fma_f16 v9, v51, v2, 0
	v_pk_fma_f16 v2, v49, v2, 0
	v_pk_fma_f16 v2, v50, v3, v2
	v_pk_fma_f16 v2, v47, v7, v2
	v_pk_fma_f16 v2, v48, v8, v2
	v_pk_fma_f16 v9, v52, v3, v9
	v_cvt_f32_f16_e32 v3, v2
	v_cvt_f32_f16_sdwa v2, v2 dst_sel:DWORD dst_unused:UNUSED_PAD src0_sel:WORD_1
	v_pk_fma_f16 v9, v53, v7, v9
	v_pk_fma_f16 v9, v54, v8, v9
	v_cvt_f32_f16_e32 v63, v9
	v_add_f32_e32 v2, v3, v2
	v_fmac_f32_e32 v14, v2, v33
	ds_read2_b32 v[2:3], v45 offset0:68 offset1:69
	v_cvt_f32_f16_sdwa v9, v9 dst_sel:DWORD dst_unused:UNUSED_PAD src0_sel:WORD_1
	v_add_f32_e32 v9, v63, v9
	s_waitcnt lgkmcnt(0)
	v_pk_fma_f16 v7, v62, v2, 0
	v_fmac_f32_e32 v13, v9, v34
	v_pk_fma_f16 v9, v61, v3, v7
	ds_read2_b32 v[7:8], v45 offset0:70 offset1:71
	s_waitcnt lgkmcnt(0)
	v_pk_fma_f16 v9, v59, v7, v9
	v_pk_fma_f16 v9, v60, v8, v9
	v_cvt_f32_f16_e32 v63, v9
	v_cvt_f32_f16_sdwa v9, v9 dst_sel:DWORD dst_unused:UNUSED_PAD src0_sel:WORD_1
	v_add_f32_e32 v9, v63, v9
	v_fmac_f32_e32 v15, v9, v36
	v_pk_fma_f16 v9, v55, v2, 0
	v_pk_fma_f16 v9, v56, v3, v9
	v_pk_fma_f16 v9, v57, v7, v9
	v_pk_fma_f16 v9, v58, v8, v9
	v_cvt_f32_f16_e32 v63, v9
	v_cvt_f32_f16_sdwa v9, v9 dst_sel:DWORD dst_unused:UNUSED_PAD src0_sel:WORD_1
	v_add_f32_e32 v9, v63, v9
	v_fmac_f32_e32 v16, v9, v35
	v_pk_fma_f16 v9, v51, v2, 0
	v_pk_fma_f16 v2, v49, v2, 0
	v_pk_fma_f16 v2, v50, v3, v2
	v_pk_fma_f16 v2, v47, v7, v2
	v_pk_fma_f16 v2, v48, v8, v2
	v_pk_fma_f16 v9, v52, v3, v9
	v_cvt_f32_f16_e32 v3, v2
	v_cvt_f32_f16_sdwa v2, v2 dst_sel:DWORD dst_unused:UNUSED_PAD src0_sel:WORD_1
	v_pk_fma_f16 v9, v53, v7, v9
	v_pk_fma_f16 v9, v54, v8, v9
	v_cvt_f32_f16_e32 v63, v9
	v_add_f32_e32 v2, v3, v2
	v_fmac_f32_e32 v18, v2, v33
	ds_read2_b32 v[2:3], v45 offset0:132 offset1:133
	v_cvt_f32_f16_sdwa v9, v9 dst_sel:DWORD dst_unused:UNUSED_PAD src0_sel:WORD_1
	v_add_f32_e32 v9, v63, v9
	s_waitcnt lgkmcnt(0)
	v_pk_fma_f16 v7, v62, v2, 0
	v_fmac_f32_e32 v17, v9, v34
	;; [unrolled: 36-line block ×3, first 2 shown]
	v_pk_fma_f16 v9, v61, v3, v7
	ds_read2_b32 v[7:8], v45 offset0:198 offset1:199
	s_waitcnt lgkmcnt(0)
	v_pk_fma_f16 v9, v59, v7, v9
	v_pk_fma_f16 v9, v60, v8, v9
	v_cvt_f32_f16_e32 v63, v9
	v_cvt_f32_f16_sdwa v9, v9 dst_sel:DWORD dst_unused:UNUSED_PAD src0_sel:WORD_1
	v_add_f32_e32 v9, v63, v9
	v_fmac_f32_e32 v23, v9, v36
	v_pk_fma_f16 v9, v55, v2, 0
	v_pk_fma_f16 v9, v56, v3, v9
	;; [unrolled: 1-line block ×4, first 2 shown]
	v_cvt_f32_f16_e32 v63, v9
	v_cvt_f32_f16_sdwa v9, v9 dst_sel:DWORD dst_unused:UNUSED_PAD src0_sel:WORD_1
	v_add_f32_e32 v9, v63, v9
	v_fmac_f32_e32 v24, v9, v35
	v_pk_fma_f16 v9, v51, v2, 0
	v_pk_fma_f16 v2, v49, v2, 0
	;; [unrolled: 1-line block ×6, first 2 shown]
	v_cvt_f32_f16_e32 v3, v2
	v_cvt_f32_f16_sdwa v2, v2 dst_sel:DWORD dst_unused:UNUSED_PAD src0_sel:WORD_1
	v_pk_fma_f16 v9, v53, v7, v9
	v_pk_fma_f16 v9, v54, v8, v9
	v_cvt_f32_f16_e32 v63, v9
	v_add_f32_e32 v2, v3, v2
	v_fmac_f32_e32 v28, v2, v33
	v_mov_b32_e32 v2, s9
	ds_read2_b32 v[7:8], v2 offset1:1
	v_cvt_f32_f16_sdwa v9, v9 dst_sel:DWORD dst_unused:UNUSED_PAD src0_sel:WORD_1
	s_add_i32 s9, s6, 0x418
	v_add_f32_e32 v9, v63, v9
	s_waitcnt lgkmcnt(0)
	v_pk_fma_f16 v2, v62, v7, 0
	v_fmac_f32_e32 v27, v9, v34
	v_pk_fma_f16 v9, v61, v8, v2
	v_mov_b32_e32 v2, s9
	ds_read2_b32 v[2:3], v2 offset1:1
	ds_read2_b32 v[61:62], v45 offset0:10 offset1:11
	s_add_i32 s9, s6, 0x420
	s_waitcnt lgkmcnt(1)
	v_pk_fma_f16 v9, v59, v2, v9
	v_pk_fma_f16 v9, v60, v3, v9
	v_cvt_f32_f16_e32 v59, v9
	v_cvt_f32_f16_sdwa v9, v9 dst_sel:DWORD dst_unused:UNUSED_PAD src0_sel:WORD_1
	v_add_f32_e32 v9, v59, v9
	v_fmac_f32_e32 v29, v9, v36
	v_pk_fma_f16 v9, v55, v7, 0
	v_pk_fma_f16 v9, v56, v8, v9
	;; [unrolled: 1-line block ×4, first 2 shown]
	v_cvt_f32_f16_e32 v55, v9
	v_cvt_f32_f16_sdwa v9, v9 dst_sel:DWORD dst_unused:UNUSED_PAD src0_sel:WORD_1
	ds_read2_b32 v[59:60], v45 offset0:8 offset1:9
	v_add_f32_e32 v9, v55, v9
	v_fmac_f32_e32 v30, v9, v35
	v_pk_fma_f16 v9, v51, v7, 0
	v_pk_fma_f16 v7, v49, v7, 0
	;; [unrolled: 1-line block ×8, first 2 shown]
	v_cvt_f32_f16_e32 v3, v2
	v_cvt_f32_f16_sdwa v2, v2 dst_sel:DWORD dst_unused:UNUSED_PAD src0_sel:WORD_1
	v_add_co_u32_e32 v7, vcc, s2, v0
	v_addc_co_u32_e32 v8, vcc, v1, v46, vcc
	v_add_f32_e32 v2, v3, v2
	v_fmac_f32_e32 v32, v2, v33
	global_load_dwordx4 v[0:3], v[7:8], off
	v_cvt_f32_f16_e32 v51, v9
	v_cvt_f32_f16_sdwa v9, v9 dst_sel:DWORD dst_unused:UNUSED_PAD src0_sel:WORD_1
	v_add_f32_e32 v9, v51, v9
	v_fmac_f32_e32 v31, v9, v34
	s_waitcnt vmcnt(0)
	v_and_b32_e32 v9, 0xf000f, v0
	v_and_b32_e32 v47, 0xf000f0, v0
	v_lshrrev_b32_e32 v0, 8, v0
	v_and_b32_e32 v48, 0xf000f, v0
	v_or_b32_e32 v9, 0x64006400, v9
	v_or_b32_e32 v50, 0x64006400, v48
	v_and_b32_e32 v0, 0xf000f0, v0
	v_or_b32_e32 v47, 0x64006400, v47
	v_or_b32_e32 v51, 0x64006400, v0
	v_pk_add_f16 v49, v37, v9
	v_pk_add_f16 v0, v37, v50
	v_and_b32_e32 v9, 0xf000f, v1
	v_and_b32_e32 v50, 0xf000f0, v1
	v_lshrrev_b32_e32 v1, 8, v1
	v_pk_fma_f16 v48, v47, s19, v41 op_sel_hi:[1,0,1]
	v_pk_fma_f16 v47, v51, s19, v41 op_sel_hi:[1,0,1]
	v_or_b32_e32 v9, 0x64006400, v9
	v_and_b32_e32 v51, 0xf000f, v1
	v_and_b32_e32 v1, 0xf000f0, v1
	v_or_b32_e32 v52, 0x64006400, v1
	v_pk_add_f16 v1, v39, v9
	v_and_b32_e32 v9, 0xf000f, v2
	v_and_b32_e32 v53, 0xf000f0, v2
	v_lshrrev_b32_e32 v2, 8, v2
	v_or_b32_e32 v9, 0x64006400, v9
	v_and_b32_e32 v54, 0xf000f, v2
	v_and_b32_e32 v2, 0xf000f0, v2
	v_or_b32_e32 v55, 0x64006400, v2
	v_pk_add_f16 v2, v38, v9
	v_and_b32_e32 v9, 0xf000f, v3
	v_and_b32_e32 v56, 0xf000f0, v3
	v_lshrrev_b32_e32 v3, 8, v3
	v_or_b32_e32 v9, 0x64006400, v9
	v_and_b32_e32 v57, 0xf000f, v3
	v_and_b32_e32 v3, 0xf000f0, v3
	v_or_b32_e32 v58, 0x64006400, v3
	v_pk_add_f16 v3, v40, v9
	s_waitcnt lgkmcnt(0)
	v_pk_fma_f16 v9, v49, v59, 0
	v_pk_fma_f16 v9, v48, v60, v9
	;; [unrolled: 1-line block ×4, first 2 shown]
	v_cvt_f32_f16_e32 v63, v9
	v_cvt_f32_f16_sdwa v9, v9 dst_sel:DWORD dst_unused:UNUSED_PAD src0_sel:WORD_1
	v_or_b32_e32 v50, 0x64006400, v50
	v_or_b32_e32 v51, 0x64006400, v51
	v_pk_fma_f16 v50, v50, s19, v44 op_sel_hi:[1,0,1]
	v_add_f32_e32 v9, v63, v9
	v_fmac_f32_e32 v11, v9, v36
	v_pk_fma_f16 v9, v1, v59, 0
	v_pk_add_f16 v51, v39, v51
	v_pk_fma_f16 v9, v50, v60, v9
	v_pk_fma_f16 v52, v52, s19, v44 op_sel_hi:[1,0,1]
	v_pk_fma_f16 v9, v51, v61, v9
	v_pk_fma_f16 v9, v52, v62, v9
	v_cvt_f32_f16_e32 v63, v9
	v_cvt_f32_f16_sdwa v9, v9 dst_sel:DWORD dst_unused:UNUSED_PAD src0_sel:WORD_1
	v_or_b32_e32 v53, 0x64006400, v53
	v_or_b32_e32 v54, 0x64006400, v54
	v_pk_fma_f16 v53, v53, s19, v43 op_sel_hi:[1,0,1]
	v_add_f32_e32 v9, v63, v9
	v_fmac_f32_e32 v12, v9, v35
	v_pk_fma_f16 v9, v2, v59, 0
	v_pk_add_f16 v54, v38, v54
	v_pk_fma_f16 v9, v53, v60, v9
	v_pk_fma_f16 v55, v55, s19, v43 op_sel_hi:[1,0,1]
	v_pk_fma_f16 v9, v54, v61, v9
	v_pk_fma_f16 v9, v55, v62, v9
	v_cvt_f32_f16_e32 v63, v9
	v_cvt_f32_f16_sdwa v9, v9 dst_sel:DWORD dst_unused:UNUSED_PAD src0_sel:WORD_1
	v_or_b32_e32 v56, 0x64006400, v56
	v_or_b32_e32 v57, 0x64006400, v57
	v_pk_fma_f16 v56, v56, s19, v42 op_sel_hi:[1,0,1]
	v_add_f32_e32 v9, v63, v9
	v_fmac_f32_e32 v13, v9, v34
	v_pk_fma_f16 v9, v3, v59, 0
	v_pk_add_f16 v57, v40, v57
	v_pk_fma_f16 v9, v56, v60, v9
	v_pk_fma_f16 v58, v58, s19, v42 op_sel_hi:[1,0,1]
	v_pk_fma_f16 v9, v57, v61, v9
	v_pk_fma_f16 v9, v58, v62, v9
	v_cvt_f32_f16_e32 v59, v9
	v_cvt_f32_f16_sdwa v9, v9 dst_sel:DWORD dst_unused:UNUSED_PAD src0_sel:WORD_1
	ds_read2_b32 v[61:62], v45 offset0:74 offset1:75
	v_add_f32_e32 v9, v59, v9
	ds_read2_b32 v[59:60], v45 offset0:72 offset1:73
	v_fmac_f32_e32 v14, v9, v33
	s_waitcnt lgkmcnt(0)
	v_pk_fma_f16 v9, v49, v59, 0
	v_pk_fma_f16 v9, v48, v60, v9
	v_pk_fma_f16 v9, v0, v61, v9
	v_pk_fma_f16 v9, v47, v62, v9
	v_cvt_f32_f16_e32 v63, v9
	v_cvt_f32_f16_sdwa v9, v9 dst_sel:DWORD dst_unused:UNUSED_PAD src0_sel:WORD_1
	v_add_f32_e32 v9, v63, v9
	v_fmac_f32_e32 v15, v9, v36
	v_pk_fma_f16 v9, v1, v59, 0
	v_pk_fma_f16 v9, v50, v60, v9
	v_pk_fma_f16 v9, v51, v61, v9
	v_pk_fma_f16 v9, v52, v62, v9
	v_cvt_f32_f16_e32 v63, v9
	v_cvt_f32_f16_sdwa v9, v9 dst_sel:DWORD dst_unused:UNUSED_PAD src0_sel:WORD_1
	v_add_f32_e32 v9, v63, v9
	v_fmac_f32_e32 v16, v9, v35
	v_pk_fma_f16 v9, v2, v59, 0
	v_pk_fma_f16 v9, v53, v60, v9
	v_pk_fma_f16 v9, v54, v61, v9
	v_pk_fma_f16 v9, v55, v62, v9
	v_cvt_f32_f16_e32 v63, v9
	v_cvt_f32_f16_sdwa v9, v9 dst_sel:DWORD dst_unused:UNUSED_PAD src0_sel:WORD_1
	v_add_f32_e32 v9, v63, v9
	v_fmac_f32_e32 v17, v9, v34
	v_pk_fma_f16 v9, v3, v59, 0
	v_pk_fma_f16 v9, v56, v60, v9
	v_pk_fma_f16 v9, v57, v61, v9
	v_pk_fma_f16 v9, v58, v62, v9
	v_cvt_f32_f16_e32 v59, v9
	v_cvt_f32_f16_sdwa v9, v9 dst_sel:DWORD dst_unused:UNUSED_PAD src0_sel:WORD_1
	ds_read2_b32 v[61:62], v45 offset0:138 offset1:139
	v_add_f32_e32 v9, v59, v9
	ds_read2_b32 v[59:60], v45 offset0:136 offset1:137
	v_fmac_f32_e32 v18, v9, v33
	s_waitcnt lgkmcnt(0)
	v_pk_fma_f16 v9, v49, v59, 0
	v_pk_fma_f16 v9, v48, v60, v9
	v_pk_fma_f16 v9, v0, v61, v9
	v_pk_fma_f16 v9, v47, v62, v9
	v_cvt_f32_f16_e32 v63, v9
	v_cvt_f32_f16_sdwa v9, v9 dst_sel:DWORD dst_unused:UNUSED_PAD src0_sel:WORD_1
	v_add_f32_e32 v9, v63, v9
	v_fmac_f32_e32 v19, v9, v36
	v_pk_fma_f16 v9, v1, v59, 0
	v_pk_fma_f16 v9, v50, v60, v9
	v_pk_fma_f16 v9, v51, v61, v9
	v_pk_fma_f16 v9, v52, v62, v9
	v_cvt_f32_f16_e32 v63, v9
	v_cvt_f32_f16_sdwa v9, v9 dst_sel:DWORD dst_unused:UNUSED_PAD src0_sel:WORD_1
	v_add_f32_e32 v9, v63, v9
	v_fmac_f32_e32 v20, v9, v35
	v_pk_fma_f16 v9, v2, v59, 0
	v_pk_fma_f16 v9, v53, v60, v9
	v_pk_fma_f16 v9, v54, v61, v9
	v_pk_fma_f16 v9, v55, v62, v9
	v_cvt_f32_f16_e32 v63, v9
	v_cvt_f32_f16_sdwa v9, v9 dst_sel:DWORD dst_unused:UNUSED_PAD src0_sel:WORD_1
	v_add_f32_e32 v9, v63, v9
	v_fmac_f32_e32 v21, v9, v34
	v_pk_fma_f16 v9, v3, v59, 0
	v_pk_fma_f16 v9, v56, v60, v9
	v_pk_fma_f16 v9, v57, v61, v9
	v_pk_fma_f16 v9, v58, v62, v9
	;; [unrolled: 35-line block ×3, first 2 shown]
	v_cvt_f32_f16_e32 v59, v9
	v_cvt_f32_f16_sdwa v9, v9 dst_sel:DWORD dst_unused:UNUSED_PAD src0_sel:WORD_1
	v_add_f32_e32 v9, v59, v9
	v_fmac_f32_e32 v28, v9, v33
	v_mov_b32_e32 v9, s9
	ds_read2_b32 v[59:60], v9 offset1:1
	s_add_i32 s9, s6, 0x428
	s_waitcnt lgkmcnt(0)
	v_pk_fma_f16 v9, v49, v59, 0
	v_pk_fma_f16 v9, v48, v60, v9
	v_mov_b32_e32 v48, s9
	ds_read2_b32 v[48:49], v48 offset1:1
	s_add_i32 s9, s6, 0x430
	s_waitcnt lgkmcnt(0)
	v_pk_fma_f16 v0, v0, v48, v9
	v_pk_fma_f16 v0, v47, v49, v0
	v_cvt_f32_f16_e32 v9, v0
	v_cvt_f32_f16_sdwa v0, v0 dst_sel:DWORD dst_unused:UNUSED_PAD src0_sel:WORD_1
	v_add_f32_e32 v0, v9, v0
	v_fmac_f32_e32 v29, v0, v36
	v_pk_fma_f16 v0, v1, v59, 0
	v_pk_fma_f16 v0, v50, v60, v0
	v_pk_fma_f16 v0, v51, v48, v0
	v_pk_fma_f16 v0, v52, v49, v0
	v_cvt_f32_f16_e32 v1, v0
	v_cvt_f32_f16_sdwa v0, v0 dst_sel:DWORD dst_unused:UNUSED_PAD src0_sel:WORD_1
	v_add_f32_e32 v0, v1, v0
	v_fmac_f32_e32 v30, v0, v35
	v_pk_fma_f16 v0, v2, v59, 0
	v_pk_fma_f16 v0, v53, v60, v0
	;; [unrolled: 8-line block ×3, first 2 shown]
	v_pk_fma_f16 v0, v57, v48, v0
	v_pk_fma_f16 v0, v58, v49, v0
	v_cvt_f32_f16_e32 v1, v0
	v_cvt_f32_f16_sdwa v0, v0 dst_sel:DWORD dst_unused:UNUSED_PAD src0_sel:WORD_1
	v_add_f32_e32 v0, v1, v0
	v_fmac_f32_e32 v32, v0, v33
	v_add_co_u32_e32 v0, vcc, s2, v7
	v_addc_co_u32_e32 v1, vcc, v8, v46, vcc
	global_load_dwordx4 v[0:3], v[0:1], off
	v_add_co_u32_e32 v5, vcc, s0, v5
	s_waitcnt vmcnt(0)
	v_and_b32_e32 v7, 0xf000f, v0
	v_and_b32_e32 v8, 0xf000f0, v0
	v_lshrrev_b32_e32 v0, 8, v0
	v_and_b32_e32 v9, 0xf000f, v0
	v_and_b32_e32 v0, 0xf000f0, v0
	v_or_b32_e32 v7, 0x64006400, v7
	v_or_b32_e32 v0, 0x64006400, v0
	;; [unrolled: 1-line block ×3, first 2 shown]
	v_pk_add_f16 v59, v37, v7
	v_pk_fma_f16 v57, v0, s19, v41 op_sel_hi:[1,0,1]
	v_and_b32_e32 v0, 0xf000f, v1
	v_and_b32_e32 v7, 0xf000f0, v1
	v_lshrrev_b32_e32 v1, 8, v1
	v_pk_fma_f16 v58, v8, s19, v41 op_sel_hi:[1,0,1]
	v_and_b32_e32 v8, 0xf000f, v1
	v_and_b32_e32 v1, 0xf000f0, v1
	v_or_b32_e32 v0, 0x64006400, v0
	v_or_b32_e32 v1, 0x64006400, v1
	v_pk_add_f16 v52, v39, v0
	v_pk_fma_f16 v55, v1, s19, v44 op_sel_hi:[1,0,1]
	v_and_b32_e32 v0, 0xf000f, v2
	v_and_b32_e32 v1, 0xf000f0, v2
	v_or_b32_e32 v0, 0x64006400, v0
	v_or_b32_e32 v1, 0x64006400, v1
	v_pk_add_f16 v48, v38, v0
	v_pk_fma_f16 v49, v1, s19, v43 op_sel_hi:[1,0,1]
	v_and_b32_e32 v0, 0xf000f, v3
	v_and_b32_e32 v1, 0xf000f0, v3
	v_or_b32_e32 v7, 0x64006400, v7
	v_lshrrev_b32_e32 v2, 8, v2
	v_or_b32_e32 v0, 0x64006400, v0
	v_or_b32_e32 v1, 0x64006400, v1
	v_pk_fma_f16 v53, v7, s19, v44 op_sel_hi:[1,0,1]
	v_and_b32_e32 v7, 0xf000f, v2
	v_and_b32_e32 v2, 0xf000f0, v2
	v_pk_add_f16 v46, v40, v0
	v_pk_fma_f16 v47, v1, s19, v42 op_sel_hi:[1,0,1]
	ds_read2_b32 v[0:1], v45 offset0:12 offset1:13
	v_or_b32_e32 v2, 0x64006400, v2
	v_pk_fma_f16 v51, v2, s19, v43 op_sel_hi:[1,0,1]
	v_lshrrev_b32_e32 v2, 8, v3
	v_and_b32_e32 v3, 0xf000f, v2
	v_and_b32_e32 v2, 0xf000f0, v2
	v_or_b32_e32 v8, 0x64006400, v8
	v_or_b32_e32 v2, 0x64006400, v2
	;; [unrolled: 1-line block ×3, first 2 shown]
	v_pk_add_f16 v54, v39, v8
	v_or_b32_e32 v7, 0x64006400, v7
	v_or_b32_e32 v3, 0x64006400, v3
	v_pk_fma_f16 v8, v2, s19, v42 op_sel_hi:[1,0,1]
	s_waitcnt lgkmcnt(0)
	v_pk_fma_f16 v2, v59, v0, 0
	v_pk_add_f16 v56, v37, v9
	v_pk_add_f16 v50, v38, v7
	;; [unrolled: 1-line block ×3, first 2 shown]
	v_pk_fma_f16 v9, v58, v1, v2
	ds_read2_b32 v[2:3], v45 offset0:14 offset1:15
	s_waitcnt lgkmcnt(0)
	v_pk_fma_f16 v9, v56, v2, v9
	v_pk_fma_f16 v9, v57, v3, v9
	v_cvt_f32_f16_e32 v60, v9
	v_cvt_f32_f16_sdwa v9, v9 dst_sel:DWORD dst_unused:UNUSED_PAD src0_sel:WORD_1
	v_add_f32_e32 v9, v60, v9
	v_fmac_f32_e32 v11, v9, v36
	v_pk_fma_f16 v9, v52, v0, 0
	v_pk_fma_f16 v9, v53, v1, v9
	v_pk_fma_f16 v9, v54, v2, v9
	v_pk_fma_f16 v9, v55, v3, v9
	v_cvt_f32_f16_e32 v60, v9
	v_cvt_f32_f16_sdwa v9, v9 dst_sel:DWORD dst_unused:UNUSED_PAD src0_sel:WORD_1
	v_add_f32_e32 v9, v60, v9
	v_fmac_f32_e32 v12, v9, v35
	v_pk_fma_f16 v9, v48, v0, 0
	v_pk_fma_f16 v0, v46, v0, 0
	;; [unrolled: 1-line block ×6, first 2 shown]
	v_cvt_f32_f16_e32 v1, v0
	v_cvt_f32_f16_sdwa v0, v0 dst_sel:DWORD dst_unused:UNUSED_PAD src0_sel:WORD_1
	v_pk_fma_f16 v9, v50, v2, v9
	v_pk_fma_f16 v9, v51, v3, v9
	v_cvt_f32_f16_e32 v60, v9
	v_add_f32_e32 v0, v1, v0
	v_fmac_f32_e32 v14, v0, v33
	ds_read2_b32 v[0:1], v45 offset0:76 offset1:77
	v_cvt_f32_f16_sdwa v9, v9 dst_sel:DWORD dst_unused:UNUSED_PAD src0_sel:WORD_1
	v_add_f32_e32 v9, v60, v9
	s_waitcnt lgkmcnt(0)
	v_pk_fma_f16 v2, v59, v0, 0
	v_fmac_f32_e32 v13, v9, v34
	v_pk_fma_f16 v9, v58, v1, v2
	ds_read2_b32 v[2:3], v45 offset0:78 offset1:79
	s_waitcnt lgkmcnt(0)
	v_pk_fma_f16 v9, v56, v2, v9
	v_pk_fma_f16 v9, v57, v3, v9
	v_cvt_f32_f16_e32 v60, v9
	v_cvt_f32_f16_sdwa v9, v9 dst_sel:DWORD dst_unused:UNUSED_PAD src0_sel:WORD_1
	v_add_f32_e32 v9, v60, v9
	v_fmac_f32_e32 v15, v9, v36
	v_pk_fma_f16 v9, v52, v0, 0
	v_pk_fma_f16 v9, v53, v1, v9
	;; [unrolled: 1-line block ×4, first 2 shown]
	v_cvt_f32_f16_e32 v60, v9
	v_cvt_f32_f16_sdwa v9, v9 dst_sel:DWORD dst_unused:UNUSED_PAD src0_sel:WORD_1
	v_add_f32_e32 v9, v60, v9
	v_fmac_f32_e32 v16, v9, v35
	v_pk_fma_f16 v9, v48, v0, 0
	v_pk_fma_f16 v0, v46, v0, 0
	;; [unrolled: 1-line block ×6, first 2 shown]
	v_cvt_f32_f16_e32 v1, v0
	v_cvt_f32_f16_sdwa v0, v0 dst_sel:DWORD dst_unused:UNUSED_PAD src0_sel:WORD_1
	v_pk_fma_f16 v9, v50, v2, v9
	v_pk_fma_f16 v9, v51, v3, v9
	v_cvt_f32_f16_e32 v60, v9
	v_add_f32_e32 v0, v1, v0
	v_fmac_f32_e32 v18, v0, v33
	ds_read2_b32 v[0:1], v45 offset0:140 offset1:141
	v_cvt_f32_f16_sdwa v9, v9 dst_sel:DWORD dst_unused:UNUSED_PAD src0_sel:WORD_1
	v_add_f32_e32 v9, v60, v9
	s_waitcnt lgkmcnt(0)
	v_pk_fma_f16 v2, v59, v0, 0
	v_fmac_f32_e32 v17, v9, v34
	v_pk_fma_f16 v9, v58, v1, v2
	ds_read2_b32 v[2:3], v45 offset0:142 offset1:143
	s_waitcnt lgkmcnt(0)
	v_pk_fma_f16 v9, v56, v2, v9
	v_pk_fma_f16 v9, v57, v3, v9
	v_cvt_f32_f16_e32 v60, v9
	v_cvt_f32_f16_sdwa v9, v9 dst_sel:DWORD dst_unused:UNUSED_PAD src0_sel:WORD_1
	v_add_f32_e32 v9, v60, v9
	v_fmac_f32_e32 v19, v9, v36
	v_pk_fma_f16 v9, v52, v0, 0
	v_pk_fma_f16 v9, v53, v1, v9
	;; [unrolled: 1-line block ×4, first 2 shown]
	v_cvt_f32_f16_e32 v60, v9
	v_cvt_f32_f16_sdwa v9, v9 dst_sel:DWORD dst_unused:UNUSED_PAD src0_sel:WORD_1
	v_add_f32_e32 v9, v60, v9
	v_fmac_f32_e32 v20, v9, v35
	v_pk_fma_f16 v9, v48, v0, 0
	v_pk_fma_f16 v0, v46, v0, 0
	;; [unrolled: 1-line block ×8, first 2 shown]
	v_cvt_f32_f16_e32 v1, v0
	v_cvt_f32_f16_sdwa v0, v0 dst_sel:DWORD dst_unused:UNUSED_PAD src0_sel:WORD_1
	ds_read2_b32 v[2:3], v45 offset0:204 offset1:205
	v_cvt_f32_f16_e32 v60, v9
	v_cvt_f32_f16_sdwa v9, v9 dst_sel:DWORD dst_unused:UNUSED_PAD src0_sel:WORD_1
	v_add_f32_e32 v0, v1, v0
	v_fmac_f32_e32 v22, v0, v33
	s_waitcnt lgkmcnt(0)
	v_pk_fma_f16 v0, v59, v2, 0
	v_add_f32_e32 v9, v60, v9
	v_pk_fma_f16 v60, v58, v3, v0
	ds_read2_b32 v[0:1], v45 offset0:206 offset1:207
	v_fmac_f32_e32 v21, v9, v34
	s_waitcnt lgkmcnt(0)
	v_pk_fma_f16 v9, v56, v0, v60
	v_pk_fma_f16 v9, v57, v1, v9
	v_cvt_f32_f16_e32 v45, v9
	v_cvt_f32_f16_sdwa v9, v9 dst_sel:DWORD dst_unused:UNUSED_PAD src0_sel:WORD_1
	v_add_f32_e32 v9, v45, v9
	v_fmac_f32_e32 v23, v9, v36
	v_pk_fma_f16 v9, v52, v2, 0
	v_pk_fma_f16 v9, v53, v3, v9
	;; [unrolled: 1-line block ×4, first 2 shown]
	v_cvt_f32_f16_e32 v45, v9
	v_cvt_f32_f16_sdwa v9, v9 dst_sel:DWORD dst_unused:UNUSED_PAD src0_sel:WORD_1
	v_add_f32_e32 v9, v45, v9
	v_fmac_f32_e32 v24, v9, v35
	v_pk_fma_f16 v9, v48, v2, 0
	v_pk_fma_f16 v2, v46, v2, 0
	;; [unrolled: 1-line block ×8, first 2 shown]
	v_cvt_f32_f16_e32 v1, v0
	v_cvt_f32_f16_sdwa v0, v0 dst_sel:DWORD dst_unused:UNUSED_PAD src0_sel:WORD_1
	v_cvt_f32_f16_e32 v45, v9
	v_cvt_f32_f16_sdwa v9, v9 dst_sel:DWORD dst_unused:UNUSED_PAD src0_sel:WORD_1
	v_add_f32_e32 v0, v1, v0
	v_fmac_f32_e32 v28, v0, v33
	v_mov_b32_e32 v0, s9
	ds_read2_b32 v[2:3], v0 offset1:1
	v_add_f32_e32 v9, v45, v9
	s_add_i32 s9, s6, 0x438
	v_fmac_f32_e32 v27, v9, v34
	s_add_i32 s6, s6, 64
	s_waitcnt lgkmcnt(0)
	v_pk_fma_f16 v0, v59, v2, 0
	v_pk_fma_f16 v9, v58, v3, v0
	v_mov_b32_e32 v0, s9
	ds_read2_b32 v[0:1], v0 offset1:1
	s_cmp_ge_i32 s24, s25
	s_waitcnt lgkmcnt(0)
	v_pk_fma_f16 v9, v56, v0, v9
	v_pk_fma_f16 v9, v57, v1, v9
	v_cvt_f32_f16_e32 v45, v9
	v_cvt_f32_f16_sdwa v9, v9 dst_sel:DWORD dst_unused:UNUSED_PAD src0_sel:WORD_1
	v_add_f32_e32 v9, v45, v9
	v_fmac_f32_e32 v29, v9, v36
	v_pk_fma_f16 v9, v52, v2, 0
	v_pk_fma_f16 v9, v53, v3, v9
	;; [unrolled: 1-line block ×4, first 2 shown]
	v_cvt_f32_f16_e32 v45, v9
	v_cvt_f32_f16_sdwa v9, v9 dst_sel:DWORD dst_unused:UNUSED_PAD src0_sel:WORD_1
	v_add_f32_e32 v9, v45, v9
	v_fmac_f32_e32 v30, v9, v35
	v_pk_fma_f16 v9, v48, v2, 0
	v_pk_fma_f16 v2, v46, v2, 0
	;; [unrolled: 1-line block ×8, first 2 shown]
	v_cvt_f32_f16_e32 v1, v0
	v_cvt_f32_f16_sdwa v0, v0 dst_sel:DWORD dst_unused:UNUSED_PAD src0_sel:WORD_1
	v_cvt_f32_f16_e32 v45, v9
	v_cvt_f32_f16_sdwa v9, v9 dst_sel:DWORD dst_unused:UNUSED_PAD src0_sel:WORD_1
	v_add_f32_e32 v0, v1, v0
	v_fmac_f32_e32 v32, v0, v33
	v_add_f32_e32 v9, v45, v9
	v_mov_b32_e32 v0, s1
	v_fmac_f32_e32 v31, v9, v34
	v_addc_co_u32_e32 v6, vcc, v6, v0, vcc
	s_cbranch_scc1 .LBB33_18
.LBB33_16:                              ; =>This Inner Loop Header: Depth=1
	s_cmp_lg_u32 s24, s8
	s_cbranch_scc1 .LBB33_15
; %bb.17:                               ;   in Loop: Header=BB33_16 Depth=1
	buffer_load_dword v0, off, s[28:31], 0  ; 4-byte Folded Reload
	s_add_i32 s5, s5, 1
	s_mul_i32 s9, s5, s16
	s_ashr_i32 s17, s9, 31
	s_lshr_b32 s17, s17, 29
	s_add_i32 s17, s9, s17
	v_add_u32_e32 v2, s9, v4
	s_ashr_i32 s17, s17, 3
	v_ashrrev_i32_e32 v3, 31, v2
	v_lshlrev_b64 v[2:3], 1, v[2:3]
	v_mov_b32_e32 v8, s13
	v_add_co_u32_e32 v2, vcc, s12, v2
	v_addc_co_u32_e32 v3, vcc, v8, v3, vcc
	v_mov_b32_e32 v7, s11
	global_load_dwordx2 v[2:3], v[2:3], off
	s_add_i32 s8, s8, s4
	s_waitcnt vmcnt(1)
	v_add_u32_e32 v0, s17, v0
	v_ashrrev_i32_e32 v1, 31, v0
	v_lshlrev_b64 v[0:1], 2, v[0:1]
	v_add_co_u32_e32 v0, vcc, s10, v0
	v_addc_co_u32_e32 v1, vcc, v7, v1, vcc
	global_load_dword v0, v[0:1], off
	s_waitcnt vmcnt(1)
	v_cvt_f32_f16_e32 v36, v2
	v_cvt_f32_f16_sdwa v35, v2 dst_sel:DWORD dst_unused:UNUSED_PAD src0_sel:WORD_1
	v_cvt_f32_f16_e32 v34, v3
	v_cvt_f32_f16_sdwa v33, v3 dst_sel:DWORD dst_unused:UNUSED_PAD src0_sel:WORD_1
	s_waitcnt vmcnt(0)
	v_lshrrev_b32_e32 v1, v25, v0
	v_bfe_u32 v0, v0, v25, 4
	v_bfe_u32 v2, v1, 4, 4
	;; [unrolled: 1-line block ×4, first 2 shown]
	v_add_u32_e32 v0, v0, v26
	v_cvt_f32_ubyte0_e32 v7, v0
	v_mad_u32_u24 v37, v0, s18, v10
	v_add_u32_e32 v0, v2, v26
	v_add_u32_e32 v2, v3, v26
	;; [unrolled: 1-line block ×3, first 2 shown]
	v_cvt_f16_f32_e32 v3, v7
	v_cvt_f32_ubyte0_e32 v7, v0
	v_mad_u32_u24 v39, v0, s18, v10
	v_cvt_f32_ubyte0_e32 v0, v2
	v_mad_u32_u24 v38, v2, s18, v10
	;; [unrolled: 2-line block ×3, first 2 shown]
	v_cvt_f16_f32_e32 v1, v7
	v_cvt_f16_f32_e32 v0, v0
	;; [unrolled: 1-line block ×3, first 2 shown]
	v_sub_f16_e32 v3, 0xd400, v3
	v_sub_f16_e32 v1, 0xd400, v1
	;; [unrolled: 1-line block ×4, first 2 shown]
	v_mul_u32_u24_e32 v41, 0x10001, v3
	v_mul_u32_u24_e32 v44, 0x10001, v1
	;; [unrolled: 1-line block ×4, first 2 shown]
	s_branch .LBB33_15
.LBB33_18:
	v_cvt_f16_f32_e32 v36, v11
	v_cvt_f16_f32_e32 v3, v12
	;; [unrolled: 1-line block ×20, first 2 shown]
.LBB33_19:
	s_mul_i32 s7, s7, s16
	v_add_u32_e32 v0, s7, v4
	v_ashrrev_i32_e32 v1, 31, v0
	v_lshlrev_b64 v[1:2], 1, v[0:1]
	v_mov_b32_e32 v4, s15
	v_add_co_u32_e32 v1, vcc, s14, v1
	v_addc_co_u32_e32 v2, vcc, v4, v2, vcc
	global_load_dword v4, v[1:2], off
	s_mov_b32 s0, 0x5040100
	v_perm_b32 v18, v3, v36, s0
	s_mov_b64 s[0:1], 0
.LBB33_20:                              ; =>This Inner Loop Header: Depth=1
	s_waitcnt vmcnt(0)
	v_pk_add_f16 v3, v18, v4
	global_atomic_cmpswap v3, v[1:2], v[3:4], off glc
	s_waitcnt vmcnt(0)
	v_cmp_eq_u32_e32 vcc, v4, v3
	s_or_b64 s[0:1], vcc, s[0:1]
	v_mov_b32_e32 v4, v3
	s_andn2_b64 exec, exec, s[0:1]
	s_cbranch_execnz .LBB33_20
; %bb.21:
	s_or_b64 exec, exec, s[0:1]
	global_load_dword v4, v[1:2], off offset:4
	s_mov_b32 s0, 0x5040100
	v_perm_b32 v18, v34, v35, s0
	s_mov_b64 s[0:1], 0
.LBB33_22:                              ; =>This Inner Loop Header: Depth=1
	s_waitcnt vmcnt(0)
	v_pk_add_f16 v3, v18, v4
	global_atomic_cmpswap v3, v[1:2], v[3:4], off offset:4 glc
	s_waitcnt vmcnt(0)
	v_cmp_eq_u32_e32 vcc, v4, v3
	s_or_b64 s[0:1], vcc, s[0:1]
	v_mov_b32_e32 v4, v3
	s_andn2_b64 exec, exec, s[0:1]
	s_cbranch_execnz .LBB33_22
; %bb.23:
	s_or_b64 exec, exec, s[0:1]
	v_add_u32_e32 v0, s16, v0
	v_ashrrev_i32_e32 v1, 31, v0
	v_lshlrev_b64 v[1:2], 1, v[0:1]
	v_mov_b32_e32 v3, s15
	v_add_co_u32_e32 v1, vcc, s14, v1
	v_addc_co_u32_e32 v2, vcc, v3, v2, vcc
	global_load_dword v4, v[1:2], off
	s_mov_b32 s0, 0x5040100
	v_perm_b32 v18, v26, v33, s0
	s_mov_b64 s[0:1], 0
.LBB33_24:                              ; =>This Inner Loop Header: Depth=1
	s_waitcnt vmcnt(0)
	v_pk_add_f16 v3, v18, v4
	global_atomic_cmpswap v3, v[1:2], v[3:4], off glc
	s_waitcnt vmcnt(0)
	v_cmp_eq_u32_e32 vcc, v4, v3
	s_or_b64 s[0:1], vcc, s[0:1]
	v_mov_b32_e32 v4, v3
	s_andn2_b64 exec, exec, s[0:1]
	s_cbranch_execnz .LBB33_24
; %bb.25:
	s_or_b64 exec, exec, s[0:1]
	global_load_dword v4, v[1:2], off offset:4
	s_mov_b32 s0, 0x5040100
	v_perm_b32 v17, v17, v25, s0
	s_mov_b64 s[0:1], 0
.LBB33_26:                              ; =>This Inner Loop Header: Depth=1
	s_waitcnt vmcnt(0)
	v_pk_add_f16 v3, v17, v4
	global_atomic_cmpswap v3, v[1:2], v[3:4], off offset:4 glc
	s_waitcnt vmcnt(0)
	v_cmp_eq_u32_e32 vcc, v4, v3
	s_or_b64 s[0:1], vcc, s[0:1]
	v_mov_b32_e32 v4, v3
	s_andn2_b64 exec, exec, s[0:1]
	s_cbranch_execnz .LBB33_26
; %bb.27:
	s_or_b64 exec, exec, s[0:1]
	;; [unrolled: 38-line block ×4, first 2 shown]
	v_add_u32_e32 v0, s16, v0
	v_ashrrev_i32_e32 v1, 31, v0
	v_lshlrev_b64 v[0:1], 1, v[0:1]
	v_mov_b32_e32 v2, s15
	v_add_co_u32_e32 v0, vcc, s14, v0
	v_addc_co_u32_e32 v1, vcc, v2, v1, vcc
	global_load_dword v3, v[0:1], off
	s_mov_b32 s0, 0x5040100
	v_perm_b32 v4, v7, v8, s0
	s_mov_b64 s[0:1], 0
.LBB33_36:                              ; =>This Inner Loop Header: Depth=1
	s_waitcnt vmcnt(0)
	v_pk_add_f16 v2, v4, v3
	global_atomic_cmpswap v2, v[0:1], v[2:3], off glc
	s_waitcnt vmcnt(0)
	v_cmp_eq_u32_e32 vcc, v3, v2
	s_or_b64 s[0:1], vcc, s[0:1]
	v_mov_b32_e32 v3, v2
	s_andn2_b64 exec, exec, s[0:1]
	s_cbranch_execnz .LBB33_36
; %bb.37:
	s_or_b64 exec, exec, s[0:1]
	global_load_dword v3, v[0:1], off offset:4
	s_mov_b32 s0, 0x5040100
	v_perm_b32 v4, v5, v6, s0
	s_mov_b64 s[0:1], 0
.LBB33_38:                              ; =>This Inner Loop Header: Depth=1
	s_waitcnt vmcnt(0)
	v_pk_add_f16 v2, v4, v3
	global_atomic_cmpswap v2, v[0:1], v[2:3], off offset:4 glc
	s_waitcnt vmcnt(0)
	v_cmp_eq_u32_e32 vcc, v3, v2
	s_or_b64 s[0:1], vcc, s[0:1]
	v_mov_b32_e32 v3, v2
	s_andn2_b64 exec, exec, s[0:1]
	s_cbranch_execnz .LBB33_38
.LBB33_39:
	s_endpgm
	.section	.rodata,"a",@progbits
	.p2align	6, 0x0
	.amdhsa_kernel _ZN4vllm4gptq33gemm_half_q_half_gptq_4bit_kernelILb1ELi5EEEvPK6__halfPKjS6_S4_PS2_iiiibPKi
		.amdhsa_group_segment_fixed_size 1280
		.amdhsa_private_segment_fixed_size 8
		.amdhsa_kernarg_size 72
		.amdhsa_user_sgpr_count 6
		.amdhsa_user_sgpr_private_segment_buffer 1
		.amdhsa_user_sgpr_dispatch_ptr 0
		.amdhsa_user_sgpr_queue_ptr 0
		.amdhsa_user_sgpr_kernarg_segment_ptr 1
		.amdhsa_user_sgpr_dispatch_id 0
		.amdhsa_user_sgpr_flat_scratch_init 0
		.amdhsa_user_sgpr_private_segment_size 0
		.amdhsa_uses_dynamic_stack 0
		.amdhsa_system_sgpr_private_segment_wavefront_offset 1
		.amdhsa_system_sgpr_workgroup_id_x 1
		.amdhsa_system_sgpr_workgroup_id_y 1
		.amdhsa_system_sgpr_workgroup_id_z 1
		.amdhsa_system_sgpr_workgroup_info 0
		.amdhsa_system_vgpr_workitem_id 0
		.amdhsa_next_free_vgpr 64
		.amdhsa_next_free_sgpr 32
		.amdhsa_reserve_vcc 1
		.amdhsa_reserve_flat_scratch 0
		.amdhsa_float_round_mode_32 0
		.amdhsa_float_round_mode_16_64 0
		.amdhsa_float_denorm_mode_32 3
		.amdhsa_float_denorm_mode_16_64 3
		.amdhsa_dx10_clamp 1
		.amdhsa_ieee_mode 1
		.amdhsa_fp16_overflow 0
		.amdhsa_exception_fp_ieee_invalid_op 0
		.amdhsa_exception_fp_denorm_src 0
		.amdhsa_exception_fp_ieee_div_zero 0
		.amdhsa_exception_fp_ieee_overflow 0
		.amdhsa_exception_fp_ieee_underflow 0
		.amdhsa_exception_fp_ieee_inexact 0
		.amdhsa_exception_int_div_zero 0
	.end_amdhsa_kernel
	.section	.text._ZN4vllm4gptq33gemm_half_q_half_gptq_4bit_kernelILb1ELi5EEEvPK6__halfPKjS6_S4_PS2_iiiibPKi,"axG",@progbits,_ZN4vllm4gptq33gemm_half_q_half_gptq_4bit_kernelILb1ELi5EEEvPK6__halfPKjS6_S4_PS2_iiiibPKi,comdat
.Lfunc_end33:
	.size	_ZN4vllm4gptq33gemm_half_q_half_gptq_4bit_kernelILb1ELi5EEEvPK6__halfPKjS6_S4_PS2_iiiibPKi, .Lfunc_end33-_ZN4vllm4gptq33gemm_half_q_half_gptq_4bit_kernelILb1ELi5EEEvPK6__halfPKjS6_S4_PS2_iiiibPKi
                                        ; -- End function
	.set _ZN4vllm4gptq33gemm_half_q_half_gptq_4bit_kernelILb1ELi5EEEvPK6__halfPKjS6_S4_PS2_iiiibPKi.num_vgpr, 64
	.set _ZN4vllm4gptq33gemm_half_q_half_gptq_4bit_kernelILb1ELi5EEEvPK6__halfPKjS6_S4_PS2_iiiibPKi.num_agpr, 0
	.set _ZN4vllm4gptq33gemm_half_q_half_gptq_4bit_kernelILb1ELi5EEEvPK6__halfPKjS6_S4_PS2_iiiibPKi.numbered_sgpr, 32
	.set _ZN4vllm4gptq33gemm_half_q_half_gptq_4bit_kernelILb1ELi5EEEvPK6__halfPKjS6_S4_PS2_iiiibPKi.num_named_barrier, 0
	.set _ZN4vllm4gptq33gemm_half_q_half_gptq_4bit_kernelILb1ELi5EEEvPK6__halfPKjS6_S4_PS2_iiiibPKi.private_seg_size, 8
	.set _ZN4vllm4gptq33gemm_half_q_half_gptq_4bit_kernelILb1ELi5EEEvPK6__halfPKjS6_S4_PS2_iiiibPKi.uses_vcc, 1
	.set _ZN4vllm4gptq33gemm_half_q_half_gptq_4bit_kernelILb1ELi5EEEvPK6__halfPKjS6_S4_PS2_iiiibPKi.uses_flat_scratch, 0
	.set _ZN4vllm4gptq33gemm_half_q_half_gptq_4bit_kernelILb1ELi5EEEvPK6__halfPKjS6_S4_PS2_iiiibPKi.has_dyn_sized_stack, 0
	.set _ZN4vllm4gptq33gemm_half_q_half_gptq_4bit_kernelILb1ELi5EEEvPK6__halfPKjS6_S4_PS2_iiiibPKi.has_recursion, 0
	.set _ZN4vllm4gptq33gemm_half_q_half_gptq_4bit_kernelILb1ELi5EEEvPK6__halfPKjS6_S4_PS2_iiiibPKi.has_indirect_call, 0
	.section	.AMDGPU.csdata,"",@progbits
; Kernel info:
; codeLenInByte = 9208
; TotalNumSgprs: 36
; NumVgprs: 64
; ScratchSize: 8
; MemoryBound: 0
; FloatMode: 240
; IeeeMode: 1
; LDSByteSize: 1280 bytes/workgroup (compile time only)
; SGPRBlocks: 4
; VGPRBlocks: 15
; NumSGPRsForWavesPerEU: 36
; NumVGPRsForWavesPerEU: 64
; Occupancy: 4
; WaveLimiterHint : 0
; COMPUTE_PGM_RSRC2:SCRATCH_EN: 1
; COMPUTE_PGM_RSRC2:USER_SGPR: 6
; COMPUTE_PGM_RSRC2:TRAP_HANDLER: 0
; COMPUTE_PGM_RSRC2:TGID_X_EN: 1
; COMPUTE_PGM_RSRC2:TGID_Y_EN: 1
; COMPUTE_PGM_RSRC2:TGID_Z_EN: 1
; COMPUTE_PGM_RSRC2:TIDIG_COMP_CNT: 0
	.section	.text._ZN4vllm4gptq33gemm_half_q_half_gptq_8bit_kernelILb1ELi5EEEvPK6__halfPKjS6_S4_PS2_iiiibPKi,"axG",@progbits,_ZN4vllm4gptq33gemm_half_q_half_gptq_8bit_kernelILb1ELi5EEEvPK6__halfPKjS6_S4_PS2_iiiibPKi,comdat
	.protected	_ZN4vllm4gptq33gemm_half_q_half_gptq_8bit_kernelILb1ELi5EEEvPK6__halfPKjS6_S4_PS2_iiiibPKi ; -- Begin function _ZN4vllm4gptq33gemm_half_q_half_gptq_8bit_kernelILb1ELi5EEEvPK6__halfPKjS6_S4_PS2_iiiibPKi
	.globl	_ZN4vllm4gptq33gemm_half_q_half_gptq_8bit_kernelILb1ELi5EEEvPK6__halfPKjS6_S4_PS2_iiiibPKi
	.p2align	8
	.type	_ZN4vllm4gptq33gemm_half_q_half_gptq_8bit_kernelILb1ELi5EEEvPK6__halfPKjS6_S4_PS2_iiiibPKi,@function
_ZN4vllm4gptq33gemm_half_q_half_gptq_8bit_kernelILb1ELi5EEEvPK6__halfPKjS6_S4_PS2_iiiibPKi: ; @_ZN4vllm4gptq33gemm_half_q_half_gptq_8bit_kernelILb1ELi5EEEvPK6__halfPKjS6_S4_PS2_iiiibPKi
; %bb.0:
	s_mov_b64 s[30:31], s[2:3]
	s_load_dwordx4 s[16:19], s[4:5], 0x2c
	s_mov_b64 s[28:29], s[0:1]
	s_add_u32 s28, s28, s9
	s_addc_u32 s29, s29, 0
	s_lshl_b32 s24, s8, 7
	s_add_i32 s0, s24, 0x80
	v_cvt_f64_u32_e32 v[1:2], s0
	s_waitcnt lgkmcnt(0)
	v_cvt_f64_i32_e32 v[3:4], s17
	s_load_dwordx8 s[8:15], s[4:5], 0x8
	s_mul_i32 s7, s7, 5
	v_min_f64 v[1:2], v[1:2], v[3:4]
	v_cvt_i32_f64_e32 v2, v[1:2]
	v_add_u32_e32 v1, s24, v0
	v_readfirstlane_b32 s25, v2
	v_cmp_lt_u32_e32 vcc, v1, v2
	s_and_saveexec_b64 s[2:3], vcc
	s_cbranch_execz .LBB34_12
; %bb.1:
	s_load_dwordx2 s[0:1], s[4:5], 0x40
	s_load_dwordx2 s[20:21], s[4:5], 0x0
	v_mov_b32_e32 v2, 0
	v_lshlrev_b64 v[3:4], 2, v[1:2]
	s_waitcnt lgkmcnt(0)
	v_mov_b32_e32 v5, s1
	v_add_co_u32_e32 v3, vcc, s0, v3
	s_cmp_lg_u64 s[0:1], 0
	v_addc_co_u32_e32 v4, vcc, v5, v4, vcc
	v_mov_b32_e32 v6, v2
	s_cselect_b64 s[4:5], -1, 0
	s_cmp_eq_u64 s[0:1], 0
	v_mov_b32_e32 v5, v1
	s_cbranch_scc1 .LBB34_3
; %bb.2:
	global_load_dword v5, v[3:4], off
	s_waitcnt vmcnt(0)
	v_ashrrev_i32_e32 v6, 31, v5
.LBB34_3:
	s_mul_i32 s22, s7, s17
	s_ashr_i32 s23, s22, 31
	s_lshl_b64 s[0:1], s[22:23], 1
	s_add_u32 s0, s20, s0
	v_lshlrev_b64 v[5:6], 1, v[5:6]
	s_addc_u32 s1, s21, s1
	v_mov_b32_e32 v7, s1
	v_add_co_u32_e32 v5, vcc, s0, v5
	v_addc_co_u32_e32 v6, vcc, v7, v6, vcc
	global_load_ushort v5, v[5:6], off
	v_lshlrev_b32_e32 v7, 1, v0
	v_cndmask_b32_e64 v6, 0, 1, s[4:5]
	v_cmp_ne_u32_e64 s[0:1], 1, v6
	s_andn2_b64 vcc, exec, s[4:5]
	s_waitcnt vmcnt(0)
	ds_write_b16 v7, v5
	v_mov_b32_e32 v6, v2
	v_mov_b32_e32 v5, v1
	s_cbranch_vccnz .LBB34_5
; %bb.4:
	global_load_dword v5, v[3:4], off
	s_waitcnt vmcnt(0)
	v_ashrrev_i32_e32 v6, 31, v5
.LBB34_5:
	s_add_i32 s4, s22, s17
	s_ashr_i32 s5, s4, 31
	s_lshl_b64 s[22:23], s[4:5], 1
	s_add_u32 s5, s20, s22
	v_lshlrev_b64 v[5:6], 1, v[5:6]
	s_addc_u32 s22, s21, s23
	v_mov_b32_e32 v8, s22
	v_add_co_u32_e32 v5, vcc, s5, v5
	v_addc_co_u32_e32 v6, vcc, v8, v6, vcc
	global_load_ushort v5, v[5:6], off
	s_and_b64 vcc, exec, s[0:1]
	s_waitcnt vmcnt(0)
	ds_write_b16 v7, v5 offset:256
	v_mov_b32_e32 v6, v2
	v_mov_b32_e32 v5, v1
	s_cbranch_vccnz .LBB34_7
; %bb.6:
	global_load_dword v5, v[3:4], off
	s_waitcnt vmcnt(0)
	v_ashrrev_i32_e32 v6, 31, v5
.LBB34_7:
	s_add_i32 s4, s4, s17
	s_ashr_i32 s5, s4, 31
	s_lshl_b64 s[22:23], s[4:5], 1
	s_add_u32 s5, s20, s22
	v_lshlrev_b64 v[5:6], 1, v[5:6]
	s_addc_u32 s22, s21, s23
	v_mov_b32_e32 v8, s22
	v_add_co_u32_e32 v5, vcc, s5, v5
	v_addc_co_u32_e32 v6, vcc, v8, v6, vcc
	global_load_ushort v5, v[5:6], off
	s_and_b64 vcc, exec, s[0:1]
	s_waitcnt vmcnt(0)
	ds_write_b16 v7, v5 offset:512
	;; [unrolled: 21-line block ×3, first 2 shown]
	s_cbranch_vccnz .LBB34_11
; %bb.10:
	global_load_dword v1, v[3:4], off
	s_waitcnt vmcnt(0)
	v_ashrrev_i32_e32 v2, 31, v1
.LBB34_11:
	s_add_i32 s0, s4, s17
	s_ashr_i32 s1, s0, 31
	s_lshl_b64 s[0:1], s[0:1], 1
	s_add_u32 s0, s20, s0
	v_lshlrev_b64 v[1:2], 1, v[1:2]
	s_addc_u32 s1, s21, s1
	v_mov_b32_e32 v3, s1
	v_add_co_u32_e32 v1, vcc, s0, v1
	v_addc_co_u32_e32 v2, vcc, v3, v2, vcc
	global_load_ushort v1, v[1:2], off
	s_waitcnt vmcnt(0)
	ds_write_b16 v7, v1 offset:1024
.LBB34_12:
	s_or_b64 exec, exec, s[2:3]
	v_lshlrev_b32_e32 v0, 2, v0
	v_lshl_add_u32 v1, s6, 9, v0
	v_mov_b32_e32 v0, v1
	buffer_store_dword v0, off, s[28:31], 0 offset:104 ; 4-byte Folded Spill
	s_nop 0
	buffer_store_dword v1, off, s[28:31], 0 offset:108 ; 4-byte Folded Spill
	v_cmp_gt_i32_e32 vcc, s16, v1
	s_and_saveexec_b64 s[0:1], vcc
	s_cbranch_execz .LBB34_39
; %bb.13:
	s_abs_i32 s0, s18
	v_cvt_f32_u32_e32 v0, s0
	s_mov_b32 s4, 0
	v_mov_b32_e32 v14, 0
	v_mov_b32_e32 v13, 0
	v_rcp_iflag_f32_e32 v0, v0
	v_mov_b32_e32 v16, 0
	v_mov_b32_e32 v11, 0
	s_cmp_ge_i32 s24, s25
	v_mul_f32_e32 v0, 0x4f7ffffe, v0
	v_cvt_u32_f32_e32 v0, v0
	v_mov_b32_e32 v17, 0
	v_mov_b32_e32 v7, 0
	;; [unrolled: 1-line block ×3, first 2 shown]
	v_readfirstlane_b32 s1, v0
	v_mov_b32_e32 v23, 0
	v_mov_b32_e32 v6, 0
	;; [unrolled: 1-line block ×3, first 2 shown]
	s_waitcnt vmcnt(0) lgkmcnt(0)
	s_barrier
	s_cbranch_scc1 .LBB34_19
; %bb.14:
	buffer_load_dword v1, off, s[28:31], 0 offset:104 ; 4-byte Folded Reload
	buffer_load_dword v2, off, s[28:31], 0 offset:108 ; 4-byte Folded Reload
	s_sub_i32 s6, 0, s0
	s_mul_i32 s6, s6, s1
	s_mul_hi_u32 s6, s1, s6
	s_abs_i32 s5, s17
	s_add_i32 s1, s1, s6
	s_ashr_i32 s2, s17, 31
	s_ashr_i32 s3, s18, 31
	s_mul_hi_u32 s1, s5, s1
	s_xor_b32 s2, s2, s3
	s_mul_i32 s3, s1, s0
	s_sub_i32 s3, s5, s3
	s_add_i32 s5, s1, 1
	s_sub_i32 s6, s3, s0
	s_cmp_ge_u32 s3, s0
	s_cselect_b32 s1, s5, s1
	s_cselect_b32 s3, s6, s3
	s_add_i32 s5, s1, 1
	s_cmp_ge_u32 s3, s0
	s_cselect_b32 s0, s5, s1
	s_xor_b32 s0, s0, s2
	s_sub_i32 s5, s0, s2
	v_cvt_f32_u32_e32 v0, s5
	s_bitcmp1_b32 s19, 0
	s_cselect_b64 s[0:1], -1, 0
	s_sub_i32 s2, 0, s5
	v_rcp_iflag_f32_e32 v0, v0
	s_xor_b64 s[0:1], s[0:1], -1
	v_mov_b32_e32 v4, s11
	v_mov_b32_e32 v8, 0
	v_mul_f32_e32 v0, 0x4f7ffffe, v0
	v_cvt_u32_f32_e32 v0, v0
	v_mov_b32_e32 v23, 0
	v_mov_b32_e32 v24, 0
	;; [unrolled: 1-line block ×3, first 2 shown]
	v_readfirstlane_b32 s3, v0
	s_mul_i32 s2, s2, s3
	s_mul_hi_u32 s2, s3, s2
	s_add_i32 s3, s3, s2
	s_mul_hi_u32 s2, s24, s3
	s_mul_i32 s3, s2, s5
	s_sub_i32 s3, s24, s3
	s_add_i32 s6, s2, 1
	s_sub_i32 s17, s3, s5
	s_cmp_ge_u32 s3, s5
	s_cselect_b32 s2, s6, s2
	s_cselect_b32 s3, s17, s3
	s_add_i32 s6, s2, 1
	s_cmp_ge_u32 s3, s5
	s_cselect_b32 s6, s6, s2
	s_mul_i32 s2, s6, s16
	s_ashr_i32 s3, s2, 31
	s_lshr_b32 s3, s3, 30
	v_mov_b32_e32 v17, 0
	v_mov_b32_e32 v11, 0
	;; [unrolled: 1-line block ×5, first 2 shown]
	s_waitcnt vmcnt(1)
	v_mov_b32_e32 v5, v1
	v_add_u32_e32 v0, s2, v5
	s_add_i32 s2, s2, s3
	s_waitcnt vmcnt(0)
	v_ashrrev_i32_e32 v2, 2, v5
	s_ashr_i32 s2, s2, 2
	buffer_store_dword v2, off, s[28:31], 0 offset:112 ; 4-byte Folded Spill
	v_add_u32_e32 v2, s2, v2
	v_ashrrev_i32_e32 v3, 31, v2
	v_lshlrev_b64 v[2:3], 2, v[2:3]
	v_ashrrev_i32_e32 v1, 31, v0
	v_lshlrev_b64 v[0:1], 1, v[0:1]
	v_add_co_u32_e32 v2, vcc, s10, v2
	v_addc_co_u32_e32 v3, vcc, v4, v3, vcc
	global_load_dword v2, v[2:3], off
	v_mov_b32_e32 v3, s13
	v_add_co_u32_e32 v0, vcc, s12, v0
	v_addc_co_u32_e32 v1, vcc, v3, v1, vcc
	global_load_dwordx2 v[29:30], v[0:1], off
	v_cndmask_b32_e64 v3, 0, 1, s[0:1]
	s_lshr_b32 s0, s24, 2
	v_mov_b32_e32 v0, 0
	s_mul_i32 s0, s16, s0
	buffer_store_dword v0, off, s[28:31], 0 offset:32 ; 4-byte Folded Spill
	v_mov_b32_e32 v0, v5
	s_ashr_i32 s1, s0, 31
	v_ashrrev_i32_e32 v6, 31, v5
	buffer_store_dword v0, off, s[28:31], 0 offset:104 ; 4-byte Folded Spill
	s_nop 0
	buffer_store_dword v1, off, s[28:31], 0 offset:108 ; 4-byte Folded Spill
	s_lshl_b64 s[0:1], s[0:1], 2
	v_lshlrev_b64 v[0:1], 2, v[5:6]
	s_add_u32 s18, s8, s0
	s_addc_u32 s0, s9, s1
	buffer_store_dword v3, off, s[28:31], 0 offset:100 ; 4-byte Folded Spill
	s_ashr_i32 s17, s16, 31
	v_mov_b32_e32 v3, s0
	v_add_co_u32_e32 v4, vcc, s18, v0
	s_add_i32 s8, s5, s24
	s_lshl_b64 s[0:1], s[16:17], 5
	s_lshl_b64 s[2:3], s[16:17], 2
	v_addc_co_u32_e32 v5, vcc, v3, v1, vcc
	s_waitcnt vmcnt(5)
	v_and_b32_e32 v1, 0xff, v2
	v_bfe_u32 v3, v2, 8, 8
	v_bfe_u32 v6, v2, 16, 8
	v_lshrrev_b32_e32 v2, 24, v2
.LBB34_15:                              ; =>This Inner Loop Header: Depth=1
	s_cmp_lg_u32 s24, s8
	v_mov_b32_e32 v15, v13
	buffer_store_dword v11, off, s[28:31], 0 offset:8 ; 4-byte Folded Spill
	buffer_store_dword v16, off, s[28:31], 0 offset:12 ; 4-byte Folded Spill
	buffer_store_dword v7, off, s[28:31], 0 offset:16 ; 4-byte Folded Spill
	buffer_store_dword v17, off, s[28:31], 0 offset:20 ; 4-byte Folded Spill
	buffer_store_dword v23, off, s[28:31], 0 offset:24 ; 4-byte Folded Spill
	buffer_store_dword v24, off, s[28:31], 0 offset:28 ; 4-byte Folded Spill
	buffer_store_dword v8, off, s[28:31], 0 offset:36 ; 4-byte Folded Spill
	s_cbranch_scc1 .LBB34_17
; %bb.16:                               ;   in Loop: Header=BB34_15 Depth=1
	buffer_load_dword v0, off, s[28:31], 0 offset:112 ; 4-byte Folded Reload
	s_add_i32 s6, s6, 1
	s_mul_i32 s9, s6, s16
	s_ashr_i32 s17, s9, 31
	s_lshr_b32 s17, s17, 30
	s_add_i32 s17, s9, s17
	s_ashr_i32 s17, s17, 2
	s_waitcnt vmcnt(8)
	v_mov_b32_e32 v2, s11
	v_mov_b32_e32 v3, s13
	s_add_i32 s8, s8, s5
	s_waitcnt vmcnt(0)
	v_add_u32_e32 v0, s17, v0
	v_ashrrev_i32_e32 v1, 31, v0
	v_lshlrev_b64 v[0:1], 2, v[0:1]
	v_add_co_u32_e32 v0, vcc, s10, v0
	v_addc_co_u32_e32 v1, vcc, v2, v1, vcc
	global_load_dword v2, v[0:1], off
	s_nop 0
	buffer_load_dword v0, off, s[28:31], 0 offset:104 ; 4-byte Folded Reload
	buffer_load_dword v1, off, s[28:31], 0 offset:108 ; 4-byte Folded Reload
	s_waitcnt vmcnt(1)
	v_add_u32_e32 v0, s9, v0
	s_waitcnt vmcnt(0)
	v_ashrrev_i32_e32 v1, 31, v0
	v_lshlrev_b64 v[0:1], 1, v[0:1]
	v_bfe_u32 v6, v2, 16, 8
	v_add_co_u32_e32 v0, vcc, s12, v0
	v_addc_co_u32_e32 v1, vcc, v3, v1, vcc
	global_load_dwordx2 v[29:30], v[0:1], off
	v_and_b32_e32 v1, 0xff, v2
	v_bfe_u32 v3, v2, 8, 8
	v_lshrrev_b32_e32 v2, 24, v2
.LBB34_17:                              ;   in Loop: Header=BB34_15 Depth=1
	buffer_load_dword v0, off, s[28:31], 0 offset:100 ; 4-byte Folded Reload
	s_add_i32 s24, s24, 32
	s_waitcnt vmcnt(11)
	buffer_store_dword v1, off, s[28:31], 0 offset:84 ; 4-byte Folded Spill
	s_waitcnt vmcnt(11)
	buffer_store_dword v3, off, s[28:31], 0 offset:88 ; 4-byte Folded Spill
	;; [unrolled: 2-line block ×4, first 2 shown]
	buffer_store_dword v4, off, s[28:31], 0 ; 4-byte Folded Spill
	s_nop 0
	buffer_store_dword v5, off, s[28:31], 0 offset:4 ; 4-byte Folded Spill
	s_waitcnt vmcnt(6)
	v_add_u32_e32 v31, v1, v0
	v_add_u32_e32 v33, v3, v0
	;; [unrolled: 1-line block ×4, first 2 shown]
	buffer_load_dword v0, off, s[28:31], 0  ; 4-byte Folded Reload
	buffer_load_dword v1, off, s[28:31], 0 offset:4 ; 4-byte Folded Reload
	v_mov_b32_e32 v2, s3
	s_waitcnt vmcnt(0)
	global_load_dwordx4 v[4:7], v[0:1], off
	s_nop 0
	buffer_load_dword v0, off, s[28:31], 0  ; 4-byte Folded Reload
	buffer_load_dword v1, off, s[28:31], 0 offset:4 ; 4-byte Folded Reload
	s_waitcnt vmcnt(1)
	v_add_co_u32_e32 v12, vcc, s2, v0
	buffer_store_dword v2, off, s[28:31], 0 offset:80 ; 4-byte Folded Spill
	buffer_load_dword v0, off, s[28:31], 0  ; 4-byte Folded Reload
	buffer_load_dword v1, off, s[28:31], 0 offset:4 ; 4-byte Folded Reload
	v_sub_u32_sdwa v8, v4, v31 dst_sel:DWORD dst_unused:UNUSED_PAD src0_sel:BYTE_0 src1_sel:DWORD
	v_cvt_f32_i32_e32 v8, v8
	v_cvt_f16_f32_e32 v24, v8
	v_sub_u32_sdwa v8, v4, v31 dst_sel:DWORD dst_unused:UNUSED_PAD src0_sel:BYTE_1 src1_sel:DWORD
	v_cvt_f32_i32_e32 v8, v8
	v_cvt_f16_f32_e32 v25, v8
	v_sub_u32_sdwa v8, v4, v31 dst_sel:DWORD dst_unused:UNUSED_PAD src0_sel:BYTE_2 src1_sel:DWORD
	v_sub_u32_sdwa v4, v4, v31 dst_sel:DWORD dst_unused:UNUSED_PAD src0_sel:BYTE_3 src1_sel:DWORD
	v_cvt_f32_i32_e32 v4, v4
	v_cvt_f32_i32_e32 v8, v8
	v_cvt_f16_f32_e32 v27, v4
	v_cvt_f16_f32_e32 v26, v8
	s_waitcnt vmcnt(0)
	v_addc_co_u32_e32 v13, vcc, v1, v2, vcc
	global_load_dwordx4 v[0:3], v[12:13], off
	v_add_co_u32_e32 v12, vcc, s2, v12
	s_waitcnt vmcnt(0)
	v_sub_u32_sdwa v4, v0, v31 dst_sel:DWORD dst_unused:UNUSED_PAD src0_sel:BYTE_0 src1_sel:DWORD
	v_cvt_f32_i32_e32 v4, v4
	v_cvt_f16_f32_e32 v28, v4
	v_sub_u32_sdwa v4, v0, v31 dst_sel:DWORD dst_unused:UNUSED_PAD src0_sel:BYTE_1 src1_sel:DWORD
	v_cvt_f32_i32_e32 v4, v4
	v_cvt_f16_f32_e32 v39, v4
	v_sub_u32_sdwa v4, v0, v31 dst_sel:DWORD dst_unused:UNUSED_PAD src0_sel:BYTE_2 src1_sel:DWORD
	v_sub_u32_sdwa v0, v0, v31 dst_sel:DWORD dst_unused:UNUSED_PAD src0_sel:BYTE_3 src1_sel:DWORD
	v_cvt_f32_i32_e32 v0, v0
	v_cvt_f32_i32_e32 v4, v4
	v_cvt_f16_f32_e32 v41, v0
	v_sub_u32_sdwa v0, v5, v33 dst_sel:DWORD dst_unused:UNUSED_PAD src0_sel:BYTE_0 src1_sel:DWORD
	v_cvt_f32_i32_e32 v0, v0
	v_cvt_f16_f32_e32 v40, v4
	v_cvt_f16_f32_e32 v42, v0
	v_sub_u32_sdwa v0, v5, v33 dst_sel:DWORD dst_unused:UNUSED_PAD src0_sel:BYTE_1 src1_sel:DWORD
	v_cvt_f32_i32_e32 v0, v0
	v_cvt_f16_f32_e32 v43, v0
	v_sub_u32_sdwa v0, v5, v33 dst_sel:DWORD dst_unused:UNUSED_PAD src0_sel:BYTE_2 src1_sel:DWORD
	v_cvt_f32_i32_e32 v0, v0
	v_cvt_f16_f32_e32 v44, v0
	v_sub_u32_sdwa v0, v5, v33 dst_sel:DWORD dst_unused:UNUSED_PAD src0_sel:BYTE_3 src1_sel:DWORD
	v_cvt_f32_i32_e32 v0, v0
	v_cvt_f16_f32_e32 v45, v0
	v_sub_u32_sdwa v0, v1, v33 dst_sel:DWORD dst_unused:UNUSED_PAD src0_sel:BYTE_0 src1_sel:DWORD
	v_cvt_f32_i32_e32 v0, v0
	v_cvt_f16_f32_e32 v46, v0
	v_sub_u32_sdwa v0, v1, v33 dst_sel:DWORD dst_unused:UNUSED_PAD src0_sel:BYTE_1 src1_sel:DWORD
	v_cvt_f32_i32_e32 v0, v0
	v_cvt_f16_f32_e32 v47, v0
	v_sub_u32_sdwa v0, v1, v33 dst_sel:DWORD dst_unused:UNUSED_PAD src0_sel:BYTE_2 src1_sel:DWORD
	v_cvt_f32_i32_e32 v0, v0
	v_cvt_f16_f32_e32 v48, v0
	v_sub_u32_sdwa v0, v1, v33 dst_sel:DWORD dst_unused:UNUSED_PAD src0_sel:BYTE_3 src1_sel:DWORD
	v_cvt_f32_i32_e32 v0, v0
	v_cvt_f16_f32_e32 v49, v0
	v_sub_u32_sdwa v0, v6, v17 dst_sel:DWORD dst_unused:UNUSED_PAD src0_sel:BYTE_0 src1_sel:DWORD
	v_cvt_f32_i32_e32 v0, v0
	;; [unrolled: 12-line block ×5, first 2 shown]
	v_cvt_f16_f32_e32 v18, v0
	v_sub_u32_sdwa v0, v3, v16 dst_sel:DWORD dst_unused:UNUSED_PAD src0_sel:BYTE_1 src1_sel:DWORD
	v_cvt_f32_i32_e32 v0, v0
	v_cvt_f16_f32_e32 v22, v0
	v_sub_u32_sdwa v0, v3, v16 dst_sel:DWORD dst_unused:UNUSED_PAD src0_sel:BYTE_2 src1_sel:DWORD
	v_cvt_f32_i32_e32 v0, v0
	v_sub_u32_sdwa v3, v3, v16 dst_sel:DWORD dst_unused:UNUSED_PAD src0_sel:BYTE_3 src1_sel:DWORD
	v_cvt_f16_f32_e32 v59, v0
	v_cvt_f32_i32_e32 v0, v3
	v_cvt_f16_f32_e32 v19, v0
	v_mov_b32_e32 v0, s4
	ds_read_b128 v[34:37], v0
	ds_read_b128 v[8:11], v0 offset:16
	ds_read_b128 v[4:7], v0 offset:32
	;; [unrolled: 1-line block ×3, first 2 shown]
	s_waitcnt lgkmcnt(3)
	v_fma_mix_f32 v0, v24, v34, 0 op_sel_hi:[1,1,0]
	v_fma_mix_f32 v0, v25, v34, v0 op_sel:[0,1,0] op_sel_hi:[1,1,0]
	v_fma_mix_f32 v0, v26, v35, v0 op_sel_hi:[1,1,0]
	v_fma_mix_f32 v0, v27, v35, v0 op_sel:[0,1,0] op_sel_hi:[1,1,0]
	;; [unrolled: 2-line block ×4, first 2 shown]
	v_fma_mixlo_f16 v0, v0, v29, 0 op_sel_hi:[0,1,0]
	v_add_f16_e32 v32, v14, v0
	v_fma_mix_f32 v0, v42, v34, 0 op_sel_hi:[1,1,0]
	v_fma_mix_f32 v0, v43, v34, v0 op_sel:[0,1,0] op_sel_hi:[1,1,0]
	v_fma_mix_f32 v0, v44, v35, v0 op_sel_hi:[1,1,0]
	v_fma_mix_f32 v0, v45, v35, v0 op_sel:[0,1,0] op_sel_hi:[1,1,0]
	;; [unrolled: 2-line block ×4, first 2 shown]
	v_fma_mixlo_f16 v0, v0, v29, 0 op_sel:[0,1,0] op_sel_hi:[0,1,0]
	v_add_f16_sdwa v38, v14, v0 dst_sel:DWORD dst_unused:UNUSED_PAD src0_sel:WORD_1 src1_sel:DWORD
	v_fma_mix_f32 v0, v50, v34, 0 op_sel_hi:[1,1,0]
	v_fma_mix_f32 v0, v51, v34, v0 op_sel:[0,1,0] op_sel_hi:[1,1,0]
	v_fma_mix_f32 v0, v52, v35, v0 op_sel_hi:[1,1,0]
	v_fma_mix_f32 v0, v53, v35, v0 op_sel:[0,1,0] op_sel_hi:[1,1,0]
	;; [unrolled: 2-line block ×4, first 2 shown]
	v_fma_mixlo_f16 v0, v0, v30, 0 op_sel_hi:[0,1,0]
	v_add_f16_e32 v14, v15, v0
	v_fma_mix_f32 v0, v20, v34, 0 op_sel_hi:[1,1,0]
	v_fma_mix_f32 v0, v21, v34, v0 op_sel:[0,1,0] op_sel_hi:[1,1,0]
	v_fma_mix_f32 v0, v58, v35, v0 op_sel_hi:[1,1,0]
	v_fma_mix_f32 v0, v23, v35, v0 op_sel:[0,1,0] op_sel_hi:[1,1,0]
	buffer_load_dword v35, off, s[28:31], 0 offset:12 ; 4-byte Folded Reload
	v_fma_mix_f32 v0, v18, v36, v0 op_sel_hi:[1,1,0]
	v_fma_mix_f32 v0, v22, v36, v0 op_sel:[0,1,0] op_sel_hi:[1,1,0]
	v_fma_mix_f32 v0, v59, v37, v0 op_sel_hi:[1,1,0]
	v_fma_mix_f32 v0, v19, v37, v0 op_sel:[0,1,0] op_sel_hi:[1,1,0]
	v_fma_mixlo_f16 v0, v0, v30, 0 op_sel:[0,1,0] op_sel_hi:[0,1,0]
	v_mov_b32_e32 v36, s4
	v_add_f16_sdwa v15, v15, v0 dst_sel:DWORD dst_unused:UNUSED_PAD src0_sel:WORD_1 src1_sel:DWORD
	ds_read_b128 v[0:3], v36 offset:256
	buffer_load_dword v37, off, s[28:31], 0 offset:16 ; 4-byte Folded Reload
	s_waitcnt lgkmcnt(0)
	v_fma_mix_f32 v34, v24, v0, 0 op_sel_hi:[1,1,0]
	v_fma_mix_f32 v34, v25, v0, v34 op_sel:[0,1,0] op_sel_hi:[1,1,0]
	v_fma_mix_f32 v34, v26, v1, v34 op_sel_hi:[1,1,0]
	v_fma_mix_f32 v34, v27, v1, v34 op_sel:[0,1,0] op_sel_hi:[1,1,0]
	;; [unrolled: 2-line block ×4, first 2 shown]
	v_fma_mixlo_f16 v34, v34, v29, 0 op_sel_hi:[0,1,0]
	s_waitcnt vmcnt(1)
	v_add_f16_e32 v34, v35, v34
	buffer_store_dword v34, off, s[28:31], 0 offset:44 ; 4-byte Folded Spill
	v_fma_mix_f32 v34, v42, v0, 0 op_sel_hi:[1,1,0]
	v_fma_mix_f32 v34, v43, v0, v34 op_sel:[0,1,0] op_sel_hi:[1,1,0]
	v_fma_mix_f32 v34, v44, v1, v34 op_sel_hi:[1,1,0]
	v_fma_mix_f32 v34, v45, v1, v34 op_sel:[0,1,0] op_sel_hi:[1,1,0]
	;; [unrolled: 2-line block ×4, first 2 shown]
	v_fma_mixlo_f16 v34, v34, v29, 0 op_sel:[0,1,0] op_sel_hi:[0,1,0]
	v_add_f16_sdwa v34, v35, v34 dst_sel:DWORD dst_unused:UNUSED_PAD src0_sel:WORD_1 src1_sel:DWORD
	buffer_load_dword v35, off, s[28:31], 0 offset:8 ; 4-byte Folded Reload
	s_nop 0
	buffer_store_dword v34, off, s[28:31], 0 offset:68 ; 4-byte Folded Spill
	v_fma_mix_f32 v34, v50, v0, 0 op_sel_hi:[1,1,0]
	v_fma_mix_f32 v34, v51, v0, v34 op_sel:[0,1,0] op_sel_hi:[1,1,0]
	v_fma_mix_f32 v34, v52, v1, v34 op_sel_hi:[1,1,0]
	v_fma_mix_f32 v34, v53, v1, v34 op_sel:[0,1,0] op_sel_hi:[1,1,0]
	;; [unrolled: 2-line block ×4, first 2 shown]
	v_fma_mixlo_f16 v34, v34, v30, 0 op_sel_hi:[0,1,0]
	s_waitcnt vmcnt(1)
	v_add_f16_e32 v34, v35, v34
	buffer_store_dword v34, off, s[28:31], 0 offset:72 ; 4-byte Folded Spill
	v_fma_mix_f32 v34, v20, v0, 0 op_sel_hi:[1,1,0]
	v_fma_mix_f32 v0, v21, v0, v34 op_sel:[0,1,0] op_sel_hi:[1,1,0]
	v_fma_mix_f32 v0, v58, v1, v0 op_sel_hi:[1,1,0]
	v_fma_mix_f32 v0, v23, v1, v0 op_sel:[0,1,0] op_sel_hi:[1,1,0]
	;; [unrolled: 2-line block ×4, first 2 shown]
	v_fma_mixlo_f16 v0, v0, v30, 0 op_sel:[0,1,0] op_sel_hi:[0,1,0]
	v_add_f16_sdwa v0, v35, v0 dst_sel:DWORD dst_unused:UNUSED_PAD src0_sel:WORD_1 src1_sel:DWORD
	buffer_load_dword v35, off, s[28:31], 0 offset:20 ; 4-byte Folded Reload
	s_nop 0
	buffer_store_dword v0, off, s[28:31], 0 offset:76 ; 4-byte Folded Spill
	ds_read_b128 v[0:3], v36 offset:512
	s_waitcnt lgkmcnt(0)
	v_fma_mix_f32 v34, v24, v0, 0 op_sel_hi:[1,1,0]
	v_fma_mix_f32 v34, v25, v0, v34 op_sel:[0,1,0] op_sel_hi:[1,1,0]
	v_fma_mix_f32 v34, v26, v1, v34 op_sel_hi:[1,1,0]
	v_fma_mix_f32 v34, v27, v1, v34 op_sel:[0,1,0] op_sel_hi:[1,1,0]
	;; [unrolled: 2-line block ×4, first 2 shown]
	v_fma_mixlo_f16 v34, v34, v29, 0 op_sel_hi:[0,1,0]
	s_waitcnt vmcnt(1)
	v_add_f16_e32 v34, v35, v34
	buffer_store_dword v34, off, s[28:31], 0 offset:40 ; 4-byte Folded Spill
	v_fma_mix_f32 v34, v42, v0, 0 op_sel_hi:[1,1,0]
	v_fma_mix_f32 v34, v43, v0, v34 op_sel:[0,1,0] op_sel_hi:[1,1,0]
	v_fma_mix_f32 v34, v44, v1, v34 op_sel_hi:[1,1,0]
	v_fma_mix_f32 v34, v45, v1, v34 op_sel:[0,1,0] op_sel_hi:[1,1,0]
	;; [unrolled: 2-line block ×4, first 2 shown]
	v_fma_mixlo_f16 v34, v34, v29, 0 op_sel:[0,1,0] op_sel_hi:[0,1,0]
	v_add_f16_sdwa v34, v35, v34 dst_sel:DWORD dst_unused:UNUSED_PAD src0_sel:WORD_1 src1_sel:DWORD
	v_fma_mix_f32 v35, v50, v0, 0 op_sel_hi:[1,1,0]
	v_fma_mix_f32 v35, v51, v0, v35 op_sel:[0,1,0] op_sel_hi:[1,1,0]
	v_fma_mix_f32 v35, v52, v1, v35 op_sel_hi:[1,1,0]
	v_fma_mix_f32 v35, v53, v1, v35 op_sel:[0,1,0] op_sel_hi:[1,1,0]
	;; [unrolled: 2-line block ×4, first 2 shown]
	v_fma_mixlo_f16 v35, v35, v30, 0 op_sel_hi:[0,1,0]
	v_add_f16_e32 v35, v37, v35
	buffer_store_dword v35, off, s[28:31], 0 offset:48 ; 4-byte Folded Spill
	v_fma_mix_f32 v35, v20, v0, 0 op_sel_hi:[1,1,0]
	v_fma_mix_f32 v0, v21, v0, v35 op_sel:[0,1,0] op_sel_hi:[1,1,0]
	buffer_load_dword v35, off, s[28:31], 0 offset:28 ; 4-byte Folded Reload
	v_fma_mix_f32 v0, v58, v1, v0 op_sel_hi:[1,1,0]
	v_fma_mix_f32 v0, v23, v1, v0 op_sel:[0,1,0] op_sel_hi:[1,1,0]
	v_fma_mix_f32 v0, v18, v2, v0 op_sel_hi:[1,1,0]
	v_fma_mix_f32 v0, v22, v2, v0 op_sel:[0,1,0] op_sel_hi:[1,1,0]
	;; [unrolled: 2-line block ×3, first 2 shown]
	v_fma_mixlo_f16 v0, v0, v30, 0 op_sel:[0,1,0] op_sel_hi:[0,1,0]
	v_add_f16_sdwa v0, v37, v0 dst_sel:DWORD dst_unused:UNUSED_PAD src0_sel:WORD_1 src1_sel:DWORD
	buffer_store_dword v0, off, s[28:31], 0 offset:52 ; 4-byte Folded Spill
	ds_read_b128 v[0:3], v36 offset:768
	s_waitcnt lgkmcnt(0)
	v_fma_mix_f32 v37, v24, v0, 0 op_sel_hi:[1,1,0]
	v_fma_mix_f32 v37, v25, v0, v37 op_sel:[0,1,0] op_sel_hi:[1,1,0]
	v_fma_mix_f32 v37, v26, v1, v37 op_sel_hi:[1,1,0]
	v_fma_mix_f32 v37, v27, v1, v37 op_sel:[0,1,0] op_sel_hi:[1,1,0]
	;; [unrolled: 2-line block ×4, first 2 shown]
	v_fma_mixlo_f16 v37, v37, v29, 0 op_sel_hi:[0,1,0]
	s_waitcnt vmcnt(1)
	v_add_f16_e32 v37, v35, v37
	buffer_store_dword v37, off, s[28:31], 0 offset:56 ; 4-byte Folded Spill
	v_fma_mix_f32 v37, v42, v0, 0 op_sel_hi:[1,1,0]
	v_fma_mix_f32 v37, v43, v0, v37 op_sel:[0,1,0] op_sel_hi:[1,1,0]
	v_fma_mix_f32 v37, v44, v1, v37 op_sel_hi:[1,1,0]
	v_fma_mix_f32 v37, v45, v1, v37 op_sel:[0,1,0] op_sel_hi:[1,1,0]
	v_fma_mix_f32 v37, v46, v2, v37 op_sel_hi:[1,1,0]
	v_fma_mix_f32 v37, v47, v2, v37 op_sel:[0,1,0] op_sel_hi:[1,1,0]
	v_fma_mix_f32 v37, v48, v3, v37 op_sel_hi:[1,1,0]
	v_fma_mix_f32 v37, v49, v3, v37 op_sel:[0,1,0] op_sel_hi:[1,1,0]
	v_fma_mixlo_f16 v37, v37, v29, 0 op_sel:[0,1,0] op_sel_hi:[0,1,0]
	v_add_f16_sdwa v35, v35, v37 dst_sel:DWORD dst_unused:UNUSED_PAD src0_sel:WORD_1 src1_sel:DWORD
	buffer_store_dword v35, off, s[28:31], 0 offset:60 ; 4-byte Folded Spill
	buffer_load_dword v35, off, s[28:31], 0 offset:24 ; 4-byte Folded Reload
	v_fma_mix_f32 v37, v50, v0, 0 op_sel_hi:[1,1,0]
	v_fma_mix_f32 v37, v51, v0, v37 op_sel:[0,1,0] op_sel_hi:[1,1,0]
	v_fma_mix_f32 v37, v52, v1, v37 op_sel_hi:[1,1,0]
	v_fma_mix_f32 v37, v53, v1, v37 op_sel:[0,1,0] op_sel_hi:[1,1,0]
	;; [unrolled: 2-line block ×4, first 2 shown]
	v_fma_mixlo_f16 v37, v37, v30, 0 op_sel_hi:[0,1,0]
	s_waitcnt vmcnt(0)
	v_add_f16_e32 v37, v35, v37
	buffer_store_dword v37, off, s[28:31], 0 offset:64 ; 4-byte Folded Spill
	v_fma_mix_f32 v37, v20, v0, 0 op_sel_hi:[1,1,0]
	v_fma_mix_f32 v0, v21, v0, v37 op_sel:[0,1,0] op_sel_hi:[1,1,0]
	v_fma_mix_f32 v0, v58, v1, v0 op_sel_hi:[1,1,0]
	v_fma_mix_f32 v0, v23, v1, v0 op_sel:[0,1,0] op_sel_hi:[1,1,0]
	;; [unrolled: 2-line block ×4, first 2 shown]
	v_fma_mixlo_f16 v0, v0, v30, 0 op_sel:[0,1,0] op_sel_hi:[0,1,0]
	v_add_f16_sdwa v37, v35, v0 dst_sel:DWORD dst_unused:UNUSED_PAD src0_sel:WORD_1 src1_sel:DWORD
	ds_read_b128 v[0:3], v36 offset:1024
	v_mov_b32_e32 v35, s4
	s_waitcnt lgkmcnt(0)
	v_fma_mix_f32 v24, v24, v0, 0 op_sel_hi:[1,1,0]
	v_fma_mix_f32 v24, v25, v0, v24 op_sel:[0,1,0] op_sel_hi:[1,1,0]
	buffer_load_dword v25, off, s[28:31], 0 offset:32 ; 4-byte Folded Reload
	v_fma_mix_f32 v24, v26, v1, v24 op_sel_hi:[1,1,0]
	v_fma_mix_f32 v24, v27, v1, v24 op_sel:[0,1,0] op_sel_hi:[1,1,0]
	v_fma_mix_f32 v24, v28, v2, v24 op_sel_hi:[1,1,0]
	v_fma_mix_f32 v24, v39, v2, v24 op_sel:[0,1,0] op_sel_hi:[1,1,0]
	;; [unrolled: 2-line block ×3, first 2 shown]
	v_fma_mixlo_f16 v24, v24, v29, 0 op_sel_hi:[0,1,0]
	v_fma_mix_f32 v20, v20, v0, 0 op_sel_hi:[1,1,0]
	v_mov_b32_e32 v28, v31
	s_waitcnt vmcnt(0)
	v_add_f16_e32 v24, v25, v24
	buffer_store_dword v24, off, s[28:31], 0 offset:20 ; 4-byte Folded Spill
	v_fma_mix_f32 v24, v42, v0, 0 op_sel_hi:[1,1,0]
	v_fma_mix_f32 v24, v43, v0, v24 op_sel:[0,1,0] op_sel_hi:[1,1,0]
	v_fma_mix_f32 v24, v44, v1, v24 op_sel_hi:[1,1,0]
	v_fma_mix_f32 v24, v45, v1, v24 op_sel:[0,1,0] op_sel_hi:[1,1,0]
	;; [unrolled: 2-line block ×4, first 2 shown]
	v_fma_mixlo_f16 v24, v24, v29, 0 op_sel:[0,1,0] op_sel_hi:[0,1,0]
	v_add_f16_sdwa v24, v25, v24 dst_sel:DWORD dst_unused:UNUSED_PAD src0_sel:WORD_1 src1_sel:DWORD
	buffer_store_dword v24, off, s[28:31], 0 offset:16 ; 4-byte Folded Spill
	v_fma_mix_f32 v24, v50, v0, 0 op_sel_hi:[1,1,0]
	v_fma_mix_f32 v24, v51, v0, v24 op_sel:[0,1,0] op_sel_hi:[1,1,0]
	v_fma_mix_f32 v0, v21, v0, v20 op_sel:[0,1,0] op_sel_hi:[1,1,0]
	v_fma_mix_f32 v0, v58, v1, v0 op_sel_hi:[1,1,0]
	v_fma_mix_f32 v0, v23, v1, v0 op_sel:[0,1,0] op_sel_hi:[1,1,0]
	buffer_load_dword v25, off, s[28:31], 0 offset:36 ; 4-byte Folded Reload
	v_fma_mix_f32 v0, v18, v2, v0 op_sel_hi:[1,1,0]
	buffer_load_dword v18, off, s[28:31], 0 offset:80 ; 4-byte Folded Reload
	v_fma_mix_f32 v24, v52, v1, v24 op_sel_hi:[1,1,0]
	v_fma_mix_f32 v0, v22, v2, v0 op_sel:[0,1,0] op_sel_hi:[1,1,0]
	v_fma_mix_f32 v24, v53, v1, v24 op_sel:[0,1,0] op_sel_hi:[1,1,0]
	v_fma_mix_f32 v0, v59, v3, v0 op_sel_hi:[1,1,0]
	v_fma_mix_f32 v24, v54, v2, v24 op_sel_hi:[1,1,0]
	v_fma_mix_f32 v0, v19, v3, v0 op_sel:[0,1,0] op_sel_hi:[1,1,0]
	v_fma_mix_f32 v24, v55, v2, v24 op_sel:[0,1,0] op_sel_hi:[1,1,0]
	v_fma_mixlo_f16 v0, v0, v30, 0 op_sel:[0,1,0] op_sel_hi:[0,1,0]
	v_fma_mix_f32 v24, v56, v3, v24 op_sel_hi:[1,1,0]
	v_fma_mix_f32 v24, v57, v3, v24 op_sel:[0,1,0] op_sel_hi:[1,1,0]
	v_fma_mixlo_f16 v24, v24, v30, 0 op_sel_hi:[0,1,0]
	s_waitcnt vmcnt(1)
	v_add_f16_sdwa v0, v25, v0 dst_sel:DWORD dst_unused:UNUSED_PAD src0_sel:WORD_1 src1_sel:DWORD
	buffer_store_dword v0, off, s[28:31], 0 offset:8 ; 4-byte Folded Spill
	s_waitcnt vmcnt(1)
	v_addc_co_u32_e32 v13, vcc, v13, v18, vcc
	global_load_dwordx4 v[0:3], v[12:13], off
	v_add_co_u32_e32 v12, vcc, s2, v12
	v_addc_co_u32_e32 v13, vcc, v13, v18, vcc
	global_load_dwordx4 v[19:22], v[12:13], off
	v_mov_b32_e32 v23, v18
	v_add_f16_e32 v24, v25, v24
	buffer_store_dword v24, off, s[28:31], 0 offset:12 ; 4-byte Folded Spill
	s_waitcnt vmcnt(2)
	v_sub_u32_sdwa v18, v0, v31 dst_sel:DWORD dst_unused:UNUSED_PAD src0_sel:BYTE_0 src1_sel:DWORD
	v_cvt_f32_i32_e32 v18, v18
	v_cvt_f16_f32_e32 v39, v18
	v_sub_u32_sdwa v18, v0, v31 dst_sel:DWORD dst_unused:UNUSED_PAD src0_sel:BYTE_1 src1_sel:DWORD
	v_cvt_f32_i32_e32 v18, v18
	v_cvt_f16_f32_e32 v40, v18
	v_sub_u32_sdwa v18, v0, v31 dst_sel:DWORD dst_unused:UNUSED_PAD src0_sel:BYTE_2 src1_sel:DWORD
	v_sub_u32_sdwa v0, v0, v31 dst_sel:DWORD dst_unused:UNUSED_PAD src0_sel:BYTE_3 src1_sel:DWORD
	v_cvt_f32_i32_e32 v0, v0
	v_cvt_f32_i32_e32 v18, v18
	v_cvt_f16_f32_e32 v42, v0
	s_waitcnt vmcnt(1)
	v_sub_u32_sdwa v0, v19, v31 dst_sel:DWORD dst_unused:UNUSED_PAD src0_sel:BYTE_0 src1_sel:DWORD
	v_cvt_f32_i32_e32 v0, v0
	v_cvt_f16_f32_e32 v41, v18
	v_sub_u32_sdwa v18, v3, v16 dst_sel:DWORD dst_unused:UNUSED_PAD src0_sel:BYTE_2 src1_sel:DWORD
	v_cvt_f32_i32_e32 v18, v18
	v_cvt_f16_f32_e32 v43, v0
	v_sub_u32_sdwa v0, v19, v31 dst_sel:DWORD dst_unused:UNUSED_PAD src0_sel:BYTE_1 src1_sel:DWORD
	v_cvt_f32_i32_e32 v0, v0
	v_cvt_f16_f32_e32 v24, v18
	v_cvt_f16_f32_e32 v45, v0
	v_sub_u32_sdwa v0, v19, v31 dst_sel:DWORD dst_unused:UNUSED_PAD src0_sel:BYTE_2 src1_sel:DWORD
	v_cvt_f32_i32_e32 v0, v0
	v_cvt_f16_f32_e32 v47, v0
	v_sub_u32_sdwa v0, v19, v31 dst_sel:DWORD dst_unused:UNUSED_PAD src0_sel:BYTE_3 src1_sel:DWORD
	v_cvt_f32_i32_e32 v0, v0
	v_cvt_f16_f32_e32 v49, v0
	v_sub_u32_sdwa v0, v1, v33 dst_sel:DWORD dst_unused:UNUSED_PAD src0_sel:BYTE_0 src1_sel:DWORD
	v_cvt_f32_i32_e32 v0, v0
	v_cvt_f16_f32_e32 v44, v0
	v_sub_u32_sdwa v0, v1, v33 dst_sel:DWORD dst_unused:UNUSED_PAD src0_sel:BYTE_1 src1_sel:DWORD
	v_cvt_f32_i32_e32 v0, v0
	v_cvt_f16_f32_e32 v46, v0
	v_sub_u32_sdwa v0, v1, v33 dst_sel:DWORD dst_unused:UNUSED_PAD src0_sel:BYTE_2 src1_sel:DWORD
	v_cvt_f32_i32_e32 v0, v0
	v_cvt_f16_f32_e32 v48, v0
	v_sub_u32_sdwa v0, v1, v33 dst_sel:DWORD dst_unused:UNUSED_PAD src0_sel:BYTE_3 src1_sel:DWORD
	v_cvt_f32_i32_e32 v0, v0
	v_cvt_f16_f32_e32 v50, v0
	v_sub_u32_sdwa v0, v20, v33 dst_sel:DWORD dst_unused:UNUSED_PAD src0_sel:BYTE_0 src1_sel:DWORD
	v_cvt_f32_i32_e32 v0, v0
	v_cvt_f16_f32_e32 v51, v0
	v_sub_u32_sdwa v0, v20, v33 dst_sel:DWORD dst_unused:UNUSED_PAD src0_sel:BYTE_1 src1_sel:DWORD
	v_cvt_f32_i32_e32 v0, v0
	;; [unrolled: 12-line block ×3, first 2 shown]
	v_cvt_f16_f32_e32 v54, v0
	v_sub_u32_sdwa v0, v2, v17 dst_sel:DWORD dst_unused:UNUSED_PAD src0_sel:BYTE_2 src1_sel:DWORD
	v_cvt_f32_i32_e32 v0, v0
	v_cvt_f16_f32_e32 v56, v0
	v_sub_u32_sdwa v0, v2, v17 dst_sel:DWORD dst_unused:UNUSED_PAD src0_sel:BYTE_3 src1_sel:DWORD
	v_cvt_f32_i32_e32 v0, v0
	v_sub_u32_sdwa v2, v3, v16 dst_sel:DWORD dst_unused:UNUSED_PAD src0_sel:BYTE_1 src1_sel:DWORD
	v_cvt_f32_i32_e32 v2, v2
	v_cvt_f16_f32_e32 v58, v0
	v_sub_u32_sdwa v0, v21, v17 dst_sel:DWORD dst_unused:UNUSED_PAD src0_sel:BYTE_0 src1_sel:DWORD
	v_cvt_f32_i32_e32 v0, v0
	v_cvt_f16_f32_e32 v2, v2
	v_cvt_f16_f32_e32 v59, v0
	v_sub_u32_sdwa v0, v21, v17 dst_sel:DWORD dst_unused:UNUSED_PAD src0_sel:BYTE_1 src1_sel:DWORD
	v_cvt_f32_i32_e32 v0, v0
	v_cvt_f16_f32_e32 v1, v0
	v_sub_u32_sdwa v0, v21, v17 dst_sel:DWORD dst_unused:UNUSED_PAD src0_sel:BYTE_2 src1_sel:DWORD
	v_cvt_f32_i32_e32 v0, v0
	v_cvt_f16_f32_e32 v20, v0
	v_sub_u32_sdwa v0, v21, v17 dst_sel:DWORD dst_unused:UNUSED_PAD src0_sel:BYTE_3 src1_sel:DWORD
	v_cvt_f32_i32_e32 v0, v0
	v_cvt_f16_f32_e32 v21, v0
	v_sub_u32_sdwa v0, v3, v16 dst_sel:DWORD dst_unused:UNUSED_PAD src0_sel:BYTE_0 src1_sel:DWORD
	v_sub_u32_sdwa v3, v3, v16 dst_sel:DWORD dst_unused:UNUSED_PAD src0_sel:BYTE_3 src1_sel:DWORD
	v_cvt_f32_i32_e32 v3, v3
	v_cvt_f32_i32_e32 v0, v0
	v_cvt_f16_f32_e32 v25, v3
	v_sub_u32_sdwa v3, v22, v16 dst_sel:DWORD dst_unused:UNUSED_PAD src0_sel:BYTE_0 src1_sel:DWORD
	v_cvt_f32_i32_e32 v3, v3
	v_cvt_f16_f32_e32 v0, v0
	v_cvt_f16_f32_e32 v26, v3
	v_sub_u32_sdwa v3, v22, v16 dst_sel:DWORD dst_unused:UNUSED_PAD src0_sel:BYTE_1 src1_sel:DWORD
	v_cvt_f32_i32_e32 v3, v3
	v_cvt_f16_f32_e32 v27, v3
	v_sub_u32_sdwa v3, v22, v16 dst_sel:DWORD dst_unused:UNUSED_PAD src0_sel:BYTE_2 src1_sel:DWORD
	v_cvt_f32_i32_e32 v3, v3
	v_cvt_f16_f32_e32 v19, v3
	v_sub_u32_sdwa v3, v22, v16 dst_sel:DWORD dst_unused:UNUSED_PAD src0_sel:BYTE_3 src1_sel:DWORD
	v_cvt_f32_i32_e32 v3, v3
	v_cvt_f16_f32_e32 v18, v3
	v_fma_mix_f32 v3, v39, v8, 0 op_sel_hi:[1,1,0]
	v_fma_mix_f32 v3, v40, v8, v3 op_sel:[0,1,0] op_sel_hi:[1,1,0]
	v_fma_mix_f32 v3, v41, v9, v3 op_sel_hi:[1,1,0]
	v_fma_mix_f32 v3, v42, v9, v3 op_sel:[0,1,0] op_sel_hi:[1,1,0]
	v_fma_mix_f32 v3, v43, v10, v3 op_sel_hi:[1,1,0]
	v_fma_mix_f32 v3, v45, v10, v3 op_sel:[0,1,0] op_sel_hi:[1,1,0]
	v_fma_mix_f32 v3, v47, v11, v3 op_sel_hi:[1,1,0]
	v_fma_mix_f32 v3, v49, v11, v3 op_sel:[0,1,0] op_sel_hi:[1,1,0]
	v_fma_mixlo_f16 v3, v3, v29, 0 op_sel_hi:[0,1,0]
	v_add_f16_e32 v36, v32, v3
	v_fma_mix_f32 v3, v44, v8, 0 op_sel_hi:[1,1,0]
	v_fma_mix_f32 v3, v46, v8, v3 op_sel:[0,1,0] op_sel_hi:[1,1,0]
	v_fma_mix_f32 v3, v48, v9, v3 op_sel_hi:[1,1,0]
	v_fma_mix_f32 v3, v50, v9, v3 op_sel:[0,1,0] op_sel_hi:[1,1,0]
	;; [unrolled: 2-line block ×4, first 2 shown]
	v_fma_mixlo_f16 v3, v3, v29, 0 op_sel:[0,1,0] op_sel_hi:[0,1,0]
	v_add_f16_e32 v32, v38, v3
	v_fma_mix_f32 v3, v52, v8, 0 op_sel_hi:[1,1,0]
	v_fma_mix_f32 v3, v54, v8, v3 op_sel:[0,1,0] op_sel_hi:[1,1,0]
	v_fma_mix_f32 v3, v56, v9, v3 op_sel_hi:[1,1,0]
	v_fma_mix_f32 v3, v58, v9, v3 op_sel:[0,1,0] op_sel_hi:[1,1,0]
	;; [unrolled: 2-line block ×4, first 2 shown]
	v_fma_mixlo_f16 v3, v3, v30, 0 op_sel_hi:[0,1,0]
	v_add_f16_e32 v38, v14, v3
	buffer_load_dword v14, off, s[28:31], 0 offset:44 ; 4-byte Folded Reload
	v_fma_mix_f32 v3, v0, v8, 0 op_sel_hi:[1,1,0]
	v_fma_mix_f32 v3, v2, v8, v3 op_sel:[0,1,0] op_sel_hi:[1,1,0]
	v_fma_mix_f32 v3, v24, v9, v3 op_sel_hi:[1,1,0]
	v_fma_mix_f32 v3, v25, v9, v3 op_sel:[0,1,0] op_sel_hi:[1,1,0]
	;; [unrolled: 2-line block ×4, first 2 shown]
	ds_read_b128 v[8:11], v35 offset:272
	v_fma_mixlo_f16 v3, v3, v30, 0 op_sel:[0,1,0] op_sel_hi:[0,1,0]
	v_add_f16_e32 v31, v15, v3
	s_waitcnt lgkmcnt(0)
	v_fma_mix_f32 v3, v39, v8, 0 op_sel_hi:[1,1,0]
	v_fma_mix_f32 v3, v40, v8, v3 op_sel:[0,1,0] op_sel_hi:[1,1,0]
	v_fma_mix_f32 v3, v41, v9, v3 op_sel_hi:[1,1,0]
	v_fma_mix_f32 v3, v42, v9, v3 op_sel:[0,1,0] op_sel_hi:[1,1,0]
	;; [unrolled: 2-line block ×4, first 2 shown]
	v_fma_mixlo_f16 v3, v3, v29, 0 op_sel_hi:[0,1,0]
	s_waitcnt vmcnt(0)
	v_add_f16_e32 v3, v14, v3
	buffer_load_dword v14, off, s[28:31], 0 offset:68 ; 4-byte Folded Reload
	s_nop 0
	buffer_store_dword v3, off, s[28:31], 0 offset:24 ; 4-byte Folded Spill
	v_fma_mix_f32 v3, v44, v8, 0 op_sel_hi:[1,1,0]
	v_fma_mix_f32 v3, v46, v8, v3 op_sel:[0,1,0] op_sel_hi:[1,1,0]
	v_fma_mix_f32 v3, v48, v9, v3 op_sel_hi:[1,1,0]
	v_fma_mix_f32 v3, v50, v9, v3 op_sel:[0,1,0] op_sel_hi:[1,1,0]
	;; [unrolled: 2-line block ×4, first 2 shown]
	v_fma_mixlo_f16 v3, v3, v29, 0 op_sel:[0,1,0] op_sel_hi:[0,1,0]
	s_waitcnt vmcnt(1)
	v_add_f16_e32 v3, v14, v3
	buffer_load_dword v14, off, s[28:31], 0 offset:72 ; 4-byte Folded Reload
	s_nop 0
	buffer_store_dword v3, off, s[28:31], 0 offset:28 ; 4-byte Folded Spill
	v_fma_mix_f32 v3, v52, v8, 0 op_sel_hi:[1,1,0]
	v_fma_mix_f32 v3, v54, v8, v3 op_sel:[0,1,0] op_sel_hi:[1,1,0]
	v_fma_mix_f32 v3, v56, v9, v3 op_sel_hi:[1,1,0]
	v_fma_mix_f32 v3, v58, v9, v3 op_sel:[0,1,0] op_sel_hi:[1,1,0]
	v_fma_mix_f32 v3, v59, v10, v3 op_sel_hi:[1,1,0]
	v_fma_mix_f32 v3, v1, v10, v3 op_sel:[0,1,0] op_sel_hi:[1,1,0]
	v_fma_mix_f32 v3, v20, v11, v3 op_sel_hi:[1,1,0]
	v_fma_mix_f32 v3, v21, v11, v3 op_sel:[0,1,0] op_sel_hi:[1,1,0]
	v_fma_mixlo_f16 v3, v3, v30, 0 op_sel_hi:[0,1,0]
	s_waitcnt vmcnt(1)
	v_add_f16_e32 v3, v14, v3
	buffer_store_dword v3, off, s[28:31], 0 offset:32 ; 4-byte Folded Spill
	v_fma_mix_f32 v3, v0, v8, 0 op_sel_hi:[1,1,0]
	v_fma_mix_f32 v3, v2, v8, v3 op_sel:[0,1,0] op_sel_hi:[1,1,0]
	buffer_load_dword v8, off, s[28:31], 0 offset:76 ; 4-byte Folded Reload
	buffer_load_dword v14, off, s[28:31], 0 offset:40 ; 4-byte Folded Reload
	v_fma_mix_f32 v3, v24, v9, v3 op_sel_hi:[1,1,0]
	v_fma_mix_f32 v3, v25, v9, v3 op_sel:[0,1,0] op_sel_hi:[1,1,0]
	v_fma_mix_f32 v3, v26, v10, v3 op_sel_hi:[1,1,0]
	v_fma_mix_f32 v3, v27, v10, v3 op_sel:[0,1,0] op_sel_hi:[1,1,0]
	;; [unrolled: 2-line block ×3, first 2 shown]
	v_fma_mixlo_f16 v3, v3, v30, 0 op_sel:[0,1,0] op_sel_hi:[0,1,0]
	s_waitcnt vmcnt(1)
	v_add_f16_e32 v3, v8, v3
	ds_read_b128 v[8:11], v35 offset:528
	buffer_store_dword v3, off, s[28:31], 0 offset:36 ; 4-byte Folded Spill
	s_waitcnt lgkmcnt(0)
	v_fma_mix_f32 v3, v39, v8, 0 op_sel_hi:[1,1,0]
	v_fma_mix_f32 v3, v40, v8, v3 op_sel:[0,1,0] op_sel_hi:[1,1,0]
	v_fma_mix_f32 v3, v41, v9, v3 op_sel_hi:[1,1,0]
	v_fma_mix_f32 v3, v42, v9, v3 op_sel:[0,1,0] op_sel_hi:[1,1,0]
	v_fma_mix_f32 v3, v43, v10, v3 op_sel_hi:[1,1,0]
	v_fma_mix_f32 v3, v45, v10, v3 op_sel:[0,1,0] op_sel_hi:[1,1,0]
	v_fma_mix_f32 v3, v47, v11, v3 op_sel_hi:[1,1,0]
	v_fma_mix_f32 v3, v49, v11, v3 op_sel:[0,1,0] op_sel_hi:[1,1,0]
	v_fma_mixlo_f16 v3, v3, v29, 0 op_sel_hi:[0,1,0]
	s_waitcnt vmcnt(1)
	v_add_f16_e32 v3, v14, v3
	buffer_load_dword v14, off, s[28:31], 0 offset:48 ; 4-byte Folded Reload
	s_nop 0
	buffer_store_dword v3, off, s[28:31], 0 offset:40 ; 4-byte Folded Spill
	v_fma_mix_f32 v3, v44, v8, 0 op_sel_hi:[1,1,0]
	v_fma_mix_f32 v3, v46, v8, v3 op_sel:[0,1,0] op_sel_hi:[1,1,0]
	v_fma_mix_f32 v3, v48, v9, v3 op_sel_hi:[1,1,0]
	v_fma_mix_f32 v3, v50, v9, v3 op_sel:[0,1,0] op_sel_hi:[1,1,0]
	;; [unrolled: 2-line block ×4, first 2 shown]
	v_fma_mixlo_f16 v3, v3, v29, 0 op_sel:[0,1,0] op_sel_hi:[0,1,0]
	v_add_f16_e32 v3, v34, v3
	buffer_store_dword v3, off, s[28:31], 0 offset:44 ; 4-byte Folded Spill
	v_fma_mix_f32 v3, v52, v8, 0 op_sel_hi:[1,1,0]
	v_fma_mix_f32 v3, v54, v8, v3 op_sel:[0,1,0] op_sel_hi:[1,1,0]
	v_fma_mix_f32 v3, v56, v9, v3 op_sel_hi:[1,1,0]
	v_fma_mix_f32 v3, v58, v9, v3 op_sel:[0,1,0] op_sel_hi:[1,1,0]
	;; [unrolled: 2-line block ×4, first 2 shown]
	v_fma_mixlo_f16 v3, v3, v30, 0 op_sel_hi:[0,1,0]
	s_waitcnt vmcnt(2)
	v_add_f16_e32 v3, v14, v3
	buffer_store_dword v3, off, s[28:31], 0 offset:48 ; 4-byte Folded Spill
	v_fma_mix_f32 v3, v0, v8, 0 op_sel_hi:[1,1,0]
	v_fma_mix_f32 v3, v2, v8, v3 op_sel:[0,1,0] op_sel_hi:[1,1,0]
	buffer_load_dword v8, off, s[28:31], 0 offset:52 ; 4-byte Folded Reload
	buffer_load_dword v14, off, s[28:31], 0 offset:56 ; 4-byte Folded Reload
	v_fma_mix_f32 v3, v24, v9, v3 op_sel_hi:[1,1,0]
	v_fma_mix_f32 v3, v25, v9, v3 op_sel:[0,1,0] op_sel_hi:[1,1,0]
	v_fma_mix_f32 v3, v26, v10, v3 op_sel_hi:[1,1,0]
	v_fma_mix_f32 v3, v27, v10, v3 op_sel:[0,1,0] op_sel_hi:[1,1,0]
	;; [unrolled: 2-line block ×3, first 2 shown]
	v_fma_mixlo_f16 v3, v3, v30, 0 op_sel:[0,1,0] op_sel_hi:[0,1,0]
	s_waitcnt vmcnt(1)
	v_add_f16_e32 v3, v8, v3
	ds_read_b128 v[8:11], v35 offset:784
	buffer_store_dword v3, off, s[28:31], 0 offset:52 ; 4-byte Folded Spill
	s_waitcnt lgkmcnt(0)
	v_fma_mix_f32 v3, v39, v8, 0 op_sel_hi:[1,1,0]
	v_fma_mix_f32 v3, v40, v8, v3 op_sel:[0,1,0] op_sel_hi:[1,1,0]
	v_fma_mix_f32 v3, v41, v9, v3 op_sel_hi:[1,1,0]
	v_fma_mix_f32 v3, v42, v9, v3 op_sel:[0,1,0] op_sel_hi:[1,1,0]
	;; [unrolled: 2-line block ×4, first 2 shown]
	v_fma_mixlo_f16 v3, v3, v29, 0 op_sel_hi:[0,1,0]
	s_waitcnt vmcnt(1)
	v_add_f16_e32 v3, v14, v3
	buffer_load_dword v14, off, s[28:31], 0 offset:60 ; 4-byte Folded Reload
	s_nop 0
	buffer_store_dword v3, off, s[28:31], 0 offset:56 ; 4-byte Folded Spill
	v_fma_mix_f32 v3, v44, v8, 0 op_sel_hi:[1,1,0]
	v_fma_mix_f32 v3, v46, v8, v3 op_sel:[0,1,0] op_sel_hi:[1,1,0]
	v_fma_mix_f32 v3, v48, v9, v3 op_sel_hi:[1,1,0]
	v_fma_mix_f32 v3, v50, v9, v3 op_sel:[0,1,0] op_sel_hi:[1,1,0]
	;; [unrolled: 2-line block ×4, first 2 shown]
	v_fma_mixlo_f16 v3, v3, v29, 0 op_sel:[0,1,0] op_sel_hi:[0,1,0]
	s_waitcnt vmcnt(1)
	v_add_f16_e32 v3, v14, v3
	buffer_load_dword v14, off, s[28:31], 0 offset:64 ; 4-byte Folded Reload
	s_nop 0
	buffer_store_dword v3, off, s[28:31], 0 offset:60 ; 4-byte Folded Spill
	v_fma_mix_f32 v3, v52, v8, 0 op_sel_hi:[1,1,0]
	v_fma_mix_f32 v3, v54, v8, v3 op_sel:[0,1,0] op_sel_hi:[1,1,0]
	v_fma_mix_f32 v3, v56, v9, v3 op_sel_hi:[1,1,0]
	v_fma_mix_f32 v3, v58, v9, v3 op_sel:[0,1,0] op_sel_hi:[1,1,0]
	;; [unrolled: 2-line block ×4, first 2 shown]
	v_fma_mixlo_f16 v3, v3, v30, 0 op_sel_hi:[0,1,0]
	s_waitcnt vmcnt(1)
	v_add_f16_e32 v3, v14, v3
	buffer_load_dword v14, off, s[28:31], 0 offset:20 ; 4-byte Folded Reload
	s_nop 0
	buffer_store_dword v3, off, s[28:31], 0 offset:64 ; 4-byte Folded Spill
	v_fma_mix_f32 v3, v0, v8, 0 op_sel_hi:[1,1,0]
	v_fma_mix_f32 v3, v2, v8, v3 op_sel:[0,1,0] op_sel_hi:[1,1,0]
	v_fma_mix_f32 v3, v24, v9, v3 op_sel_hi:[1,1,0]
	v_fma_mix_f32 v3, v25, v9, v3 op_sel:[0,1,0] op_sel_hi:[1,1,0]
	;; [unrolled: 2-line block ×4, first 2 shown]
	ds_read_b128 v[8:11], v35 offset:1040
	v_fma_mixlo_f16 v3, v3, v30, 0 op_sel:[0,1,0] op_sel_hi:[0,1,0]
	v_add_f16_e32 v3, v37, v3
	buffer_store_dword v3, off, s[28:31], 0 offset:68 ; 4-byte Folded Spill
	v_mov_b32_e32 v37, v23
	s_waitcnt lgkmcnt(0)
	v_fma_mix_f32 v3, v39, v8, 0 op_sel_hi:[1,1,0]
	v_fma_mix_f32 v3, v40, v8, v3 op_sel:[0,1,0] op_sel_hi:[1,1,0]
	v_fma_mix_f32 v3, v41, v9, v3 op_sel_hi:[1,1,0]
	v_fma_mix_f32 v3, v42, v9, v3 op_sel:[0,1,0] op_sel_hi:[1,1,0]
	;; [unrolled: 2-line block ×4, first 2 shown]
	v_fma_mixlo_f16 v3, v3, v29, 0 op_sel_hi:[0,1,0]
	v_fma_mix_f32 v0, v0, v8, 0 op_sel_hi:[1,1,0]
	v_fma_mix_f32 v0, v2, v8, v0 op_sel:[0,1,0] op_sel_hi:[1,1,0]
	v_fma_mix_f32 v0, v24, v9, v0 op_sel_hi:[1,1,0]
	v_fma_mix_f32 v0, v25, v9, v0 op_sel:[0,1,0] op_sel_hi:[1,1,0]
	;; [unrolled: 2-line block ×4, first 2 shown]
	v_fma_mixlo_f16 v0, v0, v30, 0 op_sel:[0,1,0] op_sel_hi:[0,1,0]
	ds_read_b128 v[24:27], v35 offset:288
	s_waitcnt vmcnt(2)
	v_add_f16_e32 v39, v14, v3
	buffer_load_dword v14, off, s[28:31], 0 offset:16 ; 4-byte Folded Reload
	v_fma_mix_f32 v3, v44, v8, 0 op_sel_hi:[1,1,0]
	v_fma_mix_f32 v3, v46, v8, v3 op_sel:[0,1,0] op_sel_hi:[1,1,0]
	v_fma_mix_f32 v3, v48, v9, v3 op_sel_hi:[1,1,0]
	v_fma_mix_f32 v3, v50, v9, v3 op_sel:[0,1,0] op_sel_hi:[1,1,0]
	;; [unrolled: 2-line block ×4, first 2 shown]
	v_fma_mixlo_f16 v3, v3, v29, 0 op_sel:[0,1,0] op_sel_hi:[0,1,0]
	s_waitcnt vmcnt(0)
	v_add_f16_e32 v40, v14, v3
	v_fma_mix_f32 v3, v52, v8, 0 op_sel_hi:[1,1,0]
	v_fma_mix_f32 v3, v54, v8, v3 op_sel:[0,1,0] op_sel_hi:[1,1,0]
	v_fma_mix_f32 v3, v56, v9, v3 op_sel_hi:[1,1,0]
	v_fma_mix_f32 v3, v58, v9, v3 op_sel:[0,1,0] op_sel_hi:[1,1,0]
	;; [unrolled: 2-line block ×3, first 2 shown]
	buffer_load_dword v3, off, s[28:31], 0 offset:12 ; 4-byte Folded Reload
	v_fma_mix_f32 v1, v20, v11, v1 op_sel_hi:[1,1,0]
	v_fma_mix_f32 v1, v21, v11, v1 op_sel:[0,1,0] op_sel_hi:[1,1,0]
	v_fma_mixlo_f16 v1, v1, v30, 0 op_sel_hi:[0,1,0]
	s_waitcnt vmcnt(0)
	v_add_f16_e32 v41, v3, v1
	buffer_load_dword v1, off, s[28:31], 0 offset:8 ; 4-byte Folded Reload
	s_waitcnt vmcnt(0)
	v_add_f16_e32 v42, v1, v0
	v_add_co_u32_e32 v0, vcc, s2, v12
	v_addc_co_u32_e32 v1, vcc, v13, v37, vcc
	global_load_dwordx4 v[12:15], v[0:1], off
	v_add_co_u32_e32 v22, vcc, s2, v0
	v_addc_co_u32_e32 v23, vcc, v1, v37, vcc
	global_load_dwordx4 v[8:11], v[22:23], off
	s_waitcnt vmcnt(1)
	v_sub_u32_sdwa v0, v12, v28 dst_sel:DWORD dst_unused:UNUSED_PAD src0_sel:BYTE_0 src1_sel:DWORD
	v_cvt_f32_i32_e32 v0, v0
	v_cvt_f16_f32_e32 v43, v0
	v_sub_u32_sdwa v0, v12, v28 dst_sel:DWORD dst_unused:UNUSED_PAD src0_sel:BYTE_1 src1_sel:DWORD
	v_cvt_f32_i32_e32 v0, v0
	s_waitcnt vmcnt(0)
	v_sub_u32_sdwa v3, v11, v16 dst_sel:DWORD dst_unused:UNUSED_PAD src0_sel:BYTE_1 src1_sel:DWORD
	v_cvt_f32_i32_e32 v3, v3
	v_cvt_f16_f32_e32 v44, v0
	v_sub_u32_sdwa v0, v12, v28 dst_sel:DWORD dst_unused:UNUSED_PAD src0_sel:BYTE_2 src1_sel:DWORD
	v_cvt_f32_i32_e32 v0, v0
	v_cvt_f16_f32_e32 v18, v3
	v_sub_u32_sdwa v3, v11, v16 dst_sel:DWORD dst_unused:UNUSED_PAD src0_sel:BYTE_2 src1_sel:DWORD
	v_cvt_f32_i32_e32 v3, v3
	v_cvt_f16_f32_e32 v45, v0
	v_sub_u32_sdwa v0, v12, v28 dst_sel:DWORD dst_unused:UNUSED_PAD src0_sel:BYTE_3 src1_sel:DWORD
	v_cvt_f32_i32_e32 v0, v0
	v_cvt_f16_f32_e32 v34, v3
	v_sub_u32_sdwa v3, v11, v16 dst_sel:DWORD dst_unused:UNUSED_PAD src0_sel:BYTE_3 src1_sel:DWORD
	v_cvt_f32_i32_e32 v3, v3
	v_cvt_f16_f32_e32 v12, v0
	v_sub_u32_sdwa v0, v8, v28 dst_sel:DWORD dst_unused:UNUSED_PAD src0_sel:BYTE_0 src1_sel:DWORD
	v_cvt_f32_i32_e32 v0, v0
	v_cvt_f16_f32_e32 v19, v3
	v_fma_mix_f32 v3, v43, v4, 0 op_sel_hi:[1,1,0]
	v_fma_mix_f32 v3, v44, v4, v3 op_sel:[0,1,0] op_sel_hi:[1,1,0]
	v_cvt_f16_f32_e32 v46, v0
	v_sub_u32_sdwa v0, v8, v28 dst_sel:DWORD dst_unused:UNUSED_PAD src0_sel:BYTE_1 src1_sel:DWORD
	v_cvt_f32_i32_e32 v0, v0
	v_fma_mix_f32 v3, v45, v5, v3 op_sel_hi:[1,1,0]
	v_fma_mix_f32 v3, v12, v5, v3 op_sel:[0,1,0] op_sel_hi:[1,1,0]
	v_fma_mix_f32 v3, v46, v6, v3 op_sel_hi:[1,1,0]
	v_cvt_f16_f32_e32 v47, v0
	v_sub_u32_sdwa v0, v8, v28 dst_sel:DWORD dst_unused:UNUSED_PAD src0_sel:BYTE_2 src1_sel:DWORD
	v_cvt_f32_i32_e32 v0, v0
	v_fma_mix_f32 v3, v47, v6, v3 op_sel:[0,1,0] op_sel_hi:[1,1,0]
	v_cvt_f16_f32_e32 v48, v0
	v_sub_u32_sdwa v0, v8, v28 dst_sel:DWORD dst_unused:UNUSED_PAD src0_sel:BYTE_3 src1_sel:DWORD
	v_cvt_f32_i32_e32 v0, v0
	v_fma_mix_f32 v3, v48, v7, v3 op_sel_hi:[1,1,0]
	v_cvt_f16_f32_e32 v8, v0
	v_sub_u32_sdwa v0, v13, v33 dst_sel:DWORD dst_unused:UNUSED_PAD src0_sel:BYTE_0 src1_sel:DWORD
	v_cvt_f32_i32_e32 v0, v0
	v_fma_mix_f32 v3, v8, v7, v3 op_sel:[0,1,0] op_sel_hi:[1,1,0]
	v_fma_mixlo_f16 v3, v3, v29, 0 op_sel_hi:[0,1,0]
	v_cvt_f16_f32_e32 v49, v0
	v_sub_u32_sdwa v0, v13, v33 dst_sel:DWORD dst_unused:UNUSED_PAD src0_sel:BYTE_1 src1_sel:DWORD
	v_cvt_f32_i32_e32 v0, v0
	v_add_f16_e32 v36, v36, v3
	v_fma_mix_f32 v3, v49, v4, 0 op_sel_hi:[1,1,0]
	v_cvt_f16_f32_e32 v50, v0
	v_sub_u32_sdwa v0, v13, v33 dst_sel:DWORD dst_unused:UNUSED_PAD src0_sel:BYTE_2 src1_sel:DWORD
	v_cvt_f32_i32_e32 v0, v0
	v_fma_mix_f32 v3, v50, v4, v3 op_sel:[0,1,0] op_sel_hi:[1,1,0]
	v_cvt_f16_f32_e32 v51, v0
	v_sub_u32_sdwa v0, v13, v33 dst_sel:DWORD dst_unused:UNUSED_PAD src0_sel:BYTE_3 src1_sel:DWORD
	v_cvt_f32_i32_e32 v0, v0
	v_fma_mix_f32 v3, v51, v5, v3 op_sel_hi:[1,1,0]
	v_cvt_f16_f32_e32 v13, v0
	v_sub_u32_sdwa v0, v9, v33 dst_sel:DWORD dst_unused:UNUSED_PAD src0_sel:BYTE_0 src1_sel:DWORD
	v_cvt_f32_i32_e32 v0, v0
	v_fma_mix_f32 v3, v13, v5, v3 op_sel:[0,1,0] op_sel_hi:[1,1,0]
	v_cvt_f16_f32_e32 v52, v0
	v_sub_u32_sdwa v0, v9, v33 dst_sel:DWORD dst_unused:UNUSED_PAD src0_sel:BYTE_1 src1_sel:DWORD
	v_cvt_f32_i32_e32 v0, v0
	v_fma_mix_f32 v3, v52, v6, v3 op_sel_hi:[1,1,0]
	v_cvt_f16_f32_e32 v53, v0
	v_sub_u32_sdwa v0, v9, v33 dst_sel:DWORD dst_unused:UNUSED_PAD src0_sel:BYTE_2 src1_sel:DWORD
	v_cvt_f32_i32_e32 v0, v0
	v_fma_mix_f32 v3, v53, v6, v3 op_sel:[0,1,0] op_sel_hi:[1,1,0]
	v_cvt_f16_f32_e32 v54, v0
	v_sub_u32_sdwa v0, v9, v33 dst_sel:DWORD dst_unused:UNUSED_PAD src0_sel:BYTE_3 src1_sel:DWORD
	v_cvt_f32_i32_e32 v0, v0
	v_fma_mix_f32 v3, v54, v7, v3 op_sel_hi:[1,1,0]
	v_cvt_f16_f32_e32 v9, v0
	v_sub_u32_sdwa v0, v14, v17 dst_sel:DWORD dst_unused:UNUSED_PAD src0_sel:BYTE_0 src1_sel:DWORD
	v_cvt_f32_i32_e32 v0, v0
	v_fma_mix_f32 v3, v9, v7, v3 op_sel:[0,1,0] op_sel_hi:[1,1,0]
	v_fma_mixlo_f16 v3, v3, v29, 0 op_sel:[0,1,0] op_sel_hi:[0,1,0]
	v_cvt_f16_f32_e32 v55, v0
	v_sub_u32_sdwa v0, v14, v17 dst_sel:DWORD dst_unused:UNUSED_PAD src0_sel:BYTE_1 src1_sel:DWORD
	v_cvt_f32_i32_e32 v0, v0
	v_add_f16_e32 v32, v32, v3
	v_fma_mix_f32 v3, v55, v4, 0 op_sel_hi:[1,1,0]
	v_cvt_f16_f32_e32 v56, v0
	v_sub_u32_sdwa v0, v14, v17 dst_sel:DWORD dst_unused:UNUSED_PAD src0_sel:BYTE_2 src1_sel:DWORD
	v_cvt_f32_i32_e32 v0, v0
	v_fma_mix_f32 v3, v56, v4, v3 op_sel:[0,1,0] op_sel_hi:[1,1,0]
	v_cvt_f16_f32_e32 v57, v0
	v_sub_u32_sdwa v0, v14, v17 dst_sel:DWORD dst_unused:UNUSED_PAD src0_sel:BYTE_3 src1_sel:DWORD
	v_cvt_f32_i32_e32 v0, v0
	v_fma_mix_f32 v3, v57, v5, v3 op_sel_hi:[1,1,0]
	v_cvt_f16_f32_e32 v14, v0
	v_sub_u32_sdwa v0, v10, v17 dst_sel:DWORD dst_unused:UNUSED_PAD src0_sel:BYTE_0 src1_sel:DWORD
	v_cvt_f32_i32_e32 v0, v0
	v_fma_mix_f32 v3, v14, v5, v3 op_sel:[0,1,0] op_sel_hi:[1,1,0]
	v_cvt_f16_f32_e32 v58, v0
	v_sub_u32_sdwa v0, v10, v17 dst_sel:DWORD dst_unused:UNUSED_PAD src0_sel:BYTE_1 src1_sel:DWORD
	v_cvt_f32_i32_e32 v0, v0
	v_fma_mix_f32 v3, v58, v6, v3 op_sel_hi:[1,1,0]
	v_cvt_f16_f32_e32 v59, v0
	v_sub_u32_sdwa v0, v10, v17 dst_sel:DWORD dst_unused:UNUSED_PAD src0_sel:BYTE_2 src1_sel:DWORD
	v_cvt_f32_i32_e32 v0, v0
	v_fma_mix_f32 v3, v59, v6, v3 op_sel:[0,1,0] op_sel_hi:[1,1,0]
	v_cvt_f16_f32_e32 v20, v0
	v_sub_u32_sdwa v0, v10, v17 dst_sel:DWORD dst_unused:UNUSED_PAD src0_sel:BYTE_3 src1_sel:DWORD
	v_cvt_f32_i32_e32 v0, v0
	v_fma_mix_f32 v3, v20, v7, v3 op_sel_hi:[1,1,0]
	v_cvt_f16_f32_e32 v10, v0
	v_sub_u32_sdwa v0, v15, v16 dst_sel:DWORD dst_unused:UNUSED_PAD src0_sel:BYTE_0 src1_sel:DWORD
	v_cvt_f32_i32_e32 v0, v0
	v_fma_mix_f32 v3, v10, v7, v3 op_sel:[0,1,0] op_sel_hi:[1,1,0]
	v_fma_mixlo_f16 v3, v3, v30, 0 op_sel_hi:[0,1,0]
	v_cvt_f16_f32_e32 v21, v0
	v_sub_u32_sdwa v0, v15, v16 dst_sel:DWORD dst_unused:UNUSED_PAD src0_sel:BYTE_1 src1_sel:DWORD
	v_cvt_f32_i32_e32 v0, v0
	v_cvt_f16_f32_e32 v2, v0
	v_sub_u32_sdwa v0, v15, v16 dst_sel:DWORD dst_unused:UNUSED_PAD src0_sel:BYTE_2 src1_sel:DWORD
	v_cvt_f32_i32_e32 v0, v0
	v_cvt_f16_f32_e32 v1, v0
	v_sub_u32_sdwa v0, v15, v16 dst_sel:DWORD dst_unused:UNUSED_PAD src0_sel:BYTE_3 src1_sel:DWORD
	v_cvt_f32_i32_e32 v0, v0
	v_cvt_f16_f32_e32 v15, v0
	v_sub_u32_sdwa v0, v11, v16 dst_sel:DWORD dst_unused:UNUSED_PAD src0_sel:BYTE_0 src1_sel:DWORD
	v_add_f16_e32 v11, v38, v3
	v_fma_mix_f32 v3, v21, v4, 0 op_sel_hi:[1,1,0]
	v_fma_mix_f32 v3, v2, v4, v3 op_sel:[0,1,0] op_sel_hi:[1,1,0]
	v_fma_mix_f32 v3, v1, v5, v3 op_sel_hi:[1,1,0]
	v_cvt_f32_i32_e32 v0, v0
	v_fma_mix_f32 v3, v15, v5, v3 op_sel:[0,1,0] op_sel_hi:[1,1,0]
	buffer_load_dword v5, off, s[28:31], 0 offset:24 ; 4-byte Folded Reload
	s_waitcnt lgkmcnt(0)
	v_fma_mix_f32 v4, v43, v24, 0 op_sel_hi:[1,1,0]
	v_cvt_f16_f32_e32 v0, v0
	v_fma_mix_f32 v4, v44, v24, v4 op_sel:[0,1,0] op_sel_hi:[1,1,0]
	v_fma_mix_f32 v4, v45, v25, v4 op_sel_hi:[1,1,0]
	v_fma_mix_f32 v4, v12, v25, v4 op_sel:[0,1,0] op_sel_hi:[1,1,0]
	v_fma_mix_f32 v3, v0, v6, v3 op_sel_hi:[1,1,0]
	v_fma_mix_f32 v3, v18, v6, v3 op_sel:[0,1,0] op_sel_hi:[1,1,0]
	buffer_load_dword v6, off, s[28:31], 0 offset:28 ; 4-byte Folded Reload
	v_fma_mix_f32 v3, v34, v7, v3 op_sel_hi:[1,1,0]
	v_fma_mix_f32 v3, v19, v7, v3 op_sel:[0,1,0] op_sel_hi:[1,1,0]
	v_fma_mixlo_f16 v3, v3, v30, 0 op_sel:[0,1,0] op_sel_hi:[0,1,0]
	v_add_f16_e32 v3, v31, v3
	buffer_load_dword v31, off, s[28:31], 0 offset:32 ; 4-byte Folded Reload
	v_fma_mix_f32 v4, v46, v26, v4 op_sel_hi:[1,1,0]
	v_fma_mix_f32 v4, v47, v26, v4 op_sel:[0,1,0] op_sel_hi:[1,1,0]
	v_fma_mix_f32 v4, v48, v27, v4 op_sel_hi:[1,1,0]
	v_fma_mix_f32 v4, v8, v27, v4 op_sel:[0,1,0] op_sel_hi:[1,1,0]
	v_fma_mixlo_f16 v4, v4, v29, 0 op_sel_hi:[0,1,0]
	s_waitcnt vmcnt(2)
	v_add_f16_e32 v5, v5, v4
	v_fma_mix_f32 v4, v49, v24, 0 op_sel_hi:[1,1,0]
	v_fma_mix_f32 v4, v50, v24, v4 op_sel:[0,1,0] op_sel_hi:[1,1,0]
	v_fma_mix_f32 v4, v51, v25, v4 op_sel_hi:[1,1,0]
	v_fma_mix_f32 v4, v13, v25, v4 op_sel:[0,1,0] op_sel_hi:[1,1,0]
	;; [unrolled: 2-line block ×4, first 2 shown]
	v_fma_mixlo_f16 v4, v4, v29, 0 op_sel:[0,1,0] op_sel_hi:[0,1,0]
	s_waitcnt vmcnt(1)
	v_add_f16_e32 v4, v6, v4
	v_fma_mix_f32 v6, v55, v24, 0 op_sel_hi:[1,1,0]
	v_fma_mix_f32 v6, v56, v24, v6 op_sel:[0,1,0] op_sel_hi:[1,1,0]
	v_fma_mix_f32 v6, v57, v25, v6 op_sel_hi:[1,1,0]
	v_fma_mix_f32 v6, v14, v25, v6 op_sel:[0,1,0] op_sel_hi:[1,1,0]
	;; [unrolled: 2-line block ×4, first 2 shown]
	v_fma_mixlo_f16 v6, v6, v30, 0 op_sel_hi:[0,1,0]
	s_waitcnt vmcnt(0)
	v_add_f16_e32 v6, v31, v6
	buffer_store_dword v6, off, s[28:31], 0 offset:72 ; 4-byte Folded Spill
	v_fma_mix_f32 v6, v21, v24, 0 op_sel_hi:[1,1,0]
	v_fma_mix_f32 v6, v2, v24, v6 op_sel:[0,1,0] op_sel_hi:[1,1,0]
	buffer_load_dword v24, off, s[28:31], 0 offset:36 ; 4-byte Folded Reload
	buffer_load_dword v31, off, s[28:31], 0 offset:40 ; 4-byte Folded Reload
	v_fma_mix_f32 v6, v1, v25, v6 op_sel_hi:[1,1,0]
	v_fma_mix_f32 v6, v15, v25, v6 op_sel:[0,1,0] op_sel_hi:[1,1,0]
	v_fma_mix_f32 v6, v0, v26, v6 op_sel_hi:[1,1,0]
	v_fma_mix_f32 v6, v18, v26, v6 op_sel:[0,1,0] op_sel_hi:[1,1,0]
	;; [unrolled: 2-line block ×3, first 2 shown]
	v_fma_mixlo_f16 v6, v6, v30, 0 op_sel:[0,1,0] op_sel_hi:[0,1,0]
	s_waitcnt vmcnt(1)
	v_add_f16_e32 v38, v24, v6
	ds_read_b128 v[24:27], v35 offset:544
	v_mov_b32_e32 v6, s4
	s_add_i32 s4, s4, 64
	s_cmp_ge_i32 s24, s25
	s_waitcnt lgkmcnt(0)
	v_fma_mix_f32 v7, v43, v24, 0 op_sel_hi:[1,1,0]
	v_fma_mix_f32 v7, v44, v24, v7 op_sel:[0,1,0] op_sel_hi:[1,1,0]
	v_fma_mix_f32 v7, v45, v25, v7 op_sel_hi:[1,1,0]
	v_fma_mix_f32 v7, v12, v25, v7 op_sel:[0,1,0] op_sel_hi:[1,1,0]
	;; [unrolled: 2-line block ×4, first 2 shown]
	v_fma_mixlo_f16 v7, v7, v29, 0 op_sel_hi:[0,1,0]
	s_waitcnt vmcnt(0)
	v_add_f16_e32 v7, v31, v7
	buffer_load_dword v31, off, s[28:31], 0 offset:44 ; 4-byte Folded Reload
	v_fma_mix_f32 v35, v55, v24, 0 op_sel_hi:[1,1,0]
	buffer_store_dword v7, off, s[28:31], 0 offset:36 ; 4-byte Folded Spill
	v_fma_mix_f32 v7, v49, v24, 0 op_sel_hi:[1,1,0]
	v_fma_mix_f32 v7, v50, v24, v7 op_sel:[0,1,0] op_sel_hi:[1,1,0]
	v_fma_mix_f32 v7, v51, v25, v7 op_sel_hi:[1,1,0]
	v_fma_mix_f32 v7, v13, v25, v7 op_sel:[0,1,0] op_sel_hi:[1,1,0]
	;; [unrolled: 2-line block ×4, first 2 shown]
	v_fma_mixlo_f16 v7, v7, v29, 0 op_sel:[0,1,0] op_sel_hi:[0,1,0]
	v_fma_mix_f32 v35, v56, v24, v35 op_sel:[0,1,0] op_sel_hi:[1,1,0]
	v_fma_mix_f32 v35, v57, v25, v35 op_sel_hi:[1,1,0]
	v_fma_mix_f32 v35, v14, v25, v35 op_sel:[0,1,0] op_sel_hi:[1,1,0]
	v_fma_mix_f32 v35, v58, v26, v35 op_sel_hi:[1,1,0]
	;; [unrolled: 2-line block ×3, first 2 shown]
	v_fma_mix_f32 v35, v10, v27, v35 op_sel:[0,1,0] op_sel_hi:[1,1,0]
	v_fma_mixlo_f16 v35, v35, v30, 0 op_sel_hi:[0,1,0]
	s_waitcnt vmcnt(1)
	v_add_f16_e32 v7, v31, v7
	buffer_load_dword v31, off, s[28:31], 0 offset:48 ; 4-byte Folded Reload
	s_waitcnt vmcnt(0)
	v_add_f16_e32 v31, v31, v35
	v_fma_mix_f32 v35, v21, v24, 0 op_sel_hi:[1,1,0]
	v_fma_mix_f32 v24, v2, v24, v35 op_sel:[0,1,0] op_sel_hi:[1,1,0]
	v_fma_mix_f32 v24, v1, v25, v24 op_sel_hi:[1,1,0]
	v_fma_mix_f32 v24, v15, v25, v24 op_sel:[0,1,0] op_sel_hi:[1,1,0]
	buffer_load_dword v25, off, s[28:31], 0 offset:52 ; 4-byte Folded Reload
	v_fma_mix_f32 v24, v0, v26, v24 op_sel_hi:[1,1,0]
	buffer_store_dword v31, off, s[28:31], 0 offset:28 ; 4-byte Folded Spill
	buffer_load_dword v31, off, s[28:31], 0 offset:56 ; 4-byte Folded Reload
	v_fma_mix_f32 v24, v18, v26, v24 op_sel:[0,1,0] op_sel_hi:[1,1,0]
	v_fma_mix_f32 v24, v34, v27, v24 op_sel_hi:[1,1,0]
	v_fma_mix_f32 v24, v19, v27, v24 op_sel:[0,1,0] op_sel_hi:[1,1,0]
	v_fma_mixlo_f16 v24, v24, v30, 0 op_sel:[0,1,0] op_sel_hi:[0,1,0]
	s_waitcnt vmcnt(2)
	v_add_f16_e32 v24, v25, v24
	buffer_store_dword v24, off, s[28:31], 0 offset:32 ; 4-byte Folded Spill
	ds_read_b128 v[24:27], v6 offset:800
	s_waitcnt lgkmcnt(0)
	v_fma_mix_f32 v35, v43, v24, 0 op_sel_hi:[1,1,0]
	v_fma_mix_f32 v35, v44, v24, v35 op_sel:[0,1,0] op_sel_hi:[1,1,0]
	v_fma_mix_f32 v35, v45, v25, v35 op_sel_hi:[1,1,0]
	v_fma_mix_f32 v35, v12, v25, v35 op_sel:[0,1,0] op_sel_hi:[1,1,0]
	;; [unrolled: 2-line block ×4, first 2 shown]
	v_fma_mixlo_f16 v35, v35, v29, 0 op_sel_hi:[0,1,0]
	s_waitcnt vmcnt(1)
	v_add_f16_e32 v31, v31, v35
	buffer_store_dword v31, off, s[28:31], 0 offset:20 ; 4-byte Folded Spill
	buffer_load_dword v31, off, s[28:31], 0 offset:60 ; 4-byte Folded Reload
	v_fma_mix_f32 v35, v49, v24, 0 op_sel_hi:[1,1,0]
	v_fma_mix_f32 v35, v50, v24, v35 op_sel:[0,1,0] op_sel_hi:[1,1,0]
	v_fma_mix_f32 v35, v51, v25, v35 op_sel_hi:[1,1,0]
	v_fma_mix_f32 v35, v13, v25, v35 op_sel:[0,1,0] op_sel_hi:[1,1,0]
	;; [unrolled: 2-line block ×4, first 2 shown]
	v_fma_mixlo_f16 v35, v35, v29, 0 op_sel:[0,1,0] op_sel_hi:[0,1,0]
	s_waitcnt vmcnt(0)
	v_add_f16_e32 v31, v31, v35
	buffer_load_dword v35, off, s[28:31], 0 offset:64 ; 4-byte Folded Reload
	s_nop 0
	buffer_store_dword v31, off, s[28:31], 0 offset:24 ; 4-byte Folded Spill
	v_fma_mix_f32 v31, v55, v24, 0 op_sel_hi:[1,1,0]
	v_fma_mix_f32 v31, v56, v24, v31 op_sel:[0,1,0] op_sel_hi:[1,1,0]
	v_fma_mix_f32 v31, v57, v25, v31 op_sel_hi:[1,1,0]
	v_fma_mix_f32 v31, v14, v25, v31 op_sel:[0,1,0] op_sel_hi:[1,1,0]
	;; [unrolled: 2-line block ×4, first 2 shown]
	v_fma_mixlo_f16 v31, v31, v30, 0 op_sel_hi:[0,1,0]
	s_waitcnt vmcnt(1)
	v_add_f16_e32 v35, v35, v31
	v_fma_mix_f32 v31, v21, v24, 0 op_sel_hi:[1,1,0]
	v_fma_mix_f32 v24, v2, v24, v31 op_sel:[0,1,0] op_sel_hi:[1,1,0]
	v_fma_mix_f32 v24, v1, v25, v24 op_sel_hi:[1,1,0]
	v_fma_mix_f32 v24, v15, v25, v24 op_sel:[0,1,0] op_sel_hi:[1,1,0]
	buffer_load_dword v25, off, s[28:31], 0 offset:68 ; 4-byte Folded Reload
	v_fma_mix_f32 v24, v0, v26, v24 op_sel_hi:[1,1,0]
	v_fma_mix_f32 v24, v18, v26, v24 op_sel:[0,1,0] op_sel_hi:[1,1,0]
	v_fma_mix_f32 v24, v34, v27, v24 op_sel_hi:[1,1,0]
	v_fma_mix_f32 v24, v19, v27, v24 op_sel:[0,1,0] op_sel_hi:[1,1,0]
	v_fma_mixlo_f16 v24, v24, v30, 0 op_sel:[0,1,0] op_sel_hi:[0,1,0]
	s_waitcnt vmcnt(0)
	v_add_f16_e32 v24, v25, v24
	buffer_store_dword v24, off, s[28:31], 0 offset:16 ; 4-byte Folded Spill
	ds_read_b128 v[24:27], v6 offset:1056
	s_waitcnt lgkmcnt(0)
	v_fma_mix_f32 v31, v43, v24, 0 op_sel_hi:[1,1,0]
	v_fma_mix_f32 v31, v44, v24, v31 op_sel:[0,1,0] op_sel_hi:[1,1,0]
	v_fma_mix_f32 v31, v45, v25, v31 op_sel_hi:[1,1,0]
	v_fma_mix_f32 v12, v12, v25, v31 op_sel:[0,1,0] op_sel_hi:[1,1,0]
	;; [unrolled: 2-line block ×4, first 2 shown]
	v_fma_mixlo_f16 v8, v8, v29, 0 op_sel_hi:[0,1,0]
	v_add_f16_e32 v8, v39, v8
	buffer_store_dword v8, off, s[28:31], 0 offset:12 ; 4-byte Folded Spill
	v_fma_mix_f32 v8, v49, v24, 0 op_sel_hi:[1,1,0]
	v_fma_mix_f32 v8, v50, v24, v8 op_sel:[0,1,0] op_sel_hi:[1,1,0]
	v_fma_mix_f32 v8, v51, v25, v8 op_sel_hi:[1,1,0]
	v_fma_mix_f32 v8, v13, v25, v8 op_sel:[0,1,0] op_sel_hi:[1,1,0]
	;; [unrolled: 2-line block ×4, first 2 shown]
	v_fma_mixlo_f16 v8, v8, v29, 0 op_sel:[0,1,0] op_sel_hi:[0,1,0]
	v_add_f16_e32 v8, v40, v8
	buffer_store_dword v8, off, s[28:31], 0 offset:8 ; 4-byte Folded Spill
	v_fma_mix_f32 v8, v55, v24, 0 op_sel_hi:[1,1,0]
	v_fma_mix_f32 v8, v56, v24, v8 op_sel:[0,1,0] op_sel_hi:[1,1,0]
	v_fma_mix_f32 v8, v57, v25, v8 op_sel_hi:[1,1,0]
	v_fma_mix_f32 v8, v14, v25, v8 op_sel:[0,1,0] op_sel_hi:[1,1,0]
	;; [unrolled: 2-line block ×4, first 2 shown]
	v_fma_mixlo_f16 v8, v8, v30, 0 op_sel_hi:[0,1,0]
	v_add_f16_e32 v20, v41, v8
	v_fma_mix_f32 v8, v21, v24, 0 op_sel_hi:[1,1,0]
	v_fma_mix_f32 v2, v2, v24, v8 op_sel:[0,1,0] op_sel_hi:[1,1,0]
	v_fma_mix_f32 v1, v1, v25, v2 op_sel_hi:[1,1,0]
	v_fma_mix_f32 v1, v15, v25, v1 op_sel:[0,1,0] op_sel_hi:[1,1,0]
	;; [unrolled: 2-line block ×4, first 2 shown]
	v_fma_mixlo_f16 v0, v0, v30, 0 op_sel:[0,1,0] op_sel_hi:[0,1,0]
	v_add_f16_e32 v21, v42, v0
	v_add_co_u32_e32 v0, vcc, s2, v22
	v_addc_co_u32_e32 v1, vcc, v23, v37, vcc
	global_load_dwordx4 v[22:25], v[0:1], off
	v_add_co_u32_e32 v0, vcc, s2, v0
	v_addc_co_u32_e32 v1, vcc, v1, v37, vcc
	global_load_dwordx4 v[12:15], v[0:1], off
	s_waitcnt vmcnt(1)
	v_sub_u32_sdwa v0, v22, v28 dst_sel:DWORD dst_unused:UNUSED_PAD src0_sel:BYTE_0 src1_sel:DWORD
	v_cvt_f32_i32_e32 v0, v0
	v_cvt_f16_f32_e32 v8, v0
	v_sub_u32_sdwa v0, v22, v28 dst_sel:DWORD dst_unused:UNUSED_PAD src0_sel:BYTE_1 src1_sel:DWORD
	v_cvt_f32_i32_e32 v0, v0
	v_cvt_f16_f32_e32 v9, v0
	v_sub_u32_sdwa v0, v22, v28 dst_sel:DWORD dst_unused:UNUSED_PAD src0_sel:BYTE_2 src1_sel:DWORD
	v_cvt_f32_i32_e32 v0, v0
	v_cvt_f16_f32_e32 v10, v0
	v_sub_u32_sdwa v0, v22, v28 dst_sel:DWORD dst_unused:UNUSED_PAD src0_sel:BYTE_3 src1_sel:DWORD
	v_cvt_f32_i32_e32 v0, v0
	v_cvt_f16_f32_e32 v18, v0
	s_waitcnt vmcnt(0)
	v_sub_u32_sdwa v0, v12, v28 dst_sel:DWORD dst_unused:UNUSED_PAD src0_sel:BYTE_0 src1_sel:DWORD
	v_cvt_f32_i32_e32 v0, v0
	v_cvt_f16_f32_e32 v22, v0
	v_sub_u32_sdwa v0, v12, v28 dst_sel:DWORD dst_unused:UNUSED_PAD src0_sel:BYTE_1 src1_sel:DWORD
	v_cvt_f32_i32_e32 v0, v0
	v_cvt_f16_f32_e32 v26, v0
	v_sub_u32_sdwa v0, v12, v28 dst_sel:DWORD dst_unused:UNUSED_PAD src0_sel:BYTE_2 src1_sel:DWORD
	v_cvt_f32_i32_e32 v0, v0
	v_cvt_f16_f32_e32 v19, v0
	v_sub_u32_sdwa v0, v12, v28 dst_sel:DWORD dst_unused:UNUSED_PAD src0_sel:BYTE_3 src1_sel:DWORD
	v_cvt_f32_i32_e32 v0, v0
	v_cvt_f16_f32_e32 v39, v0
	v_sub_u32_sdwa v0, v23, v33 dst_sel:DWORD dst_unused:UNUSED_PAD src0_sel:BYTE_0 src1_sel:DWORD
	v_cvt_f32_i32_e32 v0, v0
	v_cvt_f16_f32_e32 v27, v0
	v_sub_u32_sdwa v0, v23, v33 dst_sel:DWORD dst_unused:UNUSED_PAD src0_sel:BYTE_1 src1_sel:DWORD
	v_cvt_f32_i32_e32 v0, v0
	v_fma_mix_f32 v1, v27, v60, 0 op_sel_hi:[1,1,0]
	v_cvt_f16_f32_e32 v40, v0
	v_sub_u32_sdwa v0, v23, v33 dst_sel:DWORD dst_unused:UNUSED_PAD src0_sel:BYTE_2 src1_sel:DWORD
	v_cvt_f32_i32_e32 v0, v0
	v_fma_mix_f32 v1, v40, v60, v1 op_sel:[0,1,0] op_sel_hi:[1,1,0]
	v_cvt_f16_f32_e32 v41, v0
	v_sub_u32_sdwa v0, v23, v33 dst_sel:DWORD dst_unused:UNUSED_PAD src0_sel:BYTE_3 src1_sel:DWORD
	v_cvt_f32_i32_e32 v0, v0
	buffer_load_dword v23, off, s[28:31], 0 offset:24 ; 4-byte Folded Reload
	v_fma_mix_f32 v1, v41, v61, v1 op_sel_hi:[1,1,0]
	v_cvt_f16_f32_e32 v42, v0
	v_sub_u32_sdwa v0, v13, v33 dst_sel:DWORD dst_unused:UNUSED_PAD src0_sel:BYTE_0 src1_sel:DWORD
	v_cvt_f32_i32_e32 v0, v0
	v_fma_mix_f32 v1, v42, v61, v1 op_sel:[0,1,0] op_sel_hi:[1,1,0]
	v_cvt_f16_f32_e32 v43, v0
	v_sub_u32_sdwa v0, v13, v33 dst_sel:DWORD dst_unused:UNUSED_PAD src0_sel:BYTE_1 src1_sel:DWORD
	v_cvt_f32_i32_e32 v0, v0
	v_fma_mix_f32 v1, v43, v62, v1 op_sel_hi:[1,1,0]
	v_cvt_f16_f32_e32 v44, v0
	v_sub_u32_sdwa v0, v13, v33 dst_sel:DWORD dst_unused:UNUSED_PAD src0_sel:BYTE_2 src1_sel:DWORD
	v_cvt_f32_i32_e32 v0, v0
	v_fma_mix_f32 v1, v44, v62, v1 op_sel:[0,1,0] op_sel_hi:[1,1,0]
	v_cvt_f16_f32_e32 v45, v0
	v_sub_u32_sdwa v0, v13, v33 dst_sel:DWORD dst_unused:UNUSED_PAD src0_sel:BYTE_3 src1_sel:DWORD
	v_cvt_f32_i32_e32 v0, v0
	v_fma_mix_f32 v1, v45, v63, v1 op_sel_hi:[1,1,0]
	v_cvt_f16_f32_e32 v47, v0
	v_sub_u32_sdwa v0, v24, v17 dst_sel:DWORD dst_unused:UNUSED_PAD src0_sel:BYTE_0 src1_sel:DWORD
	v_cvt_f32_i32_e32 v0, v0
	v_fma_mix_f32 v1, v47, v63, v1 op_sel:[0,1,0] op_sel_hi:[1,1,0]
	v_fma_mixlo_f16 v1, v1, v29, 0 op_sel:[0,1,0] op_sel_hi:[0,1,0]
	v_cvt_f16_f32_e32 v12, v0
	v_sub_u32_sdwa v0, v24, v17 dst_sel:DWORD dst_unused:UNUSED_PAD src0_sel:BYTE_1 src1_sel:DWORD
	v_cvt_f32_i32_e32 v0, v0
	v_add_f16_e32 v1, v32, v1
	v_cvt_f16_f32_e32 v46, v0
	v_sub_u32_sdwa v0, v24, v17 dst_sel:DWORD dst_unused:UNUSED_PAD src0_sel:BYTE_2 src1_sel:DWORD
	v_cvt_f32_i32_e32 v0, v0
	v_cvt_f16_f32_e32 v48, v0
	v_sub_u32_sdwa v0, v24, v17 dst_sel:DWORD dst_unused:UNUSED_PAD src0_sel:BYTE_3 src1_sel:DWORD
	v_cvt_f32_i32_e32 v0, v0
	v_cvt_f16_f32_e32 v49, v0
	v_sub_u32_sdwa v0, v14, v17 dst_sel:DWORD dst_unused:UNUSED_PAD src0_sel:BYTE_0 src1_sel:DWORD
	v_cvt_f32_i32_e32 v0, v0
	v_cvt_f16_f32_e32 v50, v0
	v_sub_u32_sdwa v0, v14, v17 dst_sel:DWORD dst_unused:UNUSED_PAD src0_sel:BYTE_1 src1_sel:DWORD
	v_cvt_f32_i32_e32 v0, v0
	v_cvt_f16_f32_e32 v51, v0
	v_sub_u32_sdwa v0, v14, v17 dst_sel:DWORD dst_unused:UNUSED_PAD src0_sel:BYTE_2 src1_sel:DWORD
	v_cvt_f32_i32_e32 v0, v0
	v_cvt_f16_f32_e32 v52, v0
	v_sub_u32_sdwa v0, v14, v17 dst_sel:DWORD dst_unused:UNUSED_PAD src0_sel:BYTE_3 src1_sel:DWORD
	v_cvt_f32_i32_e32 v0, v0
	v_cvt_f16_f32_e32 v53, v0
	v_sub_u32_sdwa v0, v25, v16 dst_sel:DWORD dst_unused:UNUSED_PAD src0_sel:BYTE_0 src1_sel:DWORD
	v_cvt_f32_i32_e32 v0, v0
	v_cvt_f16_f32_e32 v31, v0
	v_sub_u32_sdwa v0, v25, v16 dst_sel:DWORD dst_unused:UNUSED_PAD src0_sel:BYTE_1 src1_sel:DWORD
	v_cvt_f32_i32_e32 v0, v0
	;; [unrolled: 12-line block ×3, first 2 shown]
	v_cvt_f16_f32_e32 v58, v0
	v_sub_u32_sdwa v0, v15, v16 dst_sel:DWORD dst_unused:UNUSED_PAD src0_sel:BYTE_2 src1_sel:DWORD
	v_cvt_f32_i32_e32 v0, v0
	v_cvt_f16_f32_e32 v59, v0
	v_sub_u32_sdwa v0, v15, v16 dst_sel:DWORD dst_unused:UNUSED_PAD src0_sel:BYTE_3 src1_sel:DWORD
	v_cvt_f32_i32_e32 v0, v0
	v_cvt_f16_f32_e32 v15, v0
	v_fma_mix_f32 v0, v8, v60, 0 op_sel_hi:[1,1,0]
	v_fma_mix_f32 v0, v9, v60, v0 op_sel:[0,1,0] op_sel_hi:[1,1,0]
	v_fma_mix_f32 v0, v10, v61, v0 op_sel_hi:[1,1,0]
	v_fma_mix_f32 v0, v18, v61, v0 op_sel:[0,1,0] op_sel_hi:[1,1,0]
	;; [unrolled: 2-line block ×4, first 2 shown]
	v_fma_mixlo_f16 v0, v0, v29, 0 op_sel_hi:[0,1,0]
	v_add_f16_e32 v0, v36, v0
	v_pack_b32_f16 v14, v0, v1
	v_fma_mix_f32 v0, v12, v60, 0 op_sel_hi:[1,1,0]
	v_fma_mix_f32 v1, v31, v60, 0 op_sel_hi:[1,1,0]
	v_fma_mix_f32 v0, v46, v60, v0 op_sel:[0,1,0] op_sel_hi:[1,1,0]
	v_fma_mix_f32 v1, v54, v60, v1 op_sel:[0,1,0] op_sel_hi:[1,1,0]
	v_fma_mix_f32 v0, v48, v61, v0 op_sel_hi:[1,1,0]
	v_fma_mix_f32 v1, v55, v61, v1 op_sel_hi:[1,1,0]
	v_fma_mix_f32 v0, v49, v61, v0 op_sel:[0,1,0] op_sel_hi:[1,1,0]
	v_fma_mix_f32 v1, v56, v61, v1 op_sel:[0,1,0] op_sel_hi:[1,1,0]
	;; [unrolled: 4-line block ×4, first 2 shown]
	v_fma_mixlo_f16 v0, v0, v30, 0 op_sel_hi:[0,1,0]
	v_fma_mixlo_f16 v1, v1, v30, 0 op_sel:[0,1,0] op_sel_hi:[0,1,0]
	v_add_f16_e32 v0, v11, v0
	v_add_f16_e32 v1, v3, v1
	v_pack_b32_f16 v13, v0, v1
	ds_read_b128 v[0:3], v6 offset:304
	s_waitcnt lgkmcnt(0)
	v_fma_mix_f32 v11, v8, v0, 0 op_sel_hi:[1,1,0]
	v_fma_mix_f32 v11, v9, v0, v11 op_sel:[0,1,0] op_sel_hi:[1,1,0]
	v_fma_mix_f32 v11, v10, v1, v11 op_sel_hi:[1,1,0]
	v_fma_mix_f32 v11, v18, v1, v11 op_sel:[0,1,0] op_sel_hi:[1,1,0]
	;; [unrolled: 2-line block ×4, first 2 shown]
	v_fma_mixlo_f16 v11, v11, v29, 0 op_sel_hi:[0,1,0]
	v_add_f16_e32 v5, v5, v11
	v_fma_mix_f32 v11, v27, v0, 0 op_sel_hi:[1,1,0]
	v_fma_mix_f32 v11, v40, v0, v11 op_sel:[0,1,0] op_sel_hi:[1,1,0]
	v_fma_mix_f32 v11, v41, v1, v11 op_sel_hi:[1,1,0]
	v_fma_mix_f32 v11, v42, v1, v11 op_sel:[0,1,0] op_sel_hi:[1,1,0]
	;; [unrolled: 2-line block ×4, first 2 shown]
	v_fma_mixlo_f16 v11, v11, v29, 0 op_sel:[0,1,0] op_sel_hi:[0,1,0]
	v_add_f16_e32 v4, v4, v11
	v_pack_b32_f16 v16, v5, v4
	buffer_load_dword v5, off, s[28:31], 0 offset:72 ; 4-byte Folded Reload
	v_fma_mix_f32 v4, v12, v0, 0 op_sel_hi:[1,1,0]
	v_fma_mix_f32 v4, v46, v0, v4 op_sel:[0,1,0] op_sel_hi:[1,1,0]
	v_fma_mix_f32 v4, v48, v1, v4 op_sel_hi:[1,1,0]
	v_fma_mix_f32 v4, v49, v1, v4 op_sel:[0,1,0] op_sel_hi:[1,1,0]
	;; [unrolled: 2-line block ×4, first 2 shown]
	v_fma_mixlo_f16 v4, v4, v30, 0 op_sel_hi:[0,1,0]
	s_waitcnt vmcnt(0)
	v_add_f16_e32 v4, v5, v4
	v_fma_mix_f32 v5, v31, v0, 0 op_sel_hi:[1,1,0]
	v_fma_mix_f32 v0, v54, v0, v5 op_sel:[0,1,0] op_sel_hi:[1,1,0]
	buffer_load_dword v5, off, s[28:31], 0 offset:36 ; 4-byte Folded Reload
	v_fma_mix_f32 v0, v55, v1, v0 op_sel_hi:[1,1,0]
	v_fma_mix_f32 v0, v56, v1, v0 op_sel:[0,1,0] op_sel_hi:[1,1,0]
	v_fma_mix_f32 v0, v57, v2, v0 op_sel_hi:[1,1,0]
	v_fma_mix_f32 v0, v58, v2, v0 op_sel:[0,1,0] op_sel_hi:[1,1,0]
	;; [unrolled: 2-line block ×3, first 2 shown]
	v_fma_mixlo_f16 v0, v0, v30, 0 op_sel:[0,1,0] op_sel_hi:[0,1,0]
	v_add_f16_e32 v0, v38, v0
	v_pack_b32_f16 v11, v4, v0
	ds_read_b128 v[0:3], v6 offset:560
	s_waitcnt lgkmcnt(0)
	v_fma_mix_f32 v4, v8, v0, 0 op_sel_hi:[1,1,0]
	v_fma_mix_f32 v4, v9, v0, v4 op_sel:[0,1,0] op_sel_hi:[1,1,0]
	v_fma_mix_f32 v4, v10, v1, v4 op_sel_hi:[1,1,0]
	v_fma_mix_f32 v4, v18, v1, v4 op_sel:[0,1,0] op_sel_hi:[1,1,0]
	;; [unrolled: 2-line block ×4, first 2 shown]
	v_fma_mixlo_f16 v4, v4, v29, 0 op_sel_hi:[0,1,0]
	s_waitcnt vmcnt(0)
	v_add_f16_e32 v4, v5, v4
	v_fma_mix_f32 v5, v27, v0, 0 op_sel_hi:[1,1,0]
	v_fma_mix_f32 v5, v40, v0, v5 op_sel:[0,1,0] op_sel_hi:[1,1,0]
	v_fma_mix_f32 v5, v41, v1, v5 op_sel_hi:[1,1,0]
	v_fma_mix_f32 v5, v42, v1, v5 op_sel:[0,1,0] op_sel_hi:[1,1,0]
	;; [unrolled: 2-line block ×4, first 2 shown]
	v_fma_mixlo_f16 v5, v5, v29, 0 op_sel:[0,1,0] op_sel_hi:[0,1,0]
	v_add_f16_e32 v5, v7, v5
	v_pack_b32_f16 v17, v4, v5
	buffer_load_dword v5, off, s[28:31], 0 offset:28 ; 4-byte Folded Reload
	v_fma_mix_f32 v4, v12, v0, 0 op_sel_hi:[1,1,0]
	v_fma_mix_f32 v4, v46, v0, v4 op_sel:[0,1,0] op_sel_hi:[1,1,0]
	v_fma_mix_f32 v4, v48, v1, v4 op_sel_hi:[1,1,0]
	v_fma_mix_f32 v4, v49, v1, v4 op_sel:[0,1,0] op_sel_hi:[1,1,0]
	;; [unrolled: 2-line block ×4, first 2 shown]
	v_fma_mixlo_f16 v4, v4, v30, 0 op_sel_hi:[0,1,0]
	s_waitcnt vmcnt(0)
	v_add_f16_e32 v4, v5, v4
	v_fma_mix_f32 v5, v31, v0, 0 op_sel_hi:[1,1,0]
	v_fma_mix_f32 v0, v54, v0, v5 op_sel:[0,1,0] op_sel_hi:[1,1,0]
	v_fma_mix_f32 v0, v55, v1, v0 op_sel_hi:[1,1,0]
	v_fma_mix_f32 v0, v56, v1, v0 op_sel:[0,1,0] op_sel_hi:[1,1,0]
	buffer_load_dword v1, off, s[28:31], 0 offset:32 ; 4-byte Folded Reload
	buffer_load_dword v5, off, s[28:31], 0 offset:20 ; 4-byte Folded Reload
	v_fma_mix_f32 v0, v57, v2, v0 op_sel_hi:[1,1,0]
	v_fma_mix_f32 v0, v58, v2, v0 op_sel:[0,1,0] op_sel_hi:[1,1,0]
	v_fma_mix_f32 v0, v59, v3, v0 op_sel_hi:[1,1,0]
	v_fma_mix_f32 v0, v15, v3, v0 op_sel:[0,1,0] op_sel_hi:[1,1,0]
	v_fma_mixlo_f16 v0, v0, v30, 0 op_sel:[0,1,0] op_sel_hi:[0,1,0]
	s_waitcnt vmcnt(1)
	v_add_f16_e32 v0, v1, v0
	v_pack_b32_f16 v7, v4, v0
	ds_read_b128 v[0:3], v6 offset:816
	s_waitcnt lgkmcnt(0)
	v_fma_mix_f32 v4, v8, v0, 0 op_sel_hi:[1,1,0]
	v_fma_mix_f32 v4, v9, v0, v4 op_sel:[0,1,0] op_sel_hi:[1,1,0]
	v_fma_mix_f32 v4, v10, v1, v4 op_sel_hi:[1,1,0]
	v_fma_mix_f32 v4, v18, v1, v4 op_sel:[0,1,0] op_sel_hi:[1,1,0]
	;; [unrolled: 2-line block ×4, first 2 shown]
	v_fma_mixlo_f16 v4, v4, v29, 0 op_sel_hi:[0,1,0]
	s_waitcnt vmcnt(0)
	v_add_f16_e32 v4, v5, v4
	v_fma_mix_f32 v5, v27, v0, 0 op_sel_hi:[1,1,0]
	v_fma_mix_f32 v5, v40, v0, v5 op_sel:[0,1,0] op_sel_hi:[1,1,0]
	v_fma_mix_f32 v5, v41, v1, v5 op_sel_hi:[1,1,0]
	v_fma_mix_f32 v5, v42, v1, v5 op_sel:[0,1,0] op_sel_hi:[1,1,0]
	;; [unrolled: 2-line block ×4, first 2 shown]
	v_fma_mixlo_f16 v5, v5, v29, 0 op_sel:[0,1,0] op_sel_hi:[0,1,0]
	v_add_f16_e32 v5, v23, v5
	v_pack_b32_f16 v24, v4, v5
	v_fma_mix_f32 v4, v12, v0, 0 op_sel_hi:[1,1,0]
	v_fma_mix_f32 v5, v31, v0, 0 op_sel_hi:[1,1,0]
	v_fma_mix_f32 v4, v46, v0, v4 op_sel:[0,1,0] op_sel_hi:[1,1,0]
	v_fma_mix_f32 v0, v54, v0, v5 op_sel:[0,1,0] op_sel_hi:[1,1,0]
	v_fma_mix_f32 v4, v48, v1, v4 op_sel_hi:[1,1,0]
	v_fma_mix_f32 v0, v55, v1, v0 op_sel_hi:[1,1,0]
	v_fma_mix_f32 v4, v49, v1, v4 op_sel:[0,1,0] op_sel_hi:[1,1,0]
	v_fma_mix_f32 v0, v56, v1, v0 op_sel:[0,1,0] op_sel_hi:[1,1,0]
	buffer_load_dword v1, off, s[28:31], 0 offset:16 ; 4-byte Folded Reload
	buffer_load_dword v5, off, s[28:31], 0 offset:12 ; 4-byte Folded Reload
	v_fma_mix_f32 v4, v50, v2, v4 op_sel_hi:[1,1,0]
	v_fma_mix_f32 v0, v57, v2, v0 op_sel_hi:[1,1,0]
	v_fma_mix_f32 v4, v51, v2, v4 op_sel:[0,1,0] op_sel_hi:[1,1,0]
	v_fma_mix_f32 v0, v58, v2, v0 op_sel:[0,1,0] op_sel_hi:[1,1,0]
	v_fma_mix_f32 v4, v52, v3, v4 op_sel_hi:[1,1,0]
	v_fma_mix_f32 v0, v59, v3, v0 op_sel_hi:[1,1,0]
	v_fma_mix_f32 v4, v53, v3, v4 op_sel:[0,1,0] op_sel_hi:[1,1,0]
	v_fma_mix_f32 v0, v15, v3, v0 op_sel:[0,1,0] op_sel_hi:[1,1,0]
	v_fma_mixlo_f16 v4, v4, v30, 0 op_sel_hi:[0,1,0]
	v_fma_mixlo_f16 v0, v0, v30, 0 op_sel:[0,1,0] op_sel_hi:[0,1,0]
	v_add_f16_e32 v4, v35, v4
	s_waitcnt vmcnt(1)
	v_add_f16_e32 v0, v1, v0
	v_pack_b32_f16 v23, v4, v0
	ds_read_b128 v[0:3], v6 offset:1072
	buffer_load_dword v6, off, s[28:31], 0 offset:8 ; 4-byte Folded Reload
	s_waitcnt lgkmcnt(0)
	v_fma_mix_f32 v4, v8, v0, 0 op_sel_hi:[1,1,0]
	v_fma_mix_f32 v4, v9, v0, v4 op_sel:[0,1,0] op_sel_hi:[1,1,0]
	v_fma_mix_f32 v4, v10, v1, v4 op_sel_hi:[1,1,0]
	v_fma_mix_f32 v4, v18, v1, v4 op_sel:[0,1,0] op_sel_hi:[1,1,0]
	;; [unrolled: 2-line block ×4, first 2 shown]
	v_fma_mixlo_f16 v4, v4, v29, 0 op_sel_hi:[0,1,0]
	s_waitcnt vmcnt(1)
	v_add_f16_e32 v4, v5, v4
	v_fma_mix_f32 v5, v27, v0, 0 op_sel_hi:[1,1,0]
	v_fma_mix_f32 v5, v40, v0, v5 op_sel:[0,1,0] op_sel_hi:[1,1,0]
	v_fma_mix_f32 v5, v41, v1, v5 op_sel_hi:[1,1,0]
	v_fma_mix_f32 v5, v42, v1, v5 op_sel:[0,1,0] op_sel_hi:[1,1,0]
	;; [unrolled: 2-line block ×4, first 2 shown]
	v_fma_mixlo_f16 v5, v5, v29, 0 op_sel:[0,1,0] op_sel_hi:[0,1,0]
	s_waitcnt vmcnt(0)
	v_add_f16_e32 v5, v6, v5
	v_pack_b32_f16 v6, v4, v5
	v_fma_mix_f32 v4, v12, v0, 0 op_sel_hi:[1,1,0]
	v_fma_mix_f32 v5, v31, v0, 0 op_sel_hi:[1,1,0]
	v_fma_mix_f32 v4, v46, v0, v4 op_sel:[0,1,0] op_sel_hi:[1,1,0]
	v_fma_mix_f32 v0, v54, v0, v5 op_sel:[0,1,0] op_sel_hi:[1,1,0]
	v_fma_mix_f32 v4, v48, v1, v4 op_sel_hi:[1,1,0]
	v_fma_mix_f32 v0, v55, v1, v0 op_sel_hi:[1,1,0]
	v_fma_mix_f32 v4, v49, v1, v4 op_sel:[0,1,0] op_sel_hi:[1,1,0]
	v_fma_mix_f32 v0, v56, v1, v0 op_sel:[0,1,0] op_sel_hi:[1,1,0]
	;; [unrolled: 4-line block ×4, first 2 shown]
	v_fma_mixlo_f16 v4, v4, v30, 0 op_sel_hi:[0,1,0]
	v_fma_mixlo_f16 v0, v0, v30, 0 op_sel:[0,1,0] op_sel_hi:[0,1,0]
	v_add_f16_e32 v4, v20, v4
	v_add_f16_e32 v0, v21, v0
	v_pack_b32_f16 v8, v4, v0
	buffer_load_dword v4, off, s[28:31], 0  ; 4-byte Folded Reload
	buffer_load_dword v5, off, s[28:31], 0 offset:4 ; 4-byte Folded Reload
	v_mov_b32_e32 v0, s1
	s_waitcnt vmcnt(1)
	v_add_co_u32_e32 v4, vcc, s0, v4
	s_waitcnt vmcnt(0)
	v_addc_co_u32_e32 v5, vcc, v5, v0, vcc
	s_cbranch_scc1 .LBB34_19
; %bb.18:                               ;   in Loop: Header=BB34_15 Depth=1
	buffer_store_dword v6, off, s[28:31], 0 offset:32 ; 4-byte Folded Spill
	buffer_load_dword v1, off, s[28:31], 0 offset:84 ; 4-byte Folded Reload
	buffer_load_dword v3, off, s[28:31], 0 offset:88 ; 4-byte Folded Reload
	s_nop 0
	buffer_load_dword v6, off, s[28:31], 0 offset:92 ; 4-byte Folded Reload
	buffer_load_dword v2, off, s[28:31], 0 offset:96 ; 4-byte Folded Reload
	s_branch .LBB34_15
.LBB34_19:
	buffer_load_dword v0, off, s[28:31], 0 offset:104 ; 4-byte Folded Reload
	buffer_load_dword v1, off, s[28:31], 0 offset:108 ; 4-byte Folded Reload
	s_mul_i32 s7, s7, s16
	v_mov_b32_e32 v3, s15
	s_mov_b64 s[0:1], 0
	s_waitcnt vmcnt(1)
	v_add_u32_e32 v0, s7, v0
	s_waitcnt vmcnt(0)
	v_ashrrev_i32_e32 v1, 31, v0
	v_lshlrev_b64 v[1:2], 1, v[0:1]
	v_add_co_u32_e32 v1, vcc, s14, v1
	v_addc_co_u32_e32 v2, vcc, v3, v2, vcc
	global_load_dword v4, v[1:2], off
.LBB34_20:                              ; =>This Inner Loop Header: Depth=1
	s_waitcnt vmcnt(0)
	v_pk_add_f16 v3, v14, v4
	global_atomic_cmpswap v3, v[1:2], v[3:4], off glc
	s_waitcnt vmcnt(0)
	v_cmp_eq_u32_e32 vcc, v4, v3
	s_or_b64 s[0:1], vcc, s[0:1]
	v_mov_b32_e32 v4, v3
	s_andn2_b64 exec, exec, s[0:1]
	s_cbranch_execnz .LBB34_20
; %bb.21:
	s_or_b64 exec, exec, s[0:1]
	global_load_dword v4, v[1:2], off offset:4
	s_mov_b64 s[0:1], 0
.LBB34_22:                              ; =>This Inner Loop Header: Depth=1
	s_waitcnt vmcnt(0)
	v_pk_add_f16 v3, v13, v4
	global_atomic_cmpswap v3, v[1:2], v[3:4], off offset:4 glc
	s_waitcnt vmcnt(0)
	v_cmp_eq_u32_e32 vcc, v4, v3
	s_or_b64 s[0:1], vcc, s[0:1]
	v_mov_b32_e32 v4, v3
	s_andn2_b64 exec, exec, s[0:1]
	s_cbranch_execnz .LBB34_22
; %bb.23:
	s_or_b64 exec, exec, s[0:1]
	v_add_u32_e32 v0, s16, v0
	v_ashrrev_i32_e32 v1, 31, v0
	v_lshlrev_b64 v[1:2], 1, v[0:1]
	v_mov_b32_e32 v3, s15
	v_add_co_u32_e32 v1, vcc, s14, v1
	v_addc_co_u32_e32 v2, vcc, v3, v2, vcc
	global_load_dword v4, v[1:2], off
	s_mov_b64 s[0:1], 0
.LBB34_24:                              ; =>This Inner Loop Header: Depth=1
	s_waitcnt vmcnt(0)
	v_pk_add_f16 v3, v16, v4
	global_atomic_cmpswap v3, v[1:2], v[3:4], off glc
	s_waitcnt vmcnt(0)
	v_cmp_eq_u32_e32 vcc, v4, v3
	s_or_b64 s[0:1], vcc, s[0:1]
	v_mov_b32_e32 v4, v3
	s_andn2_b64 exec, exec, s[0:1]
	s_cbranch_execnz .LBB34_24
; %bb.25:
	s_or_b64 exec, exec, s[0:1]
	global_load_dword v4, v[1:2], off offset:4
	s_mov_b64 s[0:1], 0
.LBB34_26:                              ; =>This Inner Loop Header: Depth=1
	s_waitcnt vmcnt(0)
	v_pk_add_f16 v3, v11, v4
	global_atomic_cmpswap v3, v[1:2], v[3:4], off offset:4 glc
	s_waitcnt vmcnt(0)
	v_cmp_eq_u32_e32 vcc, v4, v3
	s_or_b64 s[0:1], vcc, s[0:1]
	v_mov_b32_e32 v4, v3
	s_andn2_b64 exec, exec, s[0:1]
	s_cbranch_execnz .LBB34_26
; %bb.27:
	s_or_b64 exec, exec, s[0:1]
	v_add_u32_e32 v0, s16, v0
	v_ashrrev_i32_e32 v1, 31, v0
	v_lshlrev_b64 v[1:2], 1, v[0:1]
	v_mov_b32_e32 v3, s15
	v_add_co_u32_e32 v1, vcc, s14, v1
	v_addc_co_u32_e32 v2, vcc, v3, v2, vcc
	global_load_dword v4, v[1:2], off
	s_mov_b64 s[0:1], 0
	;; [unrolled: 34-line block ×4, first 2 shown]
.LBB34_36:                              ; =>This Inner Loop Header: Depth=1
	s_waitcnt vmcnt(0)
	v_pk_add_f16 v2, v6, v3
	global_atomic_cmpswap v2, v[0:1], v[2:3], off glc
	s_waitcnt vmcnt(0)
	v_cmp_eq_u32_e32 vcc, v3, v2
	s_or_b64 s[0:1], vcc, s[0:1]
	v_mov_b32_e32 v3, v2
	s_andn2_b64 exec, exec, s[0:1]
	s_cbranch_execnz .LBB34_36
; %bb.37:
	s_or_b64 exec, exec, s[0:1]
	global_load_dword v3, v[0:1], off offset:4
	s_mov_b64 s[0:1], 0
.LBB34_38:                              ; =>This Inner Loop Header: Depth=1
	s_waitcnt vmcnt(0)
	v_pk_add_f16 v2, v8, v3
	global_atomic_cmpswap v2, v[0:1], v[2:3], off offset:4 glc
	s_waitcnt vmcnt(0)
	v_cmp_eq_u32_e32 vcc, v3, v2
	s_or_b64 s[0:1], vcc, s[0:1]
	v_mov_b32_e32 v3, v2
	s_andn2_b64 exec, exec, s[0:1]
	s_cbranch_execnz .LBB34_38
.LBB34_39:
	s_endpgm
	.section	.rodata,"a",@progbits
	.p2align	6, 0x0
	.amdhsa_kernel _ZN4vllm4gptq33gemm_half_q_half_gptq_8bit_kernelILb1ELi5EEEvPK6__halfPKjS6_S4_PS2_iiiibPKi
		.amdhsa_group_segment_fixed_size 1280
		.amdhsa_private_segment_fixed_size 120
		.amdhsa_kernarg_size 72
		.amdhsa_user_sgpr_count 6
		.amdhsa_user_sgpr_private_segment_buffer 1
		.amdhsa_user_sgpr_dispatch_ptr 0
		.amdhsa_user_sgpr_queue_ptr 0
		.amdhsa_user_sgpr_kernarg_segment_ptr 1
		.amdhsa_user_sgpr_dispatch_id 0
		.amdhsa_user_sgpr_flat_scratch_init 0
		.amdhsa_user_sgpr_private_segment_size 0
		.amdhsa_uses_dynamic_stack 0
		.amdhsa_system_sgpr_private_segment_wavefront_offset 1
		.amdhsa_system_sgpr_workgroup_id_x 1
		.amdhsa_system_sgpr_workgroup_id_y 1
		.amdhsa_system_sgpr_workgroup_id_z 1
		.amdhsa_system_sgpr_workgroup_info 0
		.amdhsa_system_vgpr_workitem_id 0
		.amdhsa_next_free_vgpr 64
		.amdhsa_next_free_sgpr 32
		.amdhsa_reserve_vcc 1
		.amdhsa_reserve_flat_scratch 0
		.amdhsa_float_round_mode_32 0
		.amdhsa_float_round_mode_16_64 0
		.amdhsa_float_denorm_mode_32 3
		.amdhsa_float_denorm_mode_16_64 3
		.amdhsa_dx10_clamp 1
		.amdhsa_ieee_mode 1
		.amdhsa_fp16_overflow 0
		.amdhsa_exception_fp_ieee_invalid_op 0
		.amdhsa_exception_fp_denorm_src 0
		.amdhsa_exception_fp_ieee_div_zero 0
		.amdhsa_exception_fp_ieee_overflow 0
		.amdhsa_exception_fp_ieee_underflow 0
		.amdhsa_exception_fp_ieee_inexact 0
		.amdhsa_exception_int_div_zero 0
	.end_amdhsa_kernel
	.section	.text._ZN4vllm4gptq33gemm_half_q_half_gptq_8bit_kernelILb1ELi5EEEvPK6__halfPKjS6_S4_PS2_iiiibPKi,"axG",@progbits,_ZN4vllm4gptq33gemm_half_q_half_gptq_8bit_kernelILb1ELi5EEEvPK6__halfPKjS6_S4_PS2_iiiibPKi,comdat
.Lfunc_end34:
	.size	_ZN4vllm4gptq33gemm_half_q_half_gptq_8bit_kernelILb1ELi5EEEvPK6__halfPKjS6_S4_PS2_iiiibPKi, .Lfunc_end34-_ZN4vllm4gptq33gemm_half_q_half_gptq_8bit_kernelILb1ELi5EEEvPK6__halfPKjS6_S4_PS2_iiiibPKi
                                        ; -- End function
	.set _ZN4vllm4gptq33gemm_half_q_half_gptq_8bit_kernelILb1ELi5EEEvPK6__halfPKjS6_S4_PS2_iiiibPKi.num_vgpr, 64
	.set _ZN4vllm4gptq33gemm_half_q_half_gptq_8bit_kernelILb1ELi5EEEvPK6__halfPKjS6_S4_PS2_iiiibPKi.num_agpr, 0
	.set _ZN4vllm4gptq33gemm_half_q_half_gptq_8bit_kernelILb1ELi5EEEvPK6__halfPKjS6_S4_PS2_iiiibPKi.numbered_sgpr, 32
	.set _ZN4vllm4gptq33gemm_half_q_half_gptq_8bit_kernelILb1ELi5EEEvPK6__halfPKjS6_S4_PS2_iiiibPKi.num_named_barrier, 0
	.set _ZN4vllm4gptq33gemm_half_q_half_gptq_8bit_kernelILb1ELi5EEEvPK6__halfPKjS6_S4_PS2_iiiibPKi.private_seg_size, 120
	.set _ZN4vllm4gptq33gemm_half_q_half_gptq_8bit_kernelILb1ELi5EEEvPK6__halfPKjS6_S4_PS2_iiiibPKi.uses_vcc, 1
	.set _ZN4vllm4gptq33gemm_half_q_half_gptq_8bit_kernelILb1ELi5EEEvPK6__halfPKjS6_S4_PS2_iiiibPKi.uses_flat_scratch, 0
	.set _ZN4vllm4gptq33gemm_half_q_half_gptq_8bit_kernelILb1ELi5EEEvPK6__halfPKjS6_S4_PS2_iiiibPKi.has_dyn_sized_stack, 0
	.set _ZN4vllm4gptq33gemm_half_q_half_gptq_8bit_kernelILb1ELi5EEEvPK6__halfPKjS6_S4_PS2_iiiibPKi.has_recursion, 0
	.set _ZN4vllm4gptq33gemm_half_q_half_gptq_8bit_kernelILb1ELi5EEEvPK6__halfPKjS6_S4_PS2_iiiibPKi.has_indirect_call, 0
	.section	.AMDGPU.csdata,"",@progbits
; Kernel info:
; codeLenInByte = 12020
; TotalNumSgprs: 36
; NumVgprs: 64
; ScratchSize: 120
; MemoryBound: 0
; FloatMode: 240
; IeeeMode: 1
; LDSByteSize: 1280 bytes/workgroup (compile time only)
; SGPRBlocks: 4
; VGPRBlocks: 15
; NumSGPRsForWavesPerEU: 36
; NumVGPRsForWavesPerEU: 64
; Occupancy: 4
; WaveLimiterHint : 0
; COMPUTE_PGM_RSRC2:SCRATCH_EN: 1
; COMPUTE_PGM_RSRC2:USER_SGPR: 6
; COMPUTE_PGM_RSRC2:TRAP_HANDLER: 0
; COMPUTE_PGM_RSRC2:TGID_X_EN: 1
; COMPUTE_PGM_RSRC2:TGID_Y_EN: 1
; COMPUTE_PGM_RSRC2:TGID_Z_EN: 1
; COMPUTE_PGM_RSRC2:TIDIG_COMP_CNT: 0
	.section	.text._ZN4vllm4gptq33gemm_half_q_half_gptq_2bit_kernelILb1ELi6EEEvPK6__halfPKjS6_S4_PS2_iiiibPKi,"axG",@progbits,_ZN4vllm4gptq33gemm_half_q_half_gptq_2bit_kernelILb1ELi6EEEvPK6__halfPKjS6_S4_PS2_iiiibPKi,comdat
	.protected	_ZN4vllm4gptq33gemm_half_q_half_gptq_2bit_kernelILb1ELi6EEEvPK6__halfPKjS6_S4_PS2_iiiibPKi ; -- Begin function _ZN4vllm4gptq33gemm_half_q_half_gptq_2bit_kernelILb1ELi6EEEvPK6__halfPKjS6_S4_PS2_iiiibPKi
	.globl	_ZN4vllm4gptq33gemm_half_q_half_gptq_2bit_kernelILb1ELi6EEEvPK6__halfPKjS6_S4_PS2_iiiibPKi
	.p2align	8
	.type	_ZN4vllm4gptq33gemm_half_q_half_gptq_2bit_kernelILb1ELi6EEEvPK6__halfPKjS6_S4_PS2_iiiibPKi,@function
_ZN4vllm4gptq33gemm_half_q_half_gptq_2bit_kernelILb1ELi6EEEvPK6__halfPKjS6_S4_PS2_iiiibPKi: ; @_ZN4vllm4gptq33gemm_half_q_half_gptq_2bit_kernelILb1ELi6EEEvPK6__halfPKjS6_S4_PS2_iiiibPKi
; %bb.0:
	s_mov_b64 s[30:31], s[2:3]
	s_load_dwordx4 s[16:19], s[4:5], 0x2c
	s_mov_b64 s[28:29], s[0:1]
	s_add_u32 s28, s28, s9
	s_addc_u32 s29, s29, 0
	s_lshl_b32 s24, s8, 7
	s_add_i32 s0, s24, 0x80
	v_cvt_f64_u32_e32 v[1:2], s0
	s_waitcnt lgkmcnt(0)
	v_cvt_f64_i32_e32 v[3:4], s17
	s_load_dwordx8 s[8:15], s[4:5], 0x8
	s_mul_i32 s7, s7, 6
	v_min_f64 v[1:2], v[1:2], v[3:4]
	v_cvt_i32_f64_e32 v2, v[1:2]
	v_add_u32_e32 v1, s24, v0
	v_readfirstlane_b32 s25, v2
	v_cmp_lt_u32_e32 vcc, v1, v2
	s_and_saveexec_b64 s[2:3], vcc
	s_cbranch_execz .LBB35_14
; %bb.1:
	s_load_dwordx2 s[0:1], s[4:5], 0x40
	s_load_dwordx2 s[20:21], s[4:5], 0x0
	v_mov_b32_e32 v2, 0
	v_lshlrev_b64 v[3:4], 2, v[1:2]
	s_waitcnt lgkmcnt(0)
	v_mov_b32_e32 v5, s1
	v_add_co_u32_e32 v3, vcc, s0, v3
	s_cmp_lg_u64 s[0:1], 0
	v_addc_co_u32_e32 v4, vcc, v5, v4, vcc
	v_mov_b32_e32 v6, v2
	s_cselect_b64 s[4:5], -1, 0
	s_cmp_eq_u64 s[0:1], 0
	v_mov_b32_e32 v5, v1
	s_cbranch_scc1 .LBB35_3
; %bb.2:
	global_load_dword v5, v[3:4], off
	s_waitcnt vmcnt(0)
	v_ashrrev_i32_e32 v6, 31, v5
.LBB35_3:
	s_mul_i32 s22, s7, s17
	s_ashr_i32 s23, s22, 31
	s_lshl_b64 s[0:1], s[22:23], 1
	s_add_u32 s0, s20, s0
	v_lshlrev_b64 v[5:6], 1, v[5:6]
	s_addc_u32 s1, s21, s1
	v_mov_b32_e32 v7, s1
	v_add_co_u32_e32 v5, vcc, s0, v5
	v_addc_co_u32_e32 v6, vcc, v7, v6, vcc
	global_load_ushort v5, v[5:6], off
	v_lshlrev_b32_e32 v7, 1, v0
	v_cndmask_b32_e64 v6, 0, 1, s[4:5]
	v_cmp_ne_u32_e64 s[0:1], 1, v6
	s_andn2_b64 vcc, exec, s[4:5]
	s_waitcnt vmcnt(0)
	ds_write_b16 v7, v5
	v_mov_b32_e32 v6, v2
	v_mov_b32_e32 v5, v1
	s_cbranch_vccnz .LBB35_5
; %bb.4:
	global_load_dword v5, v[3:4], off
	s_waitcnt vmcnt(0)
	v_ashrrev_i32_e32 v6, 31, v5
.LBB35_5:
	s_add_i32 s4, s22, s17
	s_ashr_i32 s5, s4, 31
	s_lshl_b64 s[22:23], s[4:5], 1
	s_add_u32 s5, s20, s22
	v_lshlrev_b64 v[5:6], 1, v[5:6]
	s_addc_u32 s22, s21, s23
	v_mov_b32_e32 v8, s22
	v_add_co_u32_e32 v5, vcc, s5, v5
	v_addc_co_u32_e32 v6, vcc, v8, v6, vcc
	global_load_ushort v5, v[5:6], off
	s_and_b64 vcc, exec, s[0:1]
	s_waitcnt vmcnt(0)
	ds_write_b16 v7, v5 offset:256
	v_mov_b32_e32 v6, v2
	v_mov_b32_e32 v5, v1
	s_cbranch_vccnz .LBB35_7
; %bb.6:
	global_load_dword v5, v[3:4], off
	s_waitcnt vmcnt(0)
	v_ashrrev_i32_e32 v6, 31, v5
.LBB35_7:
	s_add_i32 s4, s4, s17
	s_ashr_i32 s5, s4, 31
	s_lshl_b64 s[22:23], s[4:5], 1
	s_add_u32 s5, s20, s22
	v_lshlrev_b64 v[5:6], 1, v[5:6]
	s_addc_u32 s22, s21, s23
	v_mov_b32_e32 v8, s22
	v_add_co_u32_e32 v5, vcc, s5, v5
	v_addc_co_u32_e32 v6, vcc, v8, v6, vcc
	global_load_ushort v5, v[5:6], off
	s_and_b64 vcc, exec, s[0:1]
	s_waitcnt vmcnt(0)
	ds_write_b16 v7, v5 offset:512
	v_mov_b32_e32 v6, v2
	v_mov_b32_e32 v5, v1
	s_cbranch_vccnz .LBB35_9
; %bb.8:
	global_load_dword v5, v[3:4], off
	s_waitcnt vmcnt(0)
	v_ashrrev_i32_e32 v6, 31, v5
.LBB35_9:
	s_add_i32 s4, s4, s17
	s_ashr_i32 s5, s4, 31
	s_lshl_b64 s[22:23], s[4:5], 1
	s_add_u32 s5, s20, s22
	v_lshlrev_b64 v[5:6], 1, v[5:6]
	s_addc_u32 s22, s21, s23
	v_mov_b32_e32 v8, s22
	v_add_co_u32_e32 v5, vcc, s5, v5
	v_addc_co_u32_e32 v6, vcc, v8, v6, vcc
	global_load_ushort v5, v[5:6], off
	s_and_b64 vcc, exec, s[0:1]
	s_waitcnt vmcnt(0)
	ds_write_b16 v7, v5 offset:768
	v_mov_b32_e32 v6, v2
	v_mov_b32_e32 v5, v1
	s_cbranch_vccnz .LBB35_11
; %bb.10:
	global_load_dword v5, v[3:4], off
	s_waitcnt vmcnt(0)
	v_ashrrev_i32_e32 v6, 31, v5
.LBB35_11:
	s_add_i32 s4, s4, s17
	s_ashr_i32 s5, s4, 31
	s_lshl_b64 s[22:23], s[4:5], 1
	s_add_u32 s5, s20, s22
	v_lshlrev_b64 v[5:6], 1, v[5:6]
	s_addc_u32 s22, s21, s23
	v_mov_b32_e32 v8, s22
	v_add_co_u32_e32 v5, vcc, s5, v5
	v_addc_co_u32_e32 v6, vcc, v8, v6, vcc
	global_load_ushort v5, v[5:6], off
	s_and_b64 vcc, exec, s[0:1]
	s_waitcnt vmcnt(0)
	ds_write_b16 v7, v5 offset:1024
	s_cbranch_vccnz .LBB35_13
; %bb.12:
	global_load_dword v1, v[3:4], off
	s_waitcnt vmcnt(0)
	v_ashrrev_i32_e32 v2, 31, v1
.LBB35_13:
	s_add_i32 s0, s4, s17
	s_ashr_i32 s1, s0, 31
	s_lshl_b64 s[0:1], s[0:1], 1
	s_add_u32 s0, s20, s0
	v_lshlrev_b64 v[1:2], 1, v[1:2]
	s_addc_u32 s1, s21, s1
	v_mov_b32_e32 v3, s1
	v_add_co_u32_e32 v1, vcc, s0, v1
	v_addc_co_u32_e32 v2, vcc, v3, v2, vcc
	global_load_ushort v1, v[1:2], off
	s_waitcnt vmcnt(0)
	ds_write_b16 v7, v1 offset:1280
.LBB35_14:
	s_or_b64 exec, exec, s[2:3]
	v_lshlrev_b32_e32 v1, 2, v0
	v_lshl_add_u32 v2, s6, 9, v1
	v_mov_b32_e32 v1, v2
	buffer_store_dword v1, off, s[28:31], 0 offset:52 ; 4-byte Folded Spill
	s_nop 0
	buffer_store_dword v2, off, s[28:31], 0 offset:56 ; 4-byte Folded Spill
	v_cmp_gt_i32_e32 vcc, s16, v2
	s_and_saveexec_b64 s[0:1], vcc
	s_cbranch_execz .LBB35_45
; %bb.15:
	s_abs_i32 s0, s18
	v_cvt_f32_u32_e32 v1, s0
	s_mov_b32 s2, 0
	v_mov_b32_e32 v27, 0
	v_mov_b32_e32 v26, 0
	v_rcp_iflag_f32_e32 v1, v1
	v_mov_b32_e32 v25, 0
	v_mov_b32_e32 v23, 0
	s_cmp_ge_i32 s24, s25
	v_mul_f32_e32 v1, 0x4f7ffffe, v1
	v_cvt_u32_f32_e32 v1, v1
	v_mov_b32_e32 v22, 0
	v_mov_b32_e32 v21, 0
	v_mov_b32_e32 v20, 0
	v_readfirstlane_b32 s1, v1
	v_mov_b32_e32 v19, 0
	v_mov_b32_e32 v17, 0
	;; [unrolled: 1-line block ×5, first 2 shown]
	s_waitcnt vmcnt(0) lgkmcnt(0)
	s_barrier
	s_cbranch_scc1 .LBB35_21
; %bb.16:
	buffer_load_dword v5, off, s[28:31], 0 offset:52 ; 4-byte Folded Reload
	buffer_load_dword v6, off, s[28:31], 0 offset:56 ; 4-byte Folded Reload
	s_sub_i32 s6, 0, s0
	s_mul_i32 s6, s6, s1
	s_mul_hi_u32 s6, s1, s6
	s_abs_i32 s5, s17
	s_add_i32 s1, s1, s6
	s_ashr_i32 s3, s17, 31
	s_ashr_i32 s4, s18, 31
	s_mul_hi_u32 s1, s5, s1
	s_xor_b32 s3, s3, s4
	s_mul_i32 s4, s1, s0
	s_sub_i32 s4, s5, s4
	s_add_i32 s5, s1, 1
	s_sub_i32 s6, s4, s0
	s_cmp_ge_u32 s4, s0
	s_cselect_b32 s1, s5, s1
	s_cselect_b32 s4, s6, s4
	s_add_i32 s5, s1, 1
	s_cmp_ge_u32 s4, s0
	s_cselect_b32 s0, s5, s1
	s_xor_b32 s0, s0, s3
	s_sub_i32 s3, s0, s3
	v_cvt_f32_u32_e32 v1, s3
	s_bitcmp1_b32 s19, 0
	s_cselect_b64 s[0:1], -1, 0
	s_sub_i32 s4, 0, s3
	v_rcp_iflag_f32_e32 v1, v1
	s_xor_b64 s[0:1], s[0:1], -1
	v_mov_b32_e32 v3, s11
	v_mov_b32_e32 v8, 0
	v_mul_f32_e32 v1, 0x4f7ffffe, v1
	v_cvt_u32_f32_e32 v1, v1
	s_movk_i32 s18, 0x2c00
	s_movk_i32 s19, 0x2400
	s_mov_b32 s20, 0x7060302
	v_readfirstlane_b32 s5, v1
	s_mul_i32 s4, s4, s5
	s_mul_hi_u32 s4, s5, s4
	s_add_i32 s5, s5, s4
	s_mul_hi_u32 s4, s24, s5
	s_mul_i32 s5, s4, s3
	s_sub_i32 s5, s24, s5
	s_add_i32 s6, s4, 1
	s_sub_i32 s17, s5, s3
	s_cmp_ge_u32 s5, s3
	s_cselect_b32 s4, s6, s4
	s_cselect_b32 s5, s17, s5
	s_add_i32 s6, s4, 1
	s_cmp_ge_u32 s5, s3
	s_cselect_b32 s4, s6, s4
	s_mul_i32 s5, s4, s16
	s_ashr_i32 s6, s5, 31
	s_lshr_b32 s6, s6, 28
	s_add_i32 s6, s5, s6
	s_ashr_i32 s6, s6, 4
	s_add_i32 s21, s3, s24
	s_ashr_i32 s17, s16, 31
	v_mov_b32_e32 v16, 0
	v_mov_b32_e32 v9, 0
	;; [unrolled: 1-line block ×11, first 2 shown]
	s_waitcnt vmcnt(0)
	v_ashrrev_i32_e32 v6, 31, v5
	v_lshrrev_b32_e32 v2, 28, v6
	v_add_u32_e32 v2, v5, v2
	v_ashrrev_i32_e32 v2, 4, v2
	v_add_u32_e32 v1, s6, v2
	buffer_store_dword v2, off, s[28:31], 0 offset:60 ; 4-byte Folded Spill
	v_ashrrev_i32_e32 v2, 31, v1
	v_lshlrev_b64 v[1:2], 2, v[1:2]
	s_movk_i32 s6, 0x3400
	v_add_co_u32_e32 v1, vcc, s10, v1
	v_addc_co_u32_e32 v2, vcc, v3, v2, vcc
	global_load_dword v7, v[1:2], off
	v_add_u32_e32 v1, s5, v5
	v_ashrrev_i32_e32 v2, 31, v1
	v_lshlrev_b64 v[1:2], 1, v[1:2]
	v_mov_b32_e32 v3, s13
	v_add_co_u32_e32 v1, vcc, s12, v1
	v_addc_co_u32_e32 v2, vcc, v3, v2, vcc
	global_load_dwordx2 v[3:4], v[1:2], off
	v_lshlrev_b32_e32 v2, 3, v0
	v_mov_b32_e32 v0, v5
	buffer_store_dword v0, off, s[28:31], 0 offset:52 ; 4-byte Folded Spill
	s_nop 0
	buffer_store_dword v1, off, s[28:31], 0 offset:56 ; 4-byte Folded Spill
	v_lshlrev_b64 v[0:1], 2, v[5:6]
	v_cndmask_b32_e64 v5, 0, 1, s[0:1]
	s_lshr_b32 s0, s24, 4
	s_mul_i32 s0, s16, s0
	s_ashr_i32 s1, s0, 31
	s_lshl_b64 s[0:1], s[0:1], 2
	s_add_u32 s8, s8, s0
	s_addc_u32 s9, s9, s1
	buffer_store_dword v5, off, s[28:31], 0 offset:48 ; 4-byte Folded Spill
	v_mov_b32_e32 v5, s9
	v_add_co_u32_e32 v0, vcc, s8, v0
	v_addc_co_u32_e32 v1, vcc, v5, v1, vcc
	v_and_b32_e32 v10, 24, v2
	v_add_co_u32_e32 v5, vcc, 8, v0
	v_addc_co_u32_e32 v6, vcc, 0, v1, vcc
	s_mov_b32 s5, 0x10001
	s_lshl_b64 s[0:1], s[16:17], 2
	buffer_store_dword v10, off, s[28:31], 0 offset:64 ; 4-byte Folded Spill
	s_waitcnt vmcnt(5)
	v_lshrrev_b32_e32 v0, v2, v7
	v_bfe_u32 v1, v7, v10, 2
	buffer_store_dword v1, off, s[28:31], 0 offset:32 ; 4-byte Folded Spill
	v_bfe_u32 v1, v0, 6, 2
	buffer_store_dword v1, off, s[28:31], 0 offset:36 ; 4-byte Folded Spill
	v_bfe_u32 v1, v0, 4, 2
	v_bfe_u32 v0, v0, 2, 2
	buffer_store_dword v1, off, s[28:31], 0 offset:40 ; 4-byte Folded Spill
	buffer_store_dword v0, off, s[28:31], 0 offset:44 ; 4-byte Folded Spill
	s_branch .LBB35_19
.LBB35_17:                              ;   in Loop: Header=BB35_19 Depth=1
	buffer_load_dword v0, off, s[28:31], 0 offset:60 ; 4-byte Folded Reload
	s_add_i32 s4, s4, 1
	s_mul_i32 s8, s4, s16
	s_ashr_i32 s9, s8, 31
	s_lshr_b32 s9, s9, 28
	s_add_i32 s9, s8, s9
	s_ashr_i32 s9, s9, 4
	v_mov_b32_e32 v2, s11
	s_waitcnt vmcnt(13)
	v_mov_b32_e32 v3, s13
	s_add_i32 s21, s21, s3
	s_waitcnt vmcnt(0)
	v_add_u32_e32 v0, s9, v0
	v_ashrrev_i32_e32 v1, 31, v0
	v_lshlrev_b64 v[0:1], 2, v[0:1]
	v_add_co_u32_e32 v0, vcc, s10, v0
	v_addc_co_u32_e32 v1, vcc, v2, v1, vcc
	global_load_dword v2, v[0:1], off
	s_nop 0
	buffer_load_dword v0, off, s[28:31], 0 offset:52 ; 4-byte Folded Reload
	buffer_load_dword v1, off, s[28:31], 0 offset:56 ; 4-byte Folded Reload
	s_waitcnt vmcnt(1)
	v_add_u32_e32 v0, s8, v0
	s_waitcnt vmcnt(0)
	v_ashrrev_i32_e32 v1, 31, v0
	v_lshlrev_b64 v[0:1], 1, v[0:1]
	v_add_co_u32_e32 v0, vcc, s12, v0
	v_addc_co_u32_e32 v1, vcc, v3, v1, vcc
	global_load_dwordx2 v[3:4], v[0:1], off
	s_nop 0
	buffer_load_dword v1, off, s[28:31], 0 offset:64 ; 4-byte Folded Reload
	s_waitcnt vmcnt(0)
	v_lshrrev_b32_e32 v0, v1, v2
	v_bfe_u32 v1, v2, v1, 2
	v_bfe_u32 v9, v0, 2, 2
	;; [unrolled: 1-line block ×4, first 2 shown]
.LBB35_18:                              ;   in Loop: Header=BB35_19 Depth=1
	buffer_load_dword v7, off, s[28:31], 0 offset:48 ; 4-byte Folded Reload
	global_load_dwordx4 v[29:32], v[5:6], off offset:-8
	v_mov_b32_e32 v11, 0xe400e400
	s_waitcnt vmcnt(5)
	buffer_store_dword v1, off, s[28:31], 0 offset:32 ; 4-byte Folded Spill
	s_waitcnt vmcnt(4)
	buffer_store_dword v2, off, s[28:31], 0 offset:40 ; 4-byte Folded Spill
	buffer_store_dword v8, off, s[28:31], 0 offset:36 ; 4-byte Folded Spill
	s_waitcnt vmcnt(5)
	buffer_store_dword v9, off, s[28:31], 0 offset:44 ; 4-byte Folded Spill
	s_add_i32 s8, s2, 0x400
	s_add_i32 s24, s24, 16
	v_add_co_u32_e32 v5, vcc, s0, v5
	s_waitcnt vmcnt(5)
	v_add_u32_e32 v0, v1, v7
	v_add_u32_e32 v1, v9, v7
	;; [unrolled: 1-line block ×4, first 2 shown]
	v_cvt_f32_u32_e32 v8, v0
	v_cvt_f32_u32_e32 v9, v1
	v_mad_u32_u24 v24, v1, s5, v11
	v_cvt_f32_u32_e32 v1, v2
	v_cvt_f32_u32_e32 v10, v7
	v_cvt_f16_f32_e32 v46, v8
	v_cvt_f16_f32_e32 v45, v9
	;; [unrolled: 1-line block ×4, first 2 shown]
	v_mad_u32_u24 v28, v0, s5, v11
	v_mad_u32_u24 v2, v2, s5, v11
	;; [unrolled: 1-line block ×3, first 2 shown]
	s_waitcnt vmcnt(4)
	v_and_b32_e32 v7, 0x30003, v29
	v_and_b32_e32 v8, 0xc000c, v29
	;; [unrolled: 1-line block ×4, first 2 shown]
	v_lshrrev_b32_e32 v14, 8, v29
	v_and_b32_e32 v11, 0x30003, v30
	v_sub_f16_e32 v29, 0xdc00, v46
	v_and_b32_e32 v17, 0xc000c, v30
	v_and_b32_e32 v15, 0x300030, v30
	;; [unrolled: 1-line block ×3, first 2 shown]
	v_lshrrev_b32_e32 v13, 8, v30
	v_and_b32_e32 v33, 0x30003, v31
	v_and_b32_e32 v34, 0xc000c, v31
	;; [unrolled: 1-line block ×6, first 2 shown]
	v_lshrrev_b32_e32 v1, 8, v32
	v_sub_f16_e32 v30, 0xdc00, v45
	v_sub_f16_e32 v37, 0xdc00, v44
	v_mul_u32_u24_e32 v32, 0x10001, v29
	v_sub_f16_e32 v29, 0xdc00, v43
	v_or_b32_e32 v11, 0x64006400, v11
	v_and_b32_e32 v39, 0x300030, v31
	v_and_b32_e32 v40, 0xc000c0, v31
	v_lshrrev_b32_e32 v12, 8, v31
	v_mul_u32_u24_e32 v31, 0x10001, v30
	v_mul_u32_u24_e32 v30, 0x10001, v37
	;; [unrolled: 1-line block ×3, first 2 shown]
	v_or_b32_e32 v33, 0x64006400, v33
	v_or_b32_e32 v34, 0x64006400, v34
	;; [unrolled: 1-line block ×4, first 2 shown]
	v_pk_add_f16 v37, v24, v11
	v_mov_b32_e32 v11, s2
	v_pk_add_f16 v35, v2, v33
	v_pk_fma_f16 v36, v34, s6, v30 op_sel_hi:[1,0,1]
	v_pk_add_f16 v33, v0, v47
	v_pk_fma_f16 v34, v48, s6, v29 op_sel_hi:[1,0,1]
	ds_read2_b32 v[47:48], v11 offset1:1
	v_or_b32_e32 v7, 0x64006400, v7
	v_or_b32_e32 v8, 0x64006400, v8
	;; [unrolled: 1-line block ×3, first 2 shown]
	v_pk_add_f16 v7, v28, v7
	v_pk_fma_f16 v8, v8, s6, v32 op_sel_hi:[1,0,1]
	v_pk_fma_f16 v38, v17, s6, v31 op_sel_hi:[1,0,1]
	s_waitcnt lgkmcnt(0)
	v_pk_fma_f16 v17, v7, v47, 0
	v_pk_fma_f16 v51, v8, v48, v17
	;; [unrolled: 1-line block ×7, first 2 shown]
	v_sub_f16_e32 v47, 0xd400, v45
	v_sub_f16_e32 v45, 0xcc00, v45
	v_pk_fma_f16 v54, v34, v48, v17
	v_sub_f16_e32 v48, 0xd400, v44
	v_sub_f16_e32 v44, 0xcc00, v44
	v_mul_u32_u24_e32 v57, 0x10001, v47
	v_mul_u32_u24_e32 v56, 0x10001, v45
	v_or_b32_e32 v15, 0x64006400, v15
	v_or_b32_e32 v16, 0x64006400, v16
	v_sub_f16_e32 v17, 0xd400, v46
	v_sub_f16_e32 v49, 0xd400, v43
	;; [unrolled: 1-line block ×3, first 2 shown]
	v_mul_u32_u24_e32 v55, 0x10001, v48
	v_mul_u32_u24_e32 v50, 0x10001, v44
	v_pk_fma_f16 v47, v15, s18, v57 op_sel_hi:[1,0,1]
	v_pk_fma_f16 v48, v16, s19, v56 op_sel_hi:[1,0,1]
	v_or_b32_e32 v15, 0x64006400, v39
	v_or_b32_e32 v16, 0x64006400, v40
	v_mul_u32_u24_e32 v62, 0x10001, v17
	v_mul_u32_u24_e32 v49, 0x10001, v49
	;; [unrolled: 1-line block ×3, first 2 shown]
	v_pk_fma_f16 v43, v15, s18, v55 op_sel_hi:[1,0,1]
	v_pk_fma_f16 v44, v16, s19, v50 op_sel_hi:[1,0,1]
	v_or_b32_e32 v15, 0x64006400, v41
	v_or_b32_e32 v16, 0x64006400, v42
	v_pk_fma_f16 v39, v15, s18, v49 op_sel_hi:[1,0,1]
	v_pk_fma_f16 v40, v16, s19, v17 op_sel_hi:[1,0,1]
	ds_read2_b32 v[15:16], v11 offset0:2 offset1:3
	v_sub_f16_e32 v46, 0xcc00, v46
	v_or_b32_e32 v9, 0x64006400, v9
	v_mul_u32_u24_e32 v61, 0x10001, v46
	v_or_b32_e32 v10, 0x64006400, v10
	v_pk_fma_f16 v9, v9, s18, v62 op_sel_hi:[1,0,1]
	v_pk_fma_f16 v10, v10, s19, v61 op_sel_hi:[1,0,1]
	s_waitcnt lgkmcnt(0)
	v_pk_fma_f16 v41, v9, v15, v51
	v_pk_fma_f16 v42, v47, v15, v52
	;; [unrolled: 1-line block ×8, first 2 shown]
	v_and_b32_e32 v15, 0x30003, v14
	v_or_b32_e32 v15, 0x64006400, v15
	v_pk_add_f16 v59, v28, v15
	v_and_b32_e32 v15, 0xc000c, v14
	v_or_b32_e32 v15, 0x64006400, v15
	v_pk_fma_f16 v60, v15, s6, v32 op_sel_hi:[1,0,1]
	v_and_b32_e32 v15, 0x30003, v13
	v_or_b32_e32 v15, 0x64006400, v15
	v_pk_add_f16 v53, v24, v15
	v_and_b32_e32 v15, 0xc000c, v13
	v_or_b32_e32 v15, 0x64006400, v15
	v_pk_fma_f16 v54, v15, s6, v31 op_sel_hi:[1,0,1]
	;; [unrolled: 6-line block ×4, first 2 shown]
	ds_read2_b32 v[28:29], v11 offset0:4 offset1:5
	v_and_b32_e32 v24, 0x300030, v14
	v_and_b32_e32 v14, 0xc000c0, v14
	v_or_b32_e32 v24, 0x64006400, v24
	v_or_b32_e32 v14, 0x64006400, v14
	s_waitcnt lgkmcnt(0)
	v_pk_fma_f16 v15, v51, v28, v63
	v_pk_fma_f16 v63, v24, s18, v62 op_sel_hi:[1,0,1]
	v_pk_fma_f16 v24, v14, s19, v61 op_sel_hi:[1,0,1]
	v_and_b32_e32 v14, 0x300030, v13
	v_and_b32_e32 v13, 0xc000c0, v13
	v_or_b32_e32 v13, 0x64006400, v13
	v_pk_fma_f16 v62, v13, s19, v56 op_sel_hi:[1,0,1]
	v_and_b32_e32 v13, 0x300030, v12
	v_and_b32_e32 v12, 0xc000c0, v12
	v_or_b32_e32 v12, 0x64006400, v12
	v_pk_fma_f16 v56, v12, s19, v50 op_sel_hi:[1,0,1]
	v_and_b32_e32 v12, 0x300030, v1
	v_or_b32_e32 v13, 0x64006400, v13
	v_or_b32_e32 v12, 0x64006400, v12
	v_pk_fma_f16 v0, v59, v28, v41
	v_pk_fma_f16 v55, v13, s18, v55 op_sel_hi:[1,0,1]
	v_pk_fma_f16 v41, v12, s18, v49 op_sel_hi:[1,0,1]
	ds_read2_b32 v[12:13], v11 offset0:6 offset1:7
	v_pk_fma_f16 v0, v60, v29, v0
	v_pk_fma_f16 v2, v53, v28, v42
	v_or_b32_e32 v14, 0x64006400, v14
	v_pk_fma_f16 v2, v54, v29, v2
	v_pk_fma_f16 v16, v45, v28, v16
	v_pk_fma_f16 v61, v14, s18, v57 op_sel_hi:[1,0,1]
	s_waitcnt lgkmcnt(0)
	v_pk_fma_f16 v0, v63, v12, v0
	v_pk_fma_f16 v15, v52, v29, v15
	v_pk_fma_f16 v16, v46, v29, v16
	v_pk_fma_f16 v29, v24, v13, v0
	v_pk_fma_f16 v0, v61, v12, v2
	v_and_b32_e32 v1, 0xc000c0, v1
	v_pk_fma_f16 v30, v62, v13, v0
	v_pk_fma_f16 v0, v55, v12, v15
	v_or_b32_e32 v1, 0x64006400, v1
	v_pk_fma_f16 v0, v56, v13, v0
	v_pk_fma_f16 v42, v1, s19, v17 op_sel_hi:[1,0,1]
	buffer_store_dword v0, off, s[28:31], 0 offset:16 ; 4-byte Folded Spill
	v_pk_fma_f16 v0, v41, v12, v16
	v_pk_fma_f16 v0, v42, v13, v0
	buffer_store_dword v0, off, s[28:31], 0 offset:20 ; 4-byte Folded Spill
	ds_read2_b32 v[0:1], v11 offset0:64 offset1:65
	s_waitcnt lgkmcnt(0)
	v_pk_fma_f16 v2, v7, v0, 0
	v_pk_fma_f16 v12, v37, v0, 0
	;; [unrolled: 1-line block ×8, first 2 shown]
	ds_read2_b32 v[0:1], v11 offset0:66 offset1:67
	s_waitcnt lgkmcnt(0)
	v_pk_fma_f16 v2, v9, v0, v2
	v_pk_fma_f16 v12, v47, v0, v12
	;; [unrolled: 1-line block ×8, first 2 shown]
	ds_read2_b32 v[0:1], v11 offset0:68 offset1:69
	s_waitcnt lgkmcnt(0)
	v_pk_fma_f16 v12, v53, v0, v12
	v_pk_fma_f16 v15, v54, v1, v12
	;; [unrolled: 1-line block ×4, first 2 shown]
	ds_read2_b32 v[12:13], v11 offset0:70 offset1:71
	v_pk_fma_f16 v2, v59, v0, v2
	v_pk_fma_f16 v0, v45, v0, v14
	;; [unrolled: 1-line block ×4, first 2 shown]
	s_waitcnt lgkmcnt(0)
	v_pk_fma_f16 v0, v63, v12, v2
	v_pk_fma_f16 v2, v61, v12, v15
	;; [unrolled: 1-line block ×8, first 2 shown]
	ds_read2_b32 v[12:13], v11 offset0:128 offset1:129
	buffer_store_dword v14, off, s[28:31], 0 offset:24 ; 4-byte Folded Spill
	buffer_store_dword v1, off, s[28:31], 0 offset:28 ; 4-byte Folded Spill
	s_waitcnt lgkmcnt(0)
	v_pk_fma_f16 v1, v7, v12, 0
	v_pk_fma_f16 v14, v37, v12, 0
	v_pk_fma_f16 v15, v35, v12, 0
	v_pk_fma_f16 v12, v33, v12, 0
	v_pk_fma_f16 v1, v8, v13, v1
	v_pk_fma_f16 v14, v38, v13, v14
	v_pk_fma_f16 v15, v36, v13, v15
	v_pk_fma_f16 v16, v34, v13, v12
	ds_read2_b32 v[12:13], v11 offset0:130 offset1:131
	s_waitcnt lgkmcnt(0)
	v_pk_fma_f16 v1, v9, v12, v1
	v_pk_fma_f16 v14, v47, v12, v14
	v_pk_fma_f16 v15, v43, v12, v15
	v_pk_fma_f16 v12, v39, v12, v16
	v_pk_fma_f16 v1, v10, v13, v1
	v_pk_fma_f16 v14, v48, v13, v14
	v_pk_fma_f16 v15, v44, v13, v15
	v_pk_fma_f16 v16, v40, v13, v12
	ds_read2_b32 v[12:13], v11 offset0:132 offset1:133
	;; [unrolled: 10-line block ×7, first 2 shown]
	s_waitcnt lgkmcnt(0)
	v_pk_fma_f16 v14, v63, v11, v14
	v_pk_fma_f16 v17, v24, v12, v14
	;; [unrolled: 1-line block ×7, first 2 shown]
	v_mov_b32_e32 v11, s8
	v_pk_fma_f16 v31, v56, v12, v14
	ds_read2_b32 v[11:12], v11 offset1:1
	s_add_i32 s8, s2, 0x408
	s_waitcnt lgkmcnt(0)
	v_pk_fma_f16 v13, v7, v11, 0
	v_pk_fma_f16 v14, v37, v11, 0
	v_pk_fma_f16 v15, v35, v11, 0
	v_pk_fma_f16 v11, v33, v11, 0
	v_pk_fma_f16 v49, v34, v12, v11
	v_mov_b32_e32 v11, s8
	v_pk_fma_f16 v13, v8, v12, v13
	v_pk_fma_f16 v14, v38, v12, v14
	v_pk_fma_f16 v15, v36, v12, v15
	ds_read2_b32 v[11:12], v11 offset1:1
	s_add_i32 s8, s2, 0x410
	s_waitcnt lgkmcnt(0)
	v_pk_fma_f16 v13, v9, v11, v13
	v_pk_fma_f16 v14, v47, v11, v14
	v_pk_fma_f16 v15, v43, v11, v15
	v_pk_fma_f16 v11, v39, v11, v49
	v_pk_fma_f16 v49, v40, v12, v11
	v_mov_b32_e32 v11, s8
	v_pk_fma_f16 v13, v10, v12, v13
	v_pk_fma_f16 v14, v48, v12, v14
	;; [unrolled: 12-line block ×3, first 2 shown]
	v_pk_fma_f16 v15, v52, v12, v15
	ds_read2_b32 v[11:12], v11 offset1:1
	s_add_i32 s8, s2, 0x500
	s_waitcnt lgkmcnt(0)
	v_pk_fma_f16 v13, v63, v11, v13
	v_pk_fma_f16 v58, v24, v12, v13
	;; [unrolled: 1-line block ×7, first 2 shown]
	v_mov_b32_e32 v11, s8
	v_pk_fma_f16 v15, v56, v12, v13
	ds_read2_b32 v[13:14], v11 offset1:1
	s_add_i32 s8, s2, 0x508
	s_waitcnt lgkmcnt(0)
	v_pk_fma_f16 v37, v37, v13, 0
	v_pk_fma_f16 v37, v38, v14, v37
	v_pack_b32_f16 v38, v29, v30
	v_perm_b32 v29, v30, v29, s20
	v_pk_add_f16 v29, v38, v29
	v_pk_fma_f16 v27, v29, v3, v27
	v_pack_b32_f16 v29, v0, v2
	v_perm_b32 v0, v2, v0, s20
	v_pk_add_f16 v0, v29, v0
	;; [unrolled: 4-line block ×3, first 2 shown]
	v_pk_fma_f16 v22, v0, v3, v22
	v_pack_b32_f16 v0, v17, v57
	v_perm_b32 v2, v57, v17, s20
	buffer_load_dword v17, off, s[28:31], 0 offset:12 ; 4-byte Folded Reload
	buffer_load_dword v16, off, s[28:31], 0 offset:4 ; 4-byte Folded Reload
	v_pk_fma_f16 v7, v7, v13, 0
	v_pk_fma_f16 v7, v8, v14, v7
	v_mov_b32_e32 v8, s8
	ds_read2_b32 v[11:12], v8 offset1:1
	s_add_i32 s8, s2, 0x510
	v_mov_b32_e32 v8, s8
	s_add_i32 s8, s2, 0x518
	v_pk_add_f16 v0, v0, v2
	s_waitcnt lgkmcnt(0)
	v_pk_fma_f16 v7, v9, v11, v7
	v_pk_fma_f16 v7, v10, v12, v7
	ds_read2_b32 v[9:10], v8 offset1:1
	v_pk_fma_f16 v37, v47, v11, v37
	v_pk_fma_f16 v37, v48, v12, v37
	;; [unrolled: 1-line block ×3, first 2 shown]
	v_pack_b32_f16 v0, v58, v18
	s_waitcnt lgkmcnt(0)
	v_pk_fma_f16 v7, v59, v9, v7
	v_pk_fma_f16 v59, v60, v10, v7
	v_mov_b32_e32 v7, s8
	ds_read2_b32 v[7:8], v7 offset1:1
	v_pk_fma_f16 v37, v53, v9, v37
	v_pk_fma_f16 v37, v54, v10, v37
	v_perm_b32 v2, v18, v58, s20
	v_pk_add_f16 v0, v0, v2
	s_waitcnt lgkmcnt(0)
	v_pk_fma_f16 v59, v63, v7, v59
	v_pk_fma_f16 v37, v61, v7, v37
	;; [unrolled: 1-line block ×4, first 2 shown]
	v_perm_b32 v2, v37, v24, s20
	s_add_i32 s2, s2, 32
	s_cmp_ge_i32 s24, s25
	s_waitcnt vmcnt(1)
	v_pk_fma_f16 v17, v0, v3, v17
	v_pack_b32_f16 v0, v24, v37
	v_pk_add_f16 v0, v0, v2
	s_waitcnt vmcnt(0)
	v_pk_fma_f16 v16, v0, v3, v16
	v_pk_fma_f16 v0, v35, v13, 0
	;; [unrolled: 1-line block ×17, first 2 shown]
	buffer_load_dword v8, off, s[28:31], 0 offset:16 ; 4-byte Folded Reload
	buffer_load_dword v9, off, s[28:31], 0 offset:20 ; 4-byte Folded Reload
	s_waitcnt vmcnt(0)
	v_pack_b32_f16 v7, v8, v9
	v_perm_b32 v8, v9, v8, s20
	v_pk_add_f16 v7, v7, v8
	buffer_load_dword v8, off, s[28:31], 0 offset:24 ; 4-byte Folded Reload
	buffer_load_dword v9, off, s[28:31], 0 offset:28 ; 4-byte Folded Reload
	v_pk_fma_f16 v26, v7, v4, v26
	s_waitcnt vmcnt(0)
	v_pack_b32_f16 v7, v8, v9
	v_perm_b32 v8, v9, v8, s20
	buffer_load_dword v9, off, s[28:31], 0 offset:8 ; 4-byte Folded Reload
	v_pk_add_f16 v7, v7, v8
	buffer_load_dword v8, off, s[28:31], 0  ; 4-byte Folded Reload
	v_pk_fma_f16 v23, v7, v4, v23
	v_pack_b32_f16 v7, v1, v28
	v_perm_b32 v1, v28, v1, s20
	v_pk_add_f16 v1, v7, v1
	v_pk_fma_f16 v21, v1, v4, v21
	v_pack_b32_f16 v1, v31, v32
	v_perm_b32 v7, v32, v31, s20
	v_pk_add_f16 v1, v1, v7
	;; [unrolled: 4-line block ×3, first 2 shown]
	s_waitcnt vmcnt(1)
	v_pk_fma_f16 v9, v1, v4, v9
	v_pack_b32_f16 v1, v0, v2
	v_perm_b32 v0, v2, v0, s20
	v_pk_add_f16 v0, v1, v0
	s_waitcnt vmcnt(0)
	v_pk_fma_f16 v8, v0, v4, v8
	v_mov_b32_e32 v0, s1
	v_addc_co_u32_e32 v6, vcc, v6, v0, vcc
	s_cbranch_scc1 .LBB35_21
.LBB35_19:                              ; =>This Inner Loop Header: Depth=1
	s_cmp_lg_u32 s24, s21
	buffer_store_dword v8, off, s[28:31], 0 ; 4-byte Folded Spill
	buffer_store_dword v16, off, s[28:31], 0 offset:4 ; 4-byte Folded Spill
	buffer_store_dword v9, off, s[28:31], 0 offset:8 ; 4-byte Folded Spill
	;; [unrolled: 1-line block ×3, first 2 shown]
	s_cbranch_scc0 .LBB35_17
; %bb.20:                               ;   in Loop: Header=BB35_19 Depth=1
	buffer_load_dword v1, off, s[28:31], 0 offset:32 ; 4-byte Folded Reload
	buffer_load_dword v8, off, s[28:31], 0 offset:36 ; 4-byte Folded Reload
	;; [unrolled: 1-line block ×4, first 2 shown]
	s_branch .LBB35_18
.LBB35_21:
	buffer_load_dword v0, off, s[28:31], 0 offset:52 ; 4-byte Folded Reload
	buffer_load_dword v1, off, s[28:31], 0 offset:56 ; 4-byte Folded Reload
	s_mul_i32 s7, s7, s16
	v_mov_b32_e32 v3, s15
	s_mov_b64 s[0:1], 0
	s_waitcnt vmcnt(1)
	v_add_u32_e32 v0, s7, v0
	s_waitcnt vmcnt(0)
	v_ashrrev_i32_e32 v1, 31, v0
	v_lshlrev_b64 v[1:2], 1, v[0:1]
	v_add_co_u32_e32 v1, vcc, s14, v1
	v_addc_co_u32_e32 v2, vcc, v3, v2, vcc
	global_load_dword v4, v[1:2], off
.LBB35_22:                              ; =>This Inner Loop Header: Depth=1
	s_waitcnt vmcnt(0)
	v_pk_add_f16 v3, v27, v4
	global_atomic_cmpswap v3, v[1:2], v[3:4], off glc
	s_waitcnt vmcnt(0)
	v_cmp_eq_u32_e32 vcc, v4, v3
	s_or_b64 s[0:1], vcc, s[0:1]
	v_mov_b32_e32 v4, v3
	s_andn2_b64 exec, exec, s[0:1]
	s_cbranch_execnz .LBB35_22
; %bb.23:
	s_or_b64 exec, exec, s[0:1]
	global_load_dword v4, v[1:2], off offset:4
	s_mov_b64 s[0:1], 0
.LBB35_24:                              ; =>This Inner Loop Header: Depth=1
	s_waitcnt vmcnt(0)
	v_pk_add_f16 v3, v26, v4
	global_atomic_cmpswap v3, v[1:2], v[3:4], off offset:4 glc
	s_waitcnt vmcnt(0)
	v_cmp_eq_u32_e32 vcc, v4, v3
	s_or_b64 s[0:1], vcc, s[0:1]
	v_mov_b32_e32 v4, v3
	s_andn2_b64 exec, exec, s[0:1]
	s_cbranch_execnz .LBB35_24
; %bb.25:
	s_or_b64 exec, exec, s[0:1]
	v_add_u32_e32 v0, s16, v0
	v_ashrrev_i32_e32 v1, 31, v0
	v_lshlrev_b64 v[1:2], 1, v[0:1]
	v_mov_b32_e32 v3, s15
	v_add_co_u32_e32 v1, vcc, s14, v1
	v_addc_co_u32_e32 v2, vcc, v3, v2, vcc
	global_load_dword v4, v[1:2], off
	s_mov_b64 s[0:1], 0
.LBB35_26:                              ; =>This Inner Loop Header: Depth=1
	s_waitcnt vmcnt(0)
	v_pk_add_f16 v3, v25, v4
	global_atomic_cmpswap v3, v[1:2], v[3:4], off glc
	s_waitcnt vmcnt(0)
	v_cmp_eq_u32_e32 vcc, v4, v3
	s_or_b64 s[0:1], vcc, s[0:1]
	v_mov_b32_e32 v4, v3
	s_andn2_b64 exec, exec, s[0:1]
	s_cbranch_execnz .LBB35_26
; %bb.27:
	s_or_b64 exec, exec, s[0:1]
	global_load_dword v4, v[1:2], off offset:4
	s_mov_b64 s[0:1], 0
.LBB35_28:                              ; =>This Inner Loop Header: Depth=1
	s_waitcnt vmcnt(0)
	v_pk_add_f16 v3, v23, v4
	global_atomic_cmpswap v3, v[1:2], v[3:4], off offset:4 glc
	s_waitcnt vmcnt(0)
	v_cmp_eq_u32_e32 vcc, v4, v3
	s_or_b64 s[0:1], vcc, s[0:1]
	v_mov_b32_e32 v4, v3
	s_andn2_b64 exec, exec, s[0:1]
	s_cbranch_execnz .LBB35_28
; %bb.29:
	s_or_b64 exec, exec, s[0:1]
	v_add_u32_e32 v0, s16, v0
	v_ashrrev_i32_e32 v1, 31, v0
	v_lshlrev_b64 v[1:2], 1, v[0:1]
	v_mov_b32_e32 v3, s15
	v_add_co_u32_e32 v1, vcc, s14, v1
	v_addc_co_u32_e32 v2, vcc, v3, v2, vcc
	global_load_dword v4, v[1:2], off
	s_mov_b64 s[0:1], 0
	;; [unrolled: 34-line block ×5, first 2 shown]
.LBB35_42:                              ; =>This Inner Loop Header: Depth=1
	s_waitcnt vmcnt(0)
	v_pk_add_f16 v2, v16, v3
	global_atomic_cmpswap v2, v[0:1], v[2:3], off glc
	s_waitcnt vmcnt(0)
	v_cmp_eq_u32_e32 vcc, v3, v2
	s_or_b64 s[0:1], vcc, s[0:1]
	v_mov_b32_e32 v3, v2
	s_andn2_b64 exec, exec, s[0:1]
	s_cbranch_execnz .LBB35_42
; %bb.43:
	s_or_b64 exec, exec, s[0:1]
	global_load_dword v3, v[0:1], off offset:4
	s_mov_b64 s[0:1], 0
.LBB35_44:                              ; =>This Inner Loop Header: Depth=1
	s_waitcnt vmcnt(0)
	v_pk_add_f16 v2, v8, v3
	global_atomic_cmpswap v2, v[0:1], v[2:3], off offset:4 glc
	s_waitcnt vmcnt(0)
	v_cmp_eq_u32_e32 vcc, v3, v2
	s_or_b64 s[0:1], vcc, s[0:1]
	v_mov_b32_e32 v3, v2
	s_andn2_b64 exec, exec, s[0:1]
	s_cbranch_execnz .LBB35_44
.LBB35_45:
	s_endpgm
	.section	.rodata,"a",@progbits
	.p2align	6, 0x0
	.amdhsa_kernel _ZN4vllm4gptq33gemm_half_q_half_gptq_2bit_kernelILb1ELi6EEEvPK6__halfPKjS6_S4_PS2_iiiibPKi
		.amdhsa_group_segment_fixed_size 1536
		.amdhsa_private_segment_fixed_size 72
		.amdhsa_kernarg_size 72
		.amdhsa_user_sgpr_count 6
		.amdhsa_user_sgpr_private_segment_buffer 1
		.amdhsa_user_sgpr_dispatch_ptr 0
		.amdhsa_user_sgpr_queue_ptr 0
		.amdhsa_user_sgpr_kernarg_segment_ptr 1
		.amdhsa_user_sgpr_dispatch_id 0
		.amdhsa_user_sgpr_flat_scratch_init 0
		.amdhsa_user_sgpr_private_segment_size 0
		.amdhsa_uses_dynamic_stack 0
		.amdhsa_system_sgpr_private_segment_wavefront_offset 1
		.amdhsa_system_sgpr_workgroup_id_x 1
		.amdhsa_system_sgpr_workgroup_id_y 1
		.amdhsa_system_sgpr_workgroup_id_z 1
		.amdhsa_system_sgpr_workgroup_info 0
		.amdhsa_system_vgpr_workitem_id 0
		.amdhsa_next_free_vgpr 64
		.amdhsa_next_free_sgpr 32
		.amdhsa_reserve_vcc 1
		.amdhsa_reserve_flat_scratch 0
		.amdhsa_float_round_mode_32 0
		.amdhsa_float_round_mode_16_64 0
		.amdhsa_float_denorm_mode_32 3
		.amdhsa_float_denorm_mode_16_64 3
		.amdhsa_dx10_clamp 1
		.amdhsa_ieee_mode 1
		.amdhsa_fp16_overflow 0
		.amdhsa_exception_fp_ieee_invalid_op 0
		.amdhsa_exception_fp_denorm_src 0
		.amdhsa_exception_fp_ieee_div_zero 0
		.amdhsa_exception_fp_ieee_overflow 0
		.amdhsa_exception_fp_ieee_underflow 0
		.amdhsa_exception_fp_ieee_inexact 0
		.amdhsa_exception_int_div_zero 0
	.end_amdhsa_kernel
	.section	.text._ZN4vllm4gptq33gemm_half_q_half_gptq_2bit_kernelILb1ELi6EEEvPK6__halfPKjS6_S4_PS2_iiiibPKi,"axG",@progbits,_ZN4vllm4gptq33gemm_half_q_half_gptq_2bit_kernelILb1ELi6EEEvPK6__halfPKjS6_S4_PS2_iiiibPKi,comdat
.Lfunc_end35:
	.size	_ZN4vllm4gptq33gemm_half_q_half_gptq_2bit_kernelILb1ELi6EEEvPK6__halfPKjS6_S4_PS2_iiiibPKi, .Lfunc_end35-_ZN4vllm4gptq33gemm_half_q_half_gptq_2bit_kernelILb1ELi6EEEvPK6__halfPKjS6_S4_PS2_iiiibPKi
                                        ; -- End function
	.set _ZN4vllm4gptq33gemm_half_q_half_gptq_2bit_kernelILb1ELi6EEEvPK6__halfPKjS6_S4_PS2_iiiibPKi.num_vgpr, 64
	.set _ZN4vllm4gptq33gemm_half_q_half_gptq_2bit_kernelILb1ELi6EEEvPK6__halfPKjS6_S4_PS2_iiiibPKi.num_agpr, 0
	.set _ZN4vllm4gptq33gemm_half_q_half_gptq_2bit_kernelILb1ELi6EEEvPK6__halfPKjS6_S4_PS2_iiiibPKi.numbered_sgpr, 32
	.set _ZN4vllm4gptq33gemm_half_q_half_gptq_2bit_kernelILb1ELi6EEEvPK6__halfPKjS6_S4_PS2_iiiibPKi.num_named_barrier, 0
	.set _ZN4vllm4gptq33gemm_half_q_half_gptq_2bit_kernelILb1ELi6EEEvPK6__halfPKjS6_S4_PS2_iiiibPKi.private_seg_size, 72
	.set _ZN4vllm4gptq33gemm_half_q_half_gptq_2bit_kernelILb1ELi6EEEvPK6__halfPKjS6_S4_PS2_iiiibPKi.uses_vcc, 1
	.set _ZN4vllm4gptq33gemm_half_q_half_gptq_2bit_kernelILb1ELi6EEEvPK6__halfPKjS6_S4_PS2_iiiibPKi.uses_flat_scratch, 0
	.set _ZN4vllm4gptq33gemm_half_q_half_gptq_2bit_kernelILb1ELi6EEEvPK6__halfPKjS6_S4_PS2_iiiibPKi.has_dyn_sized_stack, 0
	.set _ZN4vllm4gptq33gemm_half_q_half_gptq_2bit_kernelILb1ELi6EEEvPK6__halfPKjS6_S4_PS2_iiiibPKi.has_recursion, 0
	.set _ZN4vllm4gptq33gemm_half_q_half_gptq_2bit_kernelILb1ELi6EEEvPK6__halfPKjS6_S4_PS2_iiiibPKi.has_indirect_call, 0
	.section	.AMDGPU.csdata,"",@progbits
; Kernel info:
; codeLenInByte = 6220
; TotalNumSgprs: 36
; NumVgprs: 64
; ScratchSize: 72
; MemoryBound: 0
; FloatMode: 240
; IeeeMode: 1
; LDSByteSize: 1536 bytes/workgroup (compile time only)
; SGPRBlocks: 4
; VGPRBlocks: 15
; NumSGPRsForWavesPerEU: 36
; NumVGPRsForWavesPerEU: 64
; Occupancy: 4
; WaveLimiterHint : 0
; COMPUTE_PGM_RSRC2:SCRATCH_EN: 1
; COMPUTE_PGM_RSRC2:USER_SGPR: 6
; COMPUTE_PGM_RSRC2:TRAP_HANDLER: 0
; COMPUTE_PGM_RSRC2:TGID_X_EN: 1
; COMPUTE_PGM_RSRC2:TGID_Y_EN: 1
; COMPUTE_PGM_RSRC2:TGID_Z_EN: 1
; COMPUTE_PGM_RSRC2:TIDIG_COMP_CNT: 0
	.section	.text._ZN4vllm4gptq33gemm_half_q_half_gptq_3bit_kernelILb1ELi6EEEvPK6__halfPKjS6_S4_PS2_iiiibPKi,"axG",@progbits,_ZN4vllm4gptq33gemm_half_q_half_gptq_3bit_kernelILb1ELi6EEEvPK6__halfPKjS6_S4_PS2_iiiibPKi,comdat
	.protected	_ZN4vllm4gptq33gemm_half_q_half_gptq_3bit_kernelILb1ELi6EEEvPK6__halfPKjS6_S4_PS2_iiiibPKi ; -- Begin function _ZN4vllm4gptq33gemm_half_q_half_gptq_3bit_kernelILb1ELi6EEEvPK6__halfPKjS6_S4_PS2_iiiibPKi
	.globl	_ZN4vllm4gptq33gemm_half_q_half_gptq_3bit_kernelILb1ELi6EEEvPK6__halfPKjS6_S4_PS2_iiiibPKi
	.p2align	8
	.type	_ZN4vllm4gptq33gemm_half_q_half_gptq_3bit_kernelILb1ELi6EEEvPK6__halfPKjS6_S4_PS2_iiiibPKi,@function
_ZN4vllm4gptq33gemm_half_q_half_gptq_3bit_kernelILb1ELi6EEEvPK6__halfPKjS6_S4_PS2_iiiibPKi: ; @_ZN4vllm4gptq33gemm_half_q_half_gptq_3bit_kernelILb1ELi6EEEvPK6__halfPKjS6_S4_PS2_iiiibPKi
; %bb.0:
	s_mov_b64 s[42:43], s[2:3]
	s_load_dwordx4 s[16:19], s[4:5], 0x2c
	s_mov_b64 s[40:41], s[0:1]
	s_add_u32 s40, s40, s9
	s_addc_u32 s41, s41, 0
	s_lshl_b32 s25, s8, 7
	s_add_i32 s0, s25, 0x80
	v_cvt_f64_u32_e32 v[1:2], s0
	s_waitcnt lgkmcnt(0)
	v_cvt_f64_i32_e32 v[3:4], s17
	s_load_dwordx8 s[8:15], s[4:5], 0x8
	s_mul_i32 s24, s7, 6
	v_min_f64 v[1:2], v[1:2], v[3:4]
	v_cvt_i32_f64_e32 v2, v[1:2]
	v_add_u32_e32 v1, s25, v0
	v_readfirstlane_b32 s26, v2
	v_cmp_lt_u32_e32 vcc, v1, v2
	s_and_saveexec_b64 s[2:3], vcc
	s_cbranch_execz .LBB36_14
; %bb.1:
	s_load_dwordx2 s[0:1], s[4:5], 0x40
	s_load_dwordx2 s[20:21], s[4:5], 0x0
	v_mov_b32_e32 v2, 0
	v_lshlrev_b64 v[3:4], 2, v[1:2]
	s_waitcnt lgkmcnt(0)
	v_mov_b32_e32 v5, s1
	v_add_co_u32_e32 v3, vcc, s0, v3
	s_cmp_lg_u64 s[0:1], 0
	v_addc_co_u32_e32 v4, vcc, v5, v4, vcc
	v_mov_b32_e32 v6, v2
	s_cselect_b64 s[4:5], -1, 0
	s_cmp_eq_u64 s[0:1], 0
	v_mov_b32_e32 v5, v1
	s_cbranch_scc1 .LBB36_3
; %bb.2:
	global_load_dword v5, v[3:4], off
	s_waitcnt vmcnt(0)
	v_ashrrev_i32_e32 v6, 31, v5
.LBB36_3:
	s_mul_i32 s22, s24, s17
	s_ashr_i32 s23, s22, 31
	s_lshl_b64 s[0:1], s[22:23], 1
	s_add_u32 s0, s20, s0
	v_lshlrev_b64 v[5:6], 1, v[5:6]
	s_addc_u32 s1, s21, s1
	v_mov_b32_e32 v7, s1
	v_add_co_u32_e32 v5, vcc, s0, v5
	v_addc_co_u32_e32 v6, vcc, v7, v6, vcc
	global_load_ushort v5, v[5:6], off
	v_lshlrev_b32_e32 v7, 1, v0
	v_cndmask_b32_e64 v6, 0, 1, s[4:5]
	v_cmp_ne_u32_e64 s[0:1], 1, v6
	s_andn2_b64 vcc, exec, s[4:5]
	s_waitcnt vmcnt(0)
	ds_write_b16 v7, v5
	v_mov_b32_e32 v6, v2
	v_mov_b32_e32 v5, v1
	s_cbranch_vccnz .LBB36_5
; %bb.4:
	global_load_dword v5, v[3:4], off
	s_waitcnt vmcnt(0)
	v_ashrrev_i32_e32 v6, 31, v5
.LBB36_5:
	s_add_i32 s4, s22, s17
	s_ashr_i32 s5, s4, 31
	s_lshl_b64 s[22:23], s[4:5], 1
	s_add_u32 s5, s20, s22
	v_lshlrev_b64 v[5:6], 1, v[5:6]
	s_addc_u32 s7, s21, s23
	v_mov_b32_e32 v8, s7
	v_add_co_u32_e32 v5, vcc, s5, v5
	v_addc_co_u32_e32 v6, vcc, v8, v6, vcc
	global_load_ushort v5, v[5:6], off
	s_and_b64 vcc, exec, s[0:1]
	s_waitcnt vmcnt(0)
	ds_write_b16 v7, v5 offset:256
	v_mov_b32_e32 v6, v2
	v_mov_b32_e32 v5, v1
	s_cbranch_vccnz .LBB36_7
; %bb.6:
	global_load_dword v5, v[3:4], off
	s_waitcnt vmcnt(0)
	v_ashrrev_i32_e32 v6, 31, v5
.LBB36_7:
	s_add_i32 s4, s4, s17
	s_ashr_i32 s5, s4, 31
	s_lshl_b64 s[22:23], s[4:5], 1
	s_add_u32 s5, s20, s22
	v_lshlrev_b64 v[5:6], 1, v[5:6]
	s_addc_u32 s7, s21, s23
	v_mov_b32_e32 v8, s7
	v_add_co_u32_e32 v5, vcc, s5, v5
	v_addc_co_u32_e32 v6, vcc, v8, v6, vcc
	global_load_ushort v5, v[5:6], off
	s_and_b64 vcc, exec, s[0:1]
	s_waitcnt vmcnt(0)
	ds_write_b16 v7, v5 offset:512
	;; [unrolled: 21-line block ×4, first 2 shown]
	s_cbranch_vccnz .LBB36_13
; %bb.12:
	global_load_dword v1, v[3:4], off
	s_waitcnt vmcnt(0)
	v_ashrrev_i32_e32 v2, 31, v1
.LBB36_13:
	s_add_i32 s0, s4, s17
	s_ashr_i32 s1, s0, 31
	s_lshl_b64 s[0:1], s[0:1], 1
	s_add_u32 s0, s20, s0
	v_lshlrev_b64 v[1:2], 1, v[1:2]
	s_addc_u32 s1, s21, s1
	v_mov_b32_e32 v3, s1
	v_add_co_u32_e32 v1, vcc, s0, v1
	v_addc_co_u32_e32 v2, vcc, v3, v2, vcc
	global_load_ushort v1, v[1:2], off
	s_waitcnt vmcnt(0)
	ds_write_b16 v7, v1 offset:1280
.LBB36_14:
	s_or_b64 exec, exec, s[2:3]
	v_lshlrev_b32_e32 v0, 2, v0
	v_lshl_add_u32 v2, s6, 9, v0
	v_mov_b32_e32 v1, v2
	buffer_store_dword v1, off, s[40:43], 0 offset:228 ; 4-byte Folded Spill
	s_nop 0
	buffer_store_dword v2, off, s[40:43], 0 offset:232 ; 4-byte Folded Spill
	v_cmp_gt_i32_e32 vcc, s16, v2
	s_and_saveexec_b64 s[0:1], vcc
	s_cbranch_execz .LBB36_76
; %bb.15:
	s_abs_i32 s0, s18
	v_cvt_f32_u32_e32 v1, s0
	s_sub_i32 s3, 0, s0
	s_abs_i32 s2, s17
	s_xor_b32 s1, s17, s18
	v_rcp_iflag_f32_e32 v1, v1
	s_ashr_i32 s1, s1, 31
	v_and_b32_e32 v0, 28, v0
	v_cmp_lt_u32_e32 vcc, 4, v0
	v_mul_f32_e32 v1, 0x4f7ffffe, v1
	v_cvt_u32_f32_e32 v1, v1
	s_waitcnt vmcnt(0) lgkmcnt(0)
	s_barrier
	v_readfirstlane_b32 s4, v1
	s_mul_i32 s3, s3, s4
	s_mul_hi_u32 s3, s4, s3
	s_add_i32 s4, s4, s3
	s_mul_hi_u32 s3, s2, s4
	s_mul_i32 s4, s3, s0
	s_sub_i32 s2, s2, s4
	s_add_i32 s5, s3, 1
	s_sub_i32 s4, s2, s0
	s_cmp_ge_u32 s2, s0
	s_cselect_b32 s3, s5, s3
	s_cselect_b32 s2, s4, s2
	s_add_i32 s4, s3, 1
	s_cmp_ge_u32 s2, s0
	s_cselect_b32 s0, s4, s3
	s_xor_b32 s0, s0, s1
	s_sub_i32 s27, s0, s1
	v_cvt_f32_u32_e32 v1, s27
	s_sub_i32 s0, 0, s27
                                        ; implicit-def: $vgpr3
	v_rcp_iflag_f32_e32 v1, v1
	v_mul_f32_e32 v1, 0x4f7ffffe, v1
	v_cvt_u32_f32_e32 v1, v1
	v_readfirstlane_b32 s1, v1
	s_mul_i32 s0, s0, s1
	s_mul_hi_u32 s0, s1, s0
	s_add_i32 s1, s1, s0
	s_mul_hi_u32 s0, s25, s1
	s_mul_i32 s1, s0, s27
	s_sub_i32 s1, s25, s1
	s_add_i32 s2, s0, 1
	s_sub_i32 s3, s1, s27
	s_cmp_ge_u32 s1, s27
	s_cselect_b32 s0, s2, s0
	s_cselect_b32 s1, s3, s1
	s_add_i32 s2, s0, 1
	s_cmp_ge_u32 s1, s27
	s_cselect_b32 s28, s2, s0
                                        ; implicit-def: $vgpr1
	s_and_saveexec_b64 s[0:1], vcc
	s_xor_b64 s[2:3], exec, s[0:1]
	s_cbranch_execz .LBB36_29
; %bb.16:
	v_cmp_ne_u32_e64 s[0:1], 8, v0
                                        ; implicit-def: $vgpr3
                                        ; implicit-def: $vgpr1
	s_and_saveexec_b64 s[4:5], s[0:1]
	s_xor_b64 s[4:5], exec, s[4:5]
	s_cbranch_execz .LBB36_26
; %bb.17:
	v_cmp_lt_u32_e64 s[0:1], 16, v0
                                        ; implicit-def: $vgpr3
                                        ; implicit-def: $vgpr1
	s_and_saveexec_b64 s[6:7], s[0:1]
	s_xor_b64 s[6:7], exec, s[6:7]
	s_cbranch_execz .LBB36_23
; %bb.18:
	buffer_load_dword v1, off, s[40:43], 0 offset:228 ; 4-byte Folded Reload
	buffer_load_dword v2, off, s[40:43], 0 offset:232 ; 4-byte Folded Reload
	s_mul_i32 s17, s28, s16
	s_ashr_i32 s0, s17, 31
	s_lshr_b32 s0, s0, 27
	s_add_i32 s0, s17, s0
	s_ashr_i32 s0, s0, 5
	v_mov_b32_e32 v3, s11
	s_waitcnt vmcnt(1)
	v_lshl_add_u32 v1, v1, 1, v1
	s_waitcnt vmcnt(0)
	v_ashrrev_i32_e32 v2, 31, v1
	v_lshrrev_b32_e32 v2, 27, v2
	v_add_u32_e32 v1, v1, v2
	v_ashrrev_i32_e32 v1, 5, v1
	v_mad_u64_u32 v[1:2], s[0:1], s0, 3, v[1:2]
	v_ashrrev_i32_e32 v2, 31, v1
	v_lshlrev_b64 v[1:2], 2, v[1:2]
	v_add_co_u32_e64 v1, s[0:1], s10, v1
	v_addc_co_u32_e64 v2, s[0:1], v3, v2, s[0:1]
	global_load_dword v4, v[1:2], off
	v_cmp_ne_u32_e64 s[0:1], 20, v0
                                        ; implicit-def: $vgpr3
	s_and_saveexec_b64 s[20:21], s[0:1]
	s_xor_b64 s[0:1], exec, s[20:21]
	s_cbranch_execz .LBB36_20
; %bb.19:
	v_not_b32_e32 v1, 63
	v_mad_u32_u24 v1, v0, 3, v1
	s_waitcnt vmcnt(0)
	v_lshrrev_b32_e32 v3, v1, v4
                                        ; implicit-def: $vgpr1_vgpr2
                                        ; implicit-def: $vgpr4
.LBB36_20:
	s_andn2_saveexec_b64 s[0:1], s[0:1]
	s_cbranch_execz .LBB36_22
; %bb.21:
	global_load_dword v1, v[1:2], off offset:4
	s_waitcnt vmcnt(0)
	v_alignbit_b32 v1, v1, v4, 28
	v_and_b32_e32 v3, 0xfff, v1
.LBB36_22:
	s_or_b64 exec, exec, s[0:1]
	v_mov_b32_e32 v1, s17
.LBB36_23:
	s_andn2_saveexec_b64 s[6:7], s[6:7]
	s_cbranch_execz .LBB36_25
; %bb.24:
	buffer_load_dword v1, off, s[40:43], 0 offset:228 ; 4-byte Folded Reload
	buffer_load_dword v2, off, s[40:43], 0 offset:232 ; 4-byte Folded Reload
	s_mul_i32 s17, s28, s16
	s_ashr_i32 s0, s17, 31
	s_lshr_b32 s0, s0, 27
	s_add_i32 s0, s17, s0
	s_ashr_i32 s0, s0, 5
	v_mov_b32_e32 v3, s11
	s_waitcnt vmcnt(1)
	v_lshl_add_u32 v1, v1, 1, v1
	s_waitcnt vmcnt(0)
	v_ashrrev_i32_e32 v2, 31, v1
	v_lshrrev_b32_e32 v2, 27, v2
	v_add_u32_e32 v1, v1, v2
	v_ashrrev_i32_e32 v1, 5, v1
	v_mad_u64_u32 v[1:2], s[0:1], s0, 3, v[1:2]
	v_ashrrev_i32_e32 v2, 31, v1
	v_lshlrev_b64 v[1:2], 2, v[1:2]
	v_add_co_u32_e64 v1, s[0:1], s10, v1
	v_addc_co_u32_e64 v2, s[0:1], v3, v2, s[0:1]
	global_load_dword v1, v[1:2], off
	v_not_b32_e32 v2, 31
	v_mad_u32_u24 v2, v0, 3, v2
	s_waitcnt vmcnt(0)
	v_lshrrev_b32_e32 v3, v2, v1
	v_mov_b32_e32 v1, s17
.LBB36_25:
	s_or_b64 exec, exec, s[6:7]
.LBB36_26:
	s_andn2_saveexec_b64 s[4:5], s[4:5]
	s_cbranch_execz .LBB36_28
; %bb.27:
	buffer_load_dword v1, off, s[40:43], 0 offset:228 ; 4-byte Folded Reload
	buffer_load_dword v2, off, s[40:43], 0 offset:232 ; 4-byte Folded Reload
	s_mul_i32 s6, s28, s16
	s_ashr_i32 s0, s6, 31
	s_lshr_b32 s0, s0, 27
	s_add_i32 s0, s6, s0
	s_ashr_i32 s0, s0, 5
	v_mov_b32_e32 v3, s11
	s_waitcnt vmcnt(1)
	v_lshl_add_u32 v1, v1, 1, v1
	s_waitcnt vmcnt(0)
	v_ashrrev_i32_e32 v2, 31, v1
	v_lshrrev_b32_e32 v2, 27, v2
	v_add_u32_e32 v1, v1, v2
	v_ashrrev_i32_e32 v1, 5, v1
	v_mad_u64_u32 v[1:2], s[0:1], s0, 3, v[1:2]
	v_ashrrev_i32_e32 v2, 31, v1
	v_lshlrev_b64 v[1:2], 2, v[1:2]
	v_add_co_u32_e64 v1, s[0:1], s10, v1
	v_addc_co_u32_e64 v2, s[0:1], v3, v2, s[0:1]
	global_load_dwordx2 v[1:2], v[1:2], off
	s_mov_b32 s0, 0x2010007
	s_waitcnt vmcnt(0)
	v_perm_b32 v1, v1, v2, s0
	v_and_b32_e32 v3, 0xfff, v1
	v_mov_b32_e32 v1, s6
.LBB36_28:
	s_or_b64 exec, exec, s[4:5]
.LBB36_29:
	s_or_saveexec_b64 s[2:3], s[2:3]
	buffer_load_dword v4, off, s[40:43], 0 offset:228 ; 4-byte Folded Reload
	buffer_load_dword v5, off, s[40:43], 0 offset:232 ; 4-byte Folded Reload
	s_waitcnt vmcnt(0)
	v_mul_u32_u24_e32 v5, 3, v0
	buffer_store_dword v5, off, s[40:43], 0 offset:244 ; 4-byte Folded Spill
	v_lshl_add_u32 v2, v4, 1, v4
	v_ashrrev_i32_e32 v4, 31, v2
	s_xor_b64 exec, exec, s[2:3]
	s_cbranch_execz .LBB36_31
; %bb.30:
	s_mul_i32 s4, s28, s16
	s_ashr_i32 s0, s4, 31
	s_lshr_b32 s0, s0, 27
	v_lshrrev_b32_e32 v1, 27, v4
	s_add_i32 s0, s4, s0
	v_add_u32_e32 v1, v2, v1
	s_ashr_i32 s0, s0, 5
	v_ashrrev_i32_e32 v1, 5, v1
	v_mad_u64_u32 v[5:6], s[0:1], s0, 3, v[1:2]
	v_mov_b32_e32 v1, s11
	v_mul_u32_u24_e32 v3, 3, v0
	v_ashrrev_i32_e32 v6, 31, v5
	v_lshlrev_b64 v[5:6], 2, v[5:6]
	v_add_co_u32_e64 v5, s[0:1], s10, v5
	v_addc_co_u32_e64 v6, s[0:1], v1, v6, s[0:1]
	global_load_dword v1, v[5:6], off
	s_waitcnt vmcnt(0)
	v_lshrrev_b32_e32 v3, v3, v1
	v_mov_b32_e32 v1, s4
.LBB36_31:
	s_or_b64 exec, exec, s[2:3]
	s_mov_b32 s29, 0
	v_mov_b32_e32 v24, 0
	s_cmp_ge_i32 s25, s26
	v_mov_b32_e32 v12, 0
	v_mov_b32_e32 v23, 0
	v_mov_b32_e32 v11, 0
	v_mov_b32_e32 v22, 0
	v_mov_b32_e32 v10, 0
	v_mov_b32_e32 v21, 0
	v_mov_b32_e32 v9, 0
	v_mov_b32_e32 v19, 0
	v_mov_b32_e32 v8, 0
	v_mov_b32_e32 v18, 0
	v_mov_b32_e32 v7, 0
	s_cbranch_scc1 .LBB36_52
; %bb.32:
	buffer_load_dword v5, off, s[40:43], 0 offset:228 ; 4-byte Folded Reload
	buffer_load_dword v6, off, s[40:43], 0 offset:232 ; 4-byte Folded Reload
	s_add_i32 s30, s27, s25
	v_cmp_lt_u32_e64 s[2:3], 16, v0
	v_cmp_ne_u32_e64 s[4:5], 20, v0
	s_mul_hi_i32 s31, s16, 12
	s_mul_i32 s33, s16, 12
	s_mov_b32 s34, 0x10001
	s_mov_b32 s35, 0x64006400
	s_movk_i32 s36, 0x3000
	s_movk_i32 s37, 0x2400
	s_mov_b32 s38, 0x7060302
	v_mov_b32_e32 v18, 0
	v_mov_b32_e32 v19, 0
	;; [unrolled: 1-line block ×10, first 2 shown]
	s_waitcnt vmcnt(1)
	v_mov_b32_e32 v7, v5
	v_add_u32_e32 v5, v1, v7
	s_waitcnt vmcnt(0)
	v_ashrrev_i32_e32 v6, 31, v5
	v_lshlrev_b64 v[5:6], 1, v[5:6]
	v_mov_b32_e32 v1, s13
	v_add_co_u32_e64 v5, s[0:1], s12, v5
	v_addc_co_u32_e64 v6, s[0:1], v1, v6, s[0:1]
	global_load_dwordx2 v[5:6], v[5:6], off
	s_lshr_b32 s0, s25, 5
	s_mul_i32 s0, s0, s16
	s_mul_i32 s6, s0, 3
	s_ashr_i32 s7, s6, 31
	s_bitcmp1_b32 s19, 0
	s_cselect_b64 s[0:1], -1, 0
	s_xor_b64 s[0:1], s[0:1], -1
	v_cndmask_b32_e64 v1, 0, 1, s[0:1]
	v_cmp_ne_u32_e64 s[0:1], 8, v0
	v_ashrrev_i32_e32 v8, 31, v7
	s_ashr_i32 s17, s16, 31
	s_lshl_b64 s[6:7], s[6:7], 2
	s_add_u32 s6, s8, s6
	s_addc_u32 s7, s9, s7
	s_lshl_b64 s[8:9], s[16:17], 2
	s_mov_b32 s17, 0x2010007
	s_waitcnt vmcnt(0)
	buffer_store_dword v5, off, s[40:43], 0 offset:200 ; 4-byte Folded Spill
	s_nop 0
	buffer_store_dword v6, off, s[40:43], 0 offset:204 ; 4-byte Folded Spill
	buffer_store_dword v1, off, s[40:43], 0 offset:224 ; 4-byte Folded Spill
	v_bfe_u32 v1, v3, 9, 3
	buffer_store_dword v1, off, s[40:43], 0 offset:208 ; 4-byte Folded Spill
	v_bfe_u32 v1, v3, 6, 3
	;; [unrolled: 2-line block ×3, first 2 shown]
	buffer_store_dword v1, off, s[40:43], 0 offset:216 ; 4-byte Folded Spill
	v_and_b32_e32 v1, 7, v3
	buffer_store_dword v1, off, s[40:43], 0 offset:220 ; 4-byte Folded Spill
	v_lshrrev_b32_e32 v1, 27, v4
	v_add_u32_e32 v1, v2, v1
	v_ashrrev_i32_e32 v1, 5, v1
	buffer_store_dword v1, off, s[40:43], 0 offset:236 ; 4-byte Folded Spill
	s_nop 0
	buffer_store_dword v2, off, s[40:43], 0 offset:240 ; 4-byte Folded Spill
	v_not_b32_e32 v1, 63
	v_mad_u32_u24 v1, v0, 3, v1
	buffer_store_dword v1, off, s[40:43], 0 offset:252 ; 4-byte Folded Spill
	v_not_b32_e32 v1, 31
	v_mad_u32_u24 v0, v0, 3, v1
	buffer_store_dword v0, off, s[40:43], 0 offset:248 ; 4-byte Folded Spill
	v_mov_b32_e32 v0, v7
	buffer_store_dword v0, off, s[40:43], 0 offset:228 ; 4-byte Folded Spill
	s_nop 0
	buffer_store_dword v1, off, s[40:43], 0 offset:232 ; 4-byte Folded Spill
	v_lshlrev_b64 v[0:1], 2, v[7:8]
	v_mov_b32_e32 v2, s7
	v_add_co_u32_e64 v13, s[6:7], s6, v0
	v_addc_co_u32_e64 v14, s[6:7], v2, v1, s[6:7]
	v_mov_b32_e32 v7, 0
	v_mov_b32_e32 v8, 0
	s_branch .LBB36_35
.LBB36_33:                              ;   in Loop: Header=BB36_35 Depth=1
	s_or_b64 exec, exec, s[6:7]
	buffer_load_dword v1, off, s[40:43], 0 offset:228 ; 4-byte Folded Reload
	buffer_load_dword v2, off, s[40:43], 0 offset:232 ; 4-byte Folded Reload
	v_mov_b32_e32 v3, s13
	s_add_i32 s30, s30, s27
	s_waitcnt vmcnt(1)
	v_add_u32_e32 v1, s39, v1
	s_waitcnt vmcnt(0)
	v_ashrrev_i32_e32 v2, 31, v1
	v_lshlrev_b64 v[1:2], 1, v[1:2]
	v_add_co_u32_e64 v1, s[6:7], s12, v1
	v_addc_co_u32_e64 v2, s[6:7], v3, v2, s[6:7]
	global_load_dwordx2 v[1:2], v[1:2], off
	s_waitcnt vmcnt(0)
	buffer_store_dword v1, off, s[40:43], 0 offset:200 ; 4-byte Folded Spill
	s_nop 0
	buffer_store_dword v2, off, s[40:43], 0 offset:204 ; 4-byte Folded Spill
	v_and_b32_e32 v1, 7, v0
	buffer_store_dword v1, off, s[40:43], 0 offset:220 ; 4-byte Folded Spill
	v_bfe_u32 v1, v0, 3, 3
	buffer_store_dword v1, off, s[40:43], 0 offset:216 ; 4-byte Folded Spill
	v_bfe_u32 v1, v0, 6, 3
	v_bfe_u32 v0, v0, 9, 3
	buffer_store_dword v1, off, s[40:43], 0 offset:212 ; 4-byte Folded Spill
	buffer_store_dword v0, off, s[40:43], 0 offset:208 ; 4-byte Folded Spill
.LBB36_34:                              ;   in Loop: Header=BB36_35 Depth=1
	buffer_store_dword v24, off, s[40:43], 0 offset:44 ; 4-byte Folded Spill
	buffer_store_dword v12, off, s[40:43], 0 offset:40 ; 4-byte Folded Spill
	buffer_store_dword v23, off, s[40:43], 0 offset:36 ; 4-byte Folded Spill
	buffer_store_dword v11, off, s[40:43], 0 offset:32 ; 4-byte Folded Spill
	buffer_store_dword v22, off, s[40:43], 0 offset:28 ; 4-byte Folded Spill
	buffer_store_dword v10, off, s[40:43], 0 offset:24 ; 4-byte Folded Spill
	buffer_store_dword v21, off, s[40:43], 0 offset:20 ; 4-byte Folded Spill
	buffer_store_dword v9, off, s[40:43], 0 offset:16 ; 4-byte Folded Spill
	buffer_store_dword v19, off, s[40:43], 0 offset:12 ; 4-byte Folded Spill
	buffer_store_dword v8, off, s[40:43], 0 offset:8 ; 4-byte Folded Spill
	buffer_store_dword v18, off, s[40:43], 0 offset:4 ; 4-byte Folded Spill
	buffer_store_dword v7, off, s[40:43], 0 ; 4-byte Folded Spill
	global_load_dwordx4 v[16:19], v[13:14], off
	v_add_co_u32_e64 v0, s[6:7], s8, v13
	v_mov_b32_e32 v2, s9
	v_addc_co_u32_e64 v1, s[6:7], v14, v2, s[6:7]
	global_load_dwordx4 v[20:23], v[0:1], off
	v_add_co_u32_e64 v7, s[6:7], s8, v0
	v_addc_co_u32_e64 v8, s[6:7], v1, v2, s[6:7]
	v_mov_b32_e32 v9, 0xe400e400
	s_add_i32 s6, s29, 0x400
	s_add_i32 s25, s25, 32
	s_waitcnt vmcnt(1)
	v_lshrrev_b32_e32 v2, 15, v16
	buffer_store_dword v2, off, s[40:43], 0 offset:68 ; 4-byte Folded Spill
	v_lshrrev_b32_e32 v2, 15, v17
	buffer_store_dword v2, off, s[40:43], 0 offset:64 ; 4-byte Folded Spill
	;; [unrolled: 2-line block ×3, first 2 shown]
	buffer_store_dword v13, off, s[40:43], 0 offset:48 ; 4-byte Folded Spill
	s_nop 0
	buffer_store_dword v14, off, s[40:43], 0 offset:52 ; 4-byte Folded Spill
	global_load_dwordx4 v[5:8], v[7:8], off
	v_lshrrev_b32_e32 v2, 15, v19
	buffer_store_dword v2, off, s[40:43], 0 offset:56 ; 4-byte Folded Spill
	s_waitcnt vmcnt(7)
	v_lshrrev_b32_e32 v2, 14, v20
	buffer_store_dword v2, off, s[40:43], 0 offset:84 ; 4-byte Folded Spill
	v_and_b32_e32 v2, 0x380038, v21
	buffer_store_dword v2, off, s[40:43], 0 offset:100 ; 4-byte Folded Spill
	v_lshrrev_b32_e32 v2, 14, v21
	buffer_store_dword v2, off, s[40:43], 0 offset:80 ; 4-byte Folded Spill
	v_and_b32_e32 v2, 0x380038, v22
	buffer_store_dword v2, off, s[40:43], 0 offset:96 ; 4-byte Folded Spill
	;; [unrolled: 4-line block ×3, first 2 shown]
	v_lshrrev_b32_e32 v2, 6, v23
	buffer_store_dword v2, off, s[40:43], 0 offset:92 ; 4-byte Folded Spill
	v_lshrrev_b32_e32 v2, 14, v23
	buffer_store_dword v2, off, s[40:43], 0 offset:72 ; 4-byte Folded Spill
	v_and_b32_e32 v63, 0x70007, v20
	v_and_b32_e32 v44, 0x380038, v20
	v_lshrrev_b32_e32 v40, 6, v20
	v_and_b32_e32 v13, 0x70007, v19
	v_and_b32_e32 v14, 0x380038, v19
	v_lshrrev_b32_e32 v30, 6, v19
	;; [unrolled: 3-line block ×3, first 2 shown]
	v_and_b32_e32 v0, 0x70007, v16
	v_and_b32_e32 v1, 0x380038, v16
	;; [unrolled: 1-line block ×4, first 2 shown]
	v_or_b32_e32 v0, 0x64006400, v0
	v_or_b32_e32 v1, 0x64006400, v1
	v_lshrrev_b32_e32 v57, 6, v16
	v_lshrrev_b32_e32 v16, 6, v17
	v_and_b32_e32 v62, 0x70007, v21
	v_lshrrev_b32_e32 v45, 6, v21
	v_and_b32_e32 v46, 0x70007, v22
	;; [unrolled: 2-line block ×3, first 2 shown]
	s_waitcnt vmcnt(9)
	v_and_b32_e32 v2, 0x70007, v5
	buffer_store_dword v2, off, s[40:43], 0 offset:132 ; 4-byte Folded Spill
	v_and_b32_e32 v2, 0x380038, v5
	buffer_store_dword v2, off, s[40:43], 0 offset:136 ; 4-byte Folded Spill
	v_lshrrev_b32_e32 v2, 13, v5
	buffer_store_dword v2, off, s[40:43], 0 offset:112 ; 4-byte Folded Spill
	v_and_b32_e32 v2, 0x70007, v6
	buffer_store_dword v2, off, s[40:43], 0 offset:140 ; 4-byte Folded Spill
	v_and_b32_e32 v2, 0x380038, v6
	buffer_store_dword v2, off, s[40:43], 0 offset:144 ; 4-byte Folded Spill
	v_lshrrev_b32_e32 v2, 6, v6
	buffer_store_dword v2, off, s[40:43], 0 offset:120 ; 4-byte Folded Spill
	v_lshrrev_b32_e32 v2, 13, v6
	buffer_store_dword v2, off, s[40:43], 0 offset:108 ; 4-byte Folded Spill
	v_and_b32_e32 v2, 0x70007, v7
	buffer_store_dword v2, off, s[40:43], 0 offset:148 ; 4-byte Folded Spill
	v_and_b32_e32 v2, 0x380038, v7
	buffer_store_dword v2, off, s[40:43], 0 offset:152 ; 4-byte Folded Spill
	v_lshrrev_b32_e32 v2, 6, v7
	;; [unrolled: 8-line block ×3, first 2 shown]
	buffer_store_dword v2, off, s[40:43], 0 offset:128 ; 4-byte Folded Spill
	v_lshrrev_b32_e32 v2, 13, v8
	buffer_store_dword v2, off, s[40:43], 0 offset:116 ; 4-byte Folded Spill
	buffer_load_dword v8, off, s[40:43], 0 offset:224 ; 4-byte Folded Reload
	s_nop 0
	buffer_load_dword v2, off, s[40:43], 0 offset:220 ; 4-byte Folded Reload
	v_lshrrev_b32_e32 v48, 6, v5
	s_waitcnt vmcnt(0)
	v_add_u32_e32 v2, v2, v8
	v_cvt_f32_u32_e32 v5, v2
	v_mad_u32_u24 v59, v2, s34, v9
	buffer_load_dword v2, off, s[40:43], 0 offset:216 ; 4-byte Folded Reload
	v_cvt_f16_f32_e32 v20, v5
	v_sub_f16_e32 v5, 0xd800, v20
	v_mul_u32_u24_e32 v10, 0x10001, v5
	s_waitcnt vmcnt(0)
	v_add_u32_e32 v2, v2, v8
	v_cvt_f32_u32_e32 v6, v2
	v_mad_u32_u24 v58, v2, s34, v9
	buffer_load_dword v2, off, s[40:43], 0 offset:212 ; 4-byte Folded Reload
	v_cvt_f16_f32_e32 v19, v6
	v_pk_add_f16 v6, v59, v0
	v_or_b32_e32 v0, 0x64006400, v3
	v_pk_add_f16 v3, v58, v0
	v_sub_f16_e32 v5, 0xd800, v19
	v_mul_u32_u24_e32 v35, 0x10001, v5
	v_or_b32_e32 v0, 0x64006400, v11
	s_waitcnt vmcnt(0)
	v_add_u32_e32 v2, v2, v8
	v_cvt_f32_u32_e32 v7, v2
	v_mad_u32_u24 v53, v2, s34, v9
	buffer_load_dword v2, off, s[40:43], 0 offset:208 ; 4-byte Folded Reload
	v_pk_add_f16 v17, v53, v0
	v_cvt_f16_f32_e32 v18, v7
	v_or_b32_e32 v0, 0x64006400, v13
	v_mov_b32_e32 v7, s29
	v_sub_f16_e32 v5, 0xd800, v18
	v_mul_u32_u24_e32 v36, 0x10001, v5
	s_waitcnt vmcnt(0)
	v_add_u32_e32 v2, v2, v8
	v_cvt_f32_u32_e32 v8, v2
	v_mad_u32_u24 v52, v2, s34, v9
	v_pk_add_f16 v28, v52, v0
	v_cvt_f16_f32_e32 v2, v8
	v_pk_fma_f16 v8, v1, s36, v10 op_sel_hi:[1,0,1]
	v_or_b32_e32 v1, 0x64006400, v4
	v_pk_fma_f16 v4, v1, s36, v35 op_sel_hi:[1,0,1]
	v_sub_f16_e32 v5, 0xd800, v2
	v_or_b32_e32 v1, 0x64006400, v12
	v_mul_u32_u24_e32 v39, 0x10001, v5
	v_pk_fma_f16 v26, v1, s36, v36 op_sel_hi:[1,0,1]
	v_or_b32_e32 v1, 0x64006400, v14
	v_pk_fma_f16 v34, v1, s36, v39 op_sel_hi:[1,0,1]
	ds_read2_b32 v[0:1], v7 offset1:1
	ds_read2_b32 v[11:12], v7 offset0:64 offset1:65
	s_waitcnt lgkmcnt(1)
	v_pk_fma_f16 v5, v6, v0, 0
	v_pk_fma_f16 v21, v8, v1, v5
	;; [unrolled: 1-line block ×7, first 2 shown]
	s_waitcnt lgkmcnt(0)
	v_pk_fma_f16 v0, v6, v11, 0
	v_pk_fma_f16 v25, v8, v12, v0
	;; [unrolled: 1-line block ×8, first 2 shown]
	ds_read2_b32 v[11:12], v7 offset0:128 offset1:129
	v_pk_fma_f16 v23, v26, v1, v5
	v_and_b32_e32 v1, 0x380038, v57
	v_or_b32_e32 v1, 0x64006400, v1
	v_pk_fma_f16 v54, v1, s36, v10 op_sel_hi:[1,0,1]
	s_waitcnt lgkmcnt(0)
	v_pk_fma_f16 v0, v6, v11, 0
	v_pk_fma_f16 v47, v8, v12, v0
	;; [unrolled: 1-line block ×8, first 2 shown]
	ds_read2_b32 v[11:12], v7 offset0:192 offset1:193
	v_and_b32_e32 v1, 0x380038, v16
	v_or_b32_e32 v1, 0x64006400, v1
	v_pk_fma_f16 v56, v1, s36, v35 op_sel_hi:[1,0,1]
	v_and_b32_e32 v1, 0x380038, v15
	s_waitcnt lgkmcnt(0)
	v_pk_fma_f16 v0, v6, v11, 0
	v_pk_fma_f16 v31, v8, v12, v0
	;; [unrolled: 1-line block ×8, first 2 shown]
	v_mov_b32_e32 v0, s6
	ds_read2_b32 v[13:14], v0 offset1:1
	s_add_i32 s6, s29, 0x500
	v_or_b32_e32 v1, 0x64006400, v1
	v_pk_fma_f16 v41, v1, s36, v36 op_sel_hi:[1,0,1]
	v_and_b32_e32 v1, 0x380038, v30
	s_waitcnt lgkmcnt(0)
	v_pk_fma_f16 v0, v6, v13, 0
	v_pk_fma_f16 v11, v8, v14, v0
	;; [unrolled: 1-line block ×8, first 2 shown]
	v_mov_b32_e32 v0, s6
	ds_read2_b32 v[13:14], v0 offset1:1
	v_or_b32_e32 v1, 0x64006400, v1
	s_add_i32 s6, s29, 0x408
	s_waitcnt lgkmcnt(0)
	v_pk_fma_f16 v0, v6, v13, 0
	v_pk_fma_f16 v38, v8, v14, v0
	;; [unrolled: 1-line block ×8, first 2 shown]
	v_and_b32_e32 v0, 0x70007, v57
	v_or_b32_e32 v0, 0x64006400, v0
	v_pk_add_f16 v34, v59, v0
	v_and_b32_e32 v0, 0x70007, v16
	v_or_b32_e32 v0, 0x64006400, v0
	v_pk_add_f16 v55, v58, v0
	;; [unrolled: 3-line block ×4, first 2 shown]
	v_pk_fma_f16 v13, v1, s36, v39 op_sel_hi:[1,0,1]
	ds_read2_b32 v[0:1], v7 offset0:2 offset1:3
	s_waitcnt lgkmcnt(0)
	v_pk_fma_f16 v4, v34, v0, v21
	v_pk_fma_f16 v8, v54, v1, v4
	v_pk_fma_f16 v4, v55, v0, v22
	v_pk_fma_f16 v21, v56, v1, v4
	v_pk_fma_f16 v4, v3, v0, v23
	v_pk_fma_f16 v0, v28, v0, v24
	v_pk_fma_f16 v22, v41, v1, v4
	v_pk_fma_f16 v23, v13, v1, v0
	ds_read2_b32 v[0:1], v7 offset0:66 offset1:67
	s_waitcnt lgkmcnt(0)
	v_pk_fma_f16 v4, v34, v0, v25
	v_pk_fma_f16 v24, v54, v1, v4
	v_pk_fma_f16 v4, v55, v0, v27
	v_pk_fma_f16 v25, v56, v1, v4
	v_pk_fma_f16 v4, v3, v0, v60
	v_pk_fma_f16 v0, v28, v0, v29
	v_pk_fma_f16 v27, v41, v1, v4
	v_pk_fma_f16 v14, v13, v1, v0
	;; [unrolled: 10-line block ×3, first 2 shown]
	ds_read2_b32 v[0:1], v7 offset0:194 offset1:195
	s_waitcnt lgkmcnt(0)
	v_pk_fma_f16 v4, v34, v0, v31
	v_pk_fma_f16 v31, v54, v1, v4
	;; [unrolled: 1-line block ×7, first 2 shown]
	v_mov_b32_e32 v0, s6
	v_pk_fma_f16 v33, v41, v1, v4
	ds_read2_b32 v[0:1], v0 offset1:1
	s_add_i32 s6, s29, 0x508
	s_waitcnt lgkmcnt(0)
	v_pk_fma_f16 v4, v34, v0, v11
	v_pk_fma_f16 v11, v54, v1, v4
	;; [unrolled: 1-line block ×7, first 2 shown]
	v_mov_b32_e32 v0, s6
	v_pk_fma_f16 v4, v41, v1, v4
	ds_read2_b32 v[0:1], v0 offset1:1
	s_add_i32 s6, s29, 0x410
	s_waitcnt lgkmcnt(0)
	v_pk_fma_f16 v29, v34, v0, v38
	v_pk_fma_f16 v6, v55, v0, v6
	;; [unrolled: 1-line block ×6, first 2 shown]
	v_sub_f16_e32 v0, 0xcc00, v20
	v_pk_fma_f16 v38, v54, v1, v29
	v_mul_u32_u24_e32 v29, 0x10001, v0
	v_sub_f16_e32 v0, 0xcc00, v19
	v_mul_u32_u24_e32 v28, 0x10001, v0
	v_sub_f16_e32 v0, 0xcc00, v18
	;; [unrolled: 2-line block ×3, first 2 shown]
	v_mul_u32_u24_e32 v9, 0x10001, v0
	v_and_b32_e32 v0, 0x1c001c0, v57
	v_or_b32_e32 v0, 0x64006400, v0
	v_pk_fma_f16 v57, v0, s37, v29 op_sel_hi:[1,0,1]
	v_and_b32_e32 v0, 0x1c001c0, v16
	v_pk_fma_f16 v60, v56, v1, v6
	v_or_b32_e32 v1, 0x64006400, v63
	v_or_b32_e32 v0, 0x64006400, v0
	v_pk_add_f16 v63, v59, v1
	v_or_b32_e32 v1, 0x64006400, v62
	v_pk_fma_f16 v62, v0, s37, v28 op_sel_hi:[1,0,1]
	v_and_b32_e32 v0, 0x1c001c0, v15
	ds_read2_b32 v[15:16], v7 offset0:4 offset1:5
	v_or_b32_e32 v0, 0x64006400, v0
	v_pk_fma_f16 v2, v0, s37, v26 op_sel_hi:[1,0,1]
	v_and_b32_e32 v0, 0x1c001c0, v30
	v_pk_add_f16 v41, v58, v1
	s_waitcnt lgkmcnt(0)
	v_pk_fma_f16 v8, v57, v15, v8
	v_or_b32_e32 v1, 0x64006400, v46
	v_or_b32_e32 v0, 0x64006400, v0
	v_pk_fma_f16 v18, v63, v16, v8
	v_pk_fma_f16 v8, v62, v15, v21
	v_pk_add_f16 v1, v53, v1
	v_or_b32_e32 v13, 0x64006400, v42
	v_pk_fma_f16 v20, v0, s37, v9 op_sel_hi:[1,0,1]
	v_pk_fma_f16 v19, v41, v16, v8
	v_pk_fma_f16 v8, v2, v15, v22
	v_pk_add_f16 v0, v52, v13
	v_pk_fma_f16 v22, v1, v16, v8
	v_pk_fma_f16 v8, v20, v15, v23
	v_pk_fma_f16 v21, v0, v16, v8
	ds_read2_b32 v[15:16], v7 offset0:68 offset1:69
	buffer_load_dword v34, off, s[40:43], 0 offset:128 ; 4-byte Folded Reload
	s_waitcnt lgkmcnt(0)
	v_pk_fma_f16 v8, v57, v15, v24
	v_pk_fma_f16 v50, v63, v16, v8
	;; [unrolled: 1-line block ×7, first 2 shown]
	ds_read2_b32 v[14:15], v7 offset0:132 offset1:133
	v_pk_fma_f16 v8, v0, v16, v8
	s_waitcnt lgkmcnt(0)
	v_pk_fma_f16 v23, v62, v14, v49
	v_pk_fma_f16 v6, v41, v15, v23
	;; [unrolled: 1-line block ×4, first 2 shown]
	ds_read2_b32 v[23:24], v7 offset0:196 offset1:197
	v_pk_fma_f16 v16, v57, v14, v47
	v_pk_fma_f16 v14, v20, v14, v61
	;; [unrolled: 1-line block ×3, first 2 shown]
	buffer_store_dword v6, off, s[40:43], 0 offset:196 ; 4-byte Folded Spill
	s_waitcnt lgkmcnt(0)
	v_pk_fma_f16 v14, v57, v23, v31
	v_pk_fma_f16 v6, v63, v24, v14
	;; [unrolled: 1-line block ×4, first 2 shown]
	buffer_store_dword v6, off, s[40:43], 0 offset:188 ; 4-byte Folded Spill
	v_pk_fma_f16 v6, v41, v24, v14
	v_pk_fma_f16 v14, v2, v23, v33
	;; [unrolled: 1-line block ×3, first 2 shown]
	v_mov_b32_e32 v23, s6
	v_pk_fma_f16 v14, v1, v24, v14
	v_pk_fma_f16 v15, v0, v24, v15
	ds_read2_b32 v[23:24], v23 offset1:1
	buffer_store_dword v6, off, s[40:43], 0 offset:192 ; 4-byte Folded Spill
	s_add_i32 s6, s29, 0x510
	s_waitcnt lgkmcnt(0)
	v_pk_fma_f16 v11, v57, v23, v11
	v_pk_fma_f16 v6, v63, v24, v11
	;; [unrolled: 1-line block ×4, first 2 shown]
	buffer_store_dword v6, off, s[40:43], 0 offset:180 ; 4-byte Folded Spill
	v_pk_fma_f16 v6, v41, v24, v11
	v_pk_fma_f16 v11, v1, v24, v4
	;; [unrolled: 1-line block ×4, first 2 shown]
	v_mov_b32_e32 v4, s6
	ds_read2_b32 v[4:5], v4 offset1:1
	buffer_store_dword v6, off, s[40:43], 0 offset:184 ; 4-byte Folded Spill
	s_add_i32 s6, s29, 0x418
	s_waitcnt lgkmcnt(0)
	v_pk_fma_f16 v2, v2, v4, v17
	v_pk_fma_f16 v1, v1, v5, v2
	buffer_store_dword v1, off, s[40:43], 0 offset:168 ; 4-byte Folded Spill
	v_pk_fma_f16 v1, v20, v4, v3
	v_pk_fma_f16 v0, v0, v5, v1
	v_pk_fma_f16 v23, v57, v4, v38
	buffer_store_dword v0, off, s[40:43], 0 offset:164 ; 4-byte Folded Spill
	v_or_b32_e32 v0, 0x64006400, v44
	v_pk_fma_f16 v6, v63, v5, v23
	v_pk_fma_f16 v23, v62, v4, v60
	v_pk_fma_f16 v62, v0, s36, v10 op_sel_hi:[1,0,1]
	buffer_load_dword v0, off, s[40:43], 0 offset:100 ; 4-byte Folded Reload
	v_mov_b32_e32 v17, v43
	buffer_store_dword v6, off, s[40:43], 0 offset:176 ; 4-byte Folded Spill
	v_pk_fma_f16 v6, v41, v5, v23
	buffer_store_dword v6, off, s[40:43], 0 offset:172 ; 4-byte Folded Spill
	buffer_load_dword v6, off, s[40:43], 0 offset:92 ; 4-byte Folded Reload
	v_and_b32_e32 v1, 0x70007, v40
	v_or_b32_e32 v1, 0x64006400, v1
	v_pk_add_f16 v63, v59, v1
	v_and_b32_e32 v1, 0x70007, v45
	v_or_b32_e32 v1, 0x64006400, v1
	v_pk_add_f16 v60, v58, v1
	;; [unrolled: 3-line block ×3, first 2 shown]
	s_waitcnt vmcnt(3)
	v_or_b32_e32 v0, 0x64006400, v0
	v_pk_fma_f16 v57, v0, s36, v35 op_sel_hi:[1,0,1]
	buffer_load_dword v0, off, s[40:43], 0 offset:96 ; 4-byte Folded Reload
	s_waitcnt vmcnt(1)
	v_and_b32_e32 v1, 0x70007, v6
	v_or_b32_e32 v1, 0x64006400, v1
	v_pk_add_f16 v42, v52, v1
	s_waitcnt vmcnt(0)
	v_or_b32_e32 v0, 0x64006400, v0
	v_pk_fma_f16 v43, v0, s36, v36 op_sel_hi:[1,0,1]
	buffer_load_dword v0, off, s[40:43], 0 offset:88 ; 4-byte Folded Reload
	s_waitcnt vmcnt(0)
	v_or_b32_e32 v0, 0x64006400, v0
	v_pk_fma_f16 v41, v0, s36, v39 op_sel_hi:[1,0,1]
	ds_read2_b32 v[0:1], v7 offset0:6 offset1:7
	s_waitcnt lgkmcnt(0)
	v_pk_fma_f16 v2, v62, v0, v18
	v_pk_fma_f16 v3, v57, v0, v19
	;; [unrolled: 1-line block ×8, first 2 shown]
	v_and_b32_e32 v1, 0x1c001c0, v40
	v_and_b32_e32 v0, 0x380038, v40
	v_or_b32_e32 v1, 0x64006400, v1
	v_or_b32_e32 v0, 0x64006400, v0
	v_pk_fma_f16 v22, v1, s37, v29 op_sel_hi:[1,0,1]
	v_and_b32_e32 v1, 0x1c001c0, v45
	v_pk_fma_f16 v21, v0, s36, v10 op_sel_hi:[1,0,1]
	v_and_b32_e32 v0, 0x380038, v45
	v_or_b32_e32 v1, 0x64006400, v1
	v_or_b32_e32 v0, 0x64006400, v0
	v_pk_fma_f16 v51, v1, s37, v28 op_sel_hi:[1,0,1]
	v_mov_b32_e32 v1, v17
	v_pk_fma_f16 v49, v0, s36, v35 op_sel_hi:[1,0,1]
	v_and_b32_e32 v0, 0x380038, v1
	v_and_b32_e32 v1, 0x1c001c0, v1
	v_or_b32_e32 v1, 0x64006400, v1
	v_or_b32_e32 v0, 0x64006400, v0
	v_pk_fma_f16 v31, v1, s37, v26 op_sel_hi:[1,0,1]
	v_mov_b32_e32 v1, v6
	v_pk_fma_f16 v40, v0, s36, v36 op_sel_hi:[1,0,1]
	v_and_b32_e32 v0, 0x380038, v1
	v_and_b32_e32 v1, 0x1c001c0, v1
	v_or_b32_e32 v0, 0x64006400, v0
	v_or_b32_e32 v1, 0x64006400, v1
	v_pk_fma_f16 v37, v0, s36, v39 op_sel_hi:[1,0,1]
	v_pk_fma_f16 v38, v1, s37, v9 op_sel_hi:[1,0,1]
	ds_read2_b32 v[0:1], v7 offset0:8 offset1:9
	s_waitcnt lgkmcnt(0)
	v_pk_fma_f16 v2, v21, v0, v2
	v_pk_fma_f16 v3, v49, v0, v3
	;; [unrolled: 1-line block ×8, first 2 shown]
	buffer_load_dword v0, off, s[40:43], 0 offset:132 ; 4-byte Folded Reload
	buffer_load_dword v1, off, s[40:43], 0 offset:136 ; 4-byte Folded Reload
	s_waitcnt vmcnt(1)
	v_or_b32_e32 v0, 0x64006400, v0
	s_waitcnt vmcnt(0)
	v_or_b32_e32 v1, 0x64006400, v1
	v_pk_add_f16 v24, v59, v0
	v_pk_fma_f16 v25, v1, s36, v10 op_sel_hi:[1,0,1]
	buffer_load_dword v0, off, s[40:43], 0 offset:140 ; 4-byte Folded Reload
	buffer_load_dword v1, off, s[40:43], 0 offset:144 ; 4-byte Folded Reload
	s_waitcnt vmcnt(1)
	v_or_b32_e32 v0, 0x64006400, v0
	s_waitcnt vmcnt(0)
	v_or_b32_e32 v1, 0x64006400, v1
	v_pk_add_f16 v18, v58, v0
	v_pk_fma_f16 v30, v1, s36, v35 op_sel_hi:[1,0,1]
	;; [unrolled: 8-line block ×4, first 2 shown]
	ds_read2_b32 v[0:1], v7 offset0:10 offset1:11
	s_waitcnt lgkmcnt(0)
	v_pk_fma_f16 v2, v24, v0, v2
	v_pk_fma_f16 v27, v25, v1, v2
	v_pk_fma_f16 v2, v18, v0, v3
	v_pk_fma_f16 v6, v30, v1, v2
	v_pk_fma_f16 v2, v45, v0, v4
	v_pk_fma_f16 v0, v32, v0, v5
	v_pk_fma_f16 v4, v47, v1, v2
	v_pk_fma_f16 v5, v33, v1, v0
	buffer_load_dword v1, off, s[40:43], 0 offset:120 ; 4-byte Folded Reload
	buffer_load_dword v3, off, s[40:43], 0 offset:124 ; 4-byte Folded Reload
	v_and_b32_e32 v0, 0x380038, v48
	v_or_b32_e32 v0, 0x64006400, v0
	v_pk_fma_f16 v17, v0, s36, v10 op_sel_hi:[1,0,1]
	s_waitcnt vmcnt(1)
	v_and_b32_e32 v0, 0x380038, v1
	v_or_b32_e32 v0, 0x64006400, v0
	v_pk_fma_f16 v23, v0, s36, v35 op_sel_hi:[1,0,1]
	s_waitcnt vmcnt(0)
	v_and_b32_e32 v0, 0x380038, v3
	v_or_b32_e32 v0, 0x64006400, v0
	v_pk_fma_f16 v61, v0, s36, v36 op_sel_hi:[1,0,1]
	v_and_b32_e32 v0, 0x380038, v34
	v_or_b32_e32 v0, 0x64006400, v0
	v_pk_fma_f16 v46, v0, s36, v39 op_sel_hi:[1,0,1]
	v_and_b32_e32 v0, 0x70007, v48
	v_and_b32_e32 v2, 0x70007, v3
	v_or_b32_e32 v0, 0x64006400, v0
	v_or_b32_e32 v2, 0x64006400, v2
	v_pk_add_f16 v10, v59, v0
	v_and_b32_e32 v0, 0x70007, v1
	v_pk_add_f16 v20, v53, v2
	v_and_b32_e32 v2, 0x70007, v34
	v_or_b32_e32 v0, 0x64006400, v0
	v_or_b32_e32 v2, 0x64006400, v2
	v_pk_add_f16 v19, v58, v0
	v_mov_b32_e32 v0, v3
	v_pk_add_f16 v39, v52, v2
	ds_read2_b32 v[2:3], v7 offset0:12 offset1:13
	s_waitcnt lgkmcnt(0)
	v_pk_fma_f16 v27, v10, v2, v27
	v_pk_fma_f16 v6, v19, v2, v6
	v_pk_fma_f16 v4, v20, v2, v4
	v_pk_fma_f16 v2, v39, v2, v5
	v_pk_fma_f16 v36, v46, v3, v2
	buffer_load_dword v2, off, s[40:43], 0 offset:84 ; 4-byte Folded Reload
	v_pk_fma_f16 v27, v17, v3, v27
	v_pk_fma_f16 v6, v23, v3, v6
	;; [unrolled: 1-line block ×3, first 2 shown]
	buffer_load_dword v3, off, s[40:43], 0 offset:68 ; 4-byte Folded Reload
	s_waitcnt vmcnt(1)
	v_and_b32_e32 v2, 0x20002, v2
	s_waitcnt vmcnt(0)
	v_and_or_b32 v2, v3, s34, v2
	buffer_load_dword v3, off, s[40:43], 0 offset:112 ; 4-byte Folded Reload
	s_waitcnt vmcnt(0)
	v_and_b32_e32 v3, 0x40004, v3
	v_or3_b32 v2, v2, v3, s35
	v_and_b32_e32 v3, 0x1c001c0, v48
	v_or_b32_e32 v3, 0x64006400, v3
	v_pk_add_f16 v48, v59, v2
	buffer_load_dword v2, off, s[40:43], 0 offset:80 ; 4-byte Folded Reload
	v_pk_fma_f16 v29, v3, s37, v29 op_sel_hi:[1,0,1]
	buffer_load_dword v3, off, s[40:43], 0 offset:64 ; 4-byte Folded Reload
	s_waitcnt vmcnt(1)
	v_and_b32_e32 v2, 0x20002, v2
	s_waitcnt vmcnt(0)
	v_and_or_b32 v2, v3, s34, v2
	buffer_load_dword v3, off, s[40:43], 0 offset:108 ; 4-byte Folded Reload
	s_waitcnt vmcnt(0)
	v_and_b32_e32 v3, 0x40004, v3
	v_or3_b32 v2, v2, v3, s35
	v_and_b32_e32 v3, 0x1c001c0, v1
	v_or_b32_e32 v3, 0x64006400, v3
	v_pk_fma_f16 v59, v3, s37, v28 op_sel_hi:[1,0,1]
	v_pk_add_f16 v28, v58, v2
	buffer_load_dword v2, off, s[40:43], 0 offset:76 ; 4-byte Folded Reload
	buffer_load_dword v3, off, s[40:43], 0 offset:60 ; 4-byte Folded Reload
	s_waitcnt vmcnt(1)
	v_and_b32_e32 v2, 0x20002, v2
	s_waitcnt vmcnt(0)
	v_and_or_b32 v2, v3, s34, v2
	buffer_load_dword v3, off, s[40:43], 0 offset:104 ; 4-byte Folded Reload
	s_waitcnt vmcnt(0)
	v_and_b32_e32 v3, 0x40004, v3
	v_or3_b32 v2, v2, v3, s35
	v_and_b32_e32 v3, 0x1c001c0, v0
	v_or_b32_e32 v3, 0x64006400, v3
	v_pk_add_f16 v53, v53, v2
	buffer_load_dword v2, off, s[40:43], 0 offset:72 ; 4-byte Folded Reload
	buffer_load_dword v0, off, s[40:43], 0 offset:116 ; 4-byte Folded Reload
	v_pk_fma_f16 v58, v3, s37, v26 op_sel_hi:[1,0,1]
	buffer_load_dword v3, off, s[40:43], 0 offset:56 ; 4-byte Folded Reload
	s_waitcnt vmcnt(2)
	v_and_b32_e32 v2, 0x20002, v2
	s_waitcnt vmcnt(0)
	v_and_or_b32 v2, v3, s34, v2
	v_and_b32_e32 v3, 0x40004, v0
	v_or3_b32 v2, v2, v3, s35
	v_and_b32_e32 v3, 0x1c001c0, v34
	v_or_b32_e32 v3, 0x64006400, v3
	v_pk_fma_f16 v4, v3, s37, v9 op_sel_hi:[1,0,1]
	v_pk_add_f16 v26, v52, v2
	ds_read2_b32 v[2:3], v7 offset0:14 offset1:15
	s_waitcnt lgkmcnt(0)
	v_pk_fma_f16 v5, v29, v2, v27
	v_pk_fma_f16 v27, v48, v3, v5
	;; [unrolled: 1-line block ×7, first 2 shown]
	buffer_store_dword v0, off, s[40:43], 0 offset:56 ; 4-byte Folded Spill
	v_pk_fma_f16 v0, v26, v3, v2
	ds_read2_b32 v[2:3], v7 offset0:70 offset1:71
	buffer_store_dword v0, off, s[40:43], 0 offset:60 ; 4-byte Folded Spill
	s_waitcnt lgkmcnt(0)
	v_pk_fma_f16 v6, v62, v2, v50
	v_pk_fma_f16 v9, v57, v2, v56
	v_pk_fma_f16 v13, v43, v2, v13
	v_pk_fma_f16 v2, v41, v2, v8
	v_pk_fma_f16 v6, v63, v3, v6
	v_pk_fma_f16 v9, v60, v3, v9
	v_pk_fma_f16 v13, v44, v3, v13
	v_pk_fma_f16 v8, v42, v3, v2
	ds_read2_b32 v[2:3], v7 offset0:72 offset1:73
	s_waitcnt lgkmcnt(0)
	v_pk_fma_f16 v6, v21, v2, v6
	v_pk_fma_f16 v9, v49, v2, v9
	v_pk_fma_f16 v13, v40, v2, v13
	v_pk_fma_f16 v2, v37, v2, v8
	v_pk_fma_f16 v6, v22, v3, v6
	v_pk_fma_f16 v9, v51, v3, v9
	v_pk_fma_f16 v13, v31, v3, v13
	v_pk_fma_f16 v8, v38, v3, v2
	ds_read2_b32 v[2:3], v7 offset0:74 offset1:75
	;; [unrolled: 10-line block ×4, first 2 shown]
	s_waitcnt lgkmcnt(0)
	v_pk_fma_f16 v6, v29, v2, v6
	v_pk_fma_f16 v50, v48, v3, v6
	;; [unrolled: 1-line block ×7, first 2 shown]
	buffer_store_dword v0, off, s[40:43], 0 offset:64 ; 4-byte Folded Spill
	v_pk_fma_f16 v0, v26, v3, v2
	buffer_store_dword v0, off, s[40:43], 0 offset:68 ; 4-byte Folded Spill
	buffer_load_dword v0, off, s[40:43], 0 offset:196 ; 4-byte Folded Reload
	ds_read2_b32 v[2:3], v7 offset0:134 offset1:135
	s_waitcnt lgkmcnt(0)
	v_pk_fma_f16 v6, v62, v2, v16
	v_pk_fma_f16 v9, v43, v2, v54
	;; [unrolled: 1-line block ×4, first 2 shown]
	s_waitcnt vmcnt(0)
	v_pk_fma_f16 v8, v57, v2, v0
	v_pk_fma_f16 v2, v41, v2, v55
	v_pk_fma_f16 v8, v60, v3, v8
	v_pk_fma_f16 v13, v42, v3, v2
	ds_read2_b32 v[2:3], v7 offset0:136 offset1:137
	s_waitcnt lgkmcnt(0)
	v_pk_fma_f16 v6, v21, v2, v6
	v_pk_fma_f16 v8, v49, v2, v8
	v_pk_fma_f16 v9, v40, v2, v9
	v_pk_fma_f16 v2, v37, v2, v13
	v_pk_fma_f16 v6, v22, v3, v6
	v_pk_fma_f16 v8, v51, v3, v8
	v_pk_fma_f16 v9, v31, v3, v9
	v_pk_fma_f16 v13, v38, v3, v2
	ds_read2_b32 v[2:3], v7 offset0:138 offset1:139
	s_waitcnt lgkmcnt(0)
	v_pk_fma_f16 v6, v24, v2, v6
	v_pk_fma_f16 v8, v18, v2, v8
	v_pk_fma_f16 v9, v45, v2, v9
	v_pk_fma_f16 v2, v32, v2, v13
	;; [unrolled: 10-line block ×4, first 2 shown]
	v_pk_fma_f16 v6, v58, v2, v9
	v_pk_fma_f16 v0, v53, v3, v6
	;; [unrolled: 1-line block ×3, first 2 shown]
	buffer_store_dword v0, off, s[40:43], 0 offset:72 ; 4-byte Folded Spill
	v_pk_fma_f16 v0, v26, v3, v2
	buffer_store_dword v0, off, s[40:43], 0 offset:76 ; 4-byte Folded Spill
	buffer_load_dword v0, off, s[40:43], 0 offset:188 ; 4-byte Folded Reload
	ds_read2_b32 v[2:3], v7 offset0:198 offset1:199
	s_waitcnt lgkmcnt(0)
	v_pk_fma_f16 v9, v43, v2, v14
	v_pk_fma_f16 v9, v44, v3, v9
	s_waitcnt vmcnt(0)
	v_pk_fma_f16 v6, v62, v2, v0
	buffer_load_dword v0, off, s[40:43], 0 offset:192 ; 4-byte Folded Reload
	v_pk_fma_f16 v6, v63, v3, v6
	s_waitcnt vmcnt(0)
	v_pk_fma_f16 v8, v57, v2, v0
	v_pk_fma_f16 v2, v41, v2, v15
	v_pk_fma_f16 v8, v60, v3, v8
	v_pk_fma_f16 v13, v42, v3, v2
	ds_read2_b32 v[2:3], v7 offset0:200 offset1:201
	s_waitcnt lgkmcnt(0)
	v_pk_fma_f16 v6, v21, v2, v6
	v_pk_fma_f16 v8, v49, v2, v8
	v_pk_fma_f16 v9, v40, v2, v9
	v_pk_fma_f16 v2, v37, v2, v13
	v_pk_fma_f16 v6, v22, v3, v6
	v_pk_fma_f16 v8, v51, v3, v8
	v_pk_fma_f16 v9, v31, v3, v9
	v_pk_fma_f16 v13, v38, v3, v2
	ds_read2_b32 v[2:3], v7 offset0:202 offset1:203
	s_waitcnt lgkmcnt(0)
	v_pk_fma_f16 v6, v24, v2, v6
	v_pk_fma_f16 v8, v18, v2, v8
	v_pk_fma_f16 v9, v45, v2, v9
	v_pk_fma_f16 v2, v32, v2, v13
	;; [unrolled: 10-line block ×3, first 2 shown]
	v_pk_fma_f16 v6, v17, v3, v6
	v_pk_fma_f16 v8, v23, v3, v8
	;; [unrolled: 1-line block ×4, first 2 shown]
	ds_read2_b32 v[2:3], v7 offset0:206 offset1:207
	s_waitcnt lgkmcnt(0)
	v_pk_fma_f16 v7, v58, v2, v9
	v_pk_fma_f16 v0, v53, v3, v7
	buffer_store_dword v0, off, s[40:43], 0 offset:80 ; 4-byte Folded Spill
	buffer_load_dword v0, off, s[40:43], 0 offset:180 ; 4-byte Folded Reload
	v_pk_fma_f16 v6, v29, v2, v6
	v_pk_fma_f16 v35, v48, v3, v6
	;; [unrolled: 1-line block ×5, first 2 shown]
	v_mov_b32_e32 v2, s6
	v_pk_fma_f16 v6, v28, v3, v6
	ds_read2_b32 v[2:3], v2 offset1:1
	s_add_i32 s6, s29, 0x420
	s_waitcnt lgkmcnt(0)
	v_pk_fma_f16 v9, v43, v2, v11
	v_pk_fma_f16 v9, v44, v3, v9
	s_waitcnt vmcnt(0)
	v_pk_fma_f16 v7, v62, v2, v0
	buffer_load_dword v0, off, s[40:43], 0 offset:184 ; 4-byte Folded Reload
	v_pk_fma_f16 v7, v63, v3, v7
	s_waitcnt vmcnt(0)
	v_pk_fma_f16 v8, v57, v2, v0
	buffer_load_dword v0, off, s[40:43], 0 offset:176 ; 4-byte Folded Reload
	v_pk_fma_f16 v2, v41, v2, v12
	v_pk_fma_f16 v11, v42, v3, v2
	v_mov_b32_e32 v2, s6
	v_pk_fma_f16 v8, v60, v3, v8
	ds_read2_b32 v[2:3], v2 offset1:1
	s_add_i32 s6, s29, 0x428
	s_waitcnt lgkmcnt(0)
	v_pk_fma_f16 v7, v21, v2, v7
	v_pk_fma_f16 v8, v49, v2, v8
	;; [unrolled: 1-line block ×5, first 2 shown]
	v_mov_b32_e32 v2, s6
	v_pk_fma_f16 v7, v22, v3, v7
	v_pk_fma_f16 v8, v51, v3, v8
	;; [unrolled: 1-line block ×3, first 2 shown]
	ds_read2_b32 v[2:3], v2 offset1:1
	s_add_i32 s6, s29, 0x430
	s_waitcnt lgkmcnt(0)
	v_pk_fma_f16 v7, v24, v2, v7
	v_pk_fma_f16 v8, v18, v2, v8
	v_pk_fma_f16 v9, v45, v2, v9
	v_pk_fma_f16 v2, v32, v2, v11
	v_pk_fma_f16 v11, v33, v3, v2
	v_mov_b32_e32 v2, s6
	v_pk_fma_f16 v7, v25, v3, v7
	v_pk_fma_f16 v8, v30, v3, v8
	;; [unrolled: 1-line block ×3, first 2 shown]
	ds_read2_b32 v[2:3], v2 offset1:1
	s_add_i32 s6, s29, 0x438
	s_waitcnt lgkmcnt(0)
	v_pk_fma_f16 v7, v10, v2, v7
	v_pk_fma_f16 v12, v17, v3, v7
	;; [unrolled: 1-line block ×7, first 2 shown]
	v_mov_b32_e32 v2, s6
	v_pk_fma_f16 v9, v61, v3, v7
	ds_read2_b32 v[7:8], v2 offset1:1
	s_add_i32 s6, s29, 0x518
	s_waitcnt lgkmcnt(0)
	v_pk_fma_f16 v2, v29, v7, v12
	v_pk_fma_f16 v3, v48, v8, v2
	;; [unrolled: 1-line block ×6, first 2 shown]
	v_mov_b32_e32 v7, s6
	v_pk_fma_f16 v2, v28, v8, v2
	v_pk_fma_f16 v52, v53, v8, v9
	ds_read2_b32 v[7:8], v7 offset1:1
	s_add_i32 s6, s29, 0x520
	v_mov_b32_e32 v11, s6
	ds_read2_b32 v[15:16], v11 offset1:1
	s_add_i32 s6, s29, 0x528
	v_mov_b32_e32 v11, s6
	ds_read2_b32 v[13:14], v11 offset1:1
	s_add_i32 s6, s29, 0x530
	v_mov_b32_e32 v11, s6
	ds_read2_b32 v[11:12], v11 offset1:1
	s_add_i32 s6, s29, 0x538
	s_add_i32 s29, s29, 64
	s_cmp_ge_i32 s25, s26
	s_waitcnt vmcnt(0) lgkmcnt(3)
	v_pk_fma_f16 v9, v62, v7, v0
	buffer_load_dword v0, off, s[40:43], 0 offset:172 ; 4-byte Folded Reload
	v_pk_fma_f16 v9, v63, v8, v9
	s_waitcnt lgkmcnt(2)
	v_pk_fma_f16 v9, v21, v15, v9
	v_pk_fma_f16 v9, v22, v16, v9
	s_waitcnt lgkmcnt(1)
	v_pk_fma_f16 v9, v24, v13, v9
	;; [unrolled: 3-line block ×3, first 2 shown]
	v_mov_b32_e32 v9, s6
	ds_read2_b32 v[9:10], v9 offset1:1
	v_pk_fma_f16 v1, v17, v12, v1
	s_waitcnt lgkmcnt(0)
	v_pk_fma_f16 v1, v29, v9, v1
	v_pk_fma_f16 v1, v48, v10, v1
	s_waitcnt vmcnt(0)
	v_pk_fma_f16 v21, v57, v7, v0
	v_pk_fma_f16 v21, v60, v8, v21
	;; [unrolled: 1-line block ×10, first 2 shown]
	v_pack_b32_f16 v18, v27, v5
	v_perm_b32 v5, v5, v27, s38
	buffer_load_dword v24, off, s[40:43], 0 offset:44 ; 4-byte Folded Reload
	buffer_load_dword v27, off, s[40:43], 0 offset:200 ; 4-byte Folded Reload
	;; [unrolled: 1-line block ×7, first 2 shown]
	v_pk_add_f16 v5, v18, v5
	v_perm_b32 v18, v36, v50, s38
	s_waitcnt vmcnt(5)
	v_pk_fma_f16 v24, v5, v27, v24
	v_pack_b32_f16 v5, v50, v36
	v_pk_add_f16 v5, v5, v18
	s_waitcnt vmcnt(3)
	v_pk_fma_f16 v23, v5, v27, v23
	v_pack_b32_f16 v5, v55, v56
	v_perm_b32 v18, v56, v55, s38
	v_pk_add_f16 v5, v5, v18
	buffer_load_dword v18, off, s[40:43], 0 offset:4 ; 4-byte Folded Reload
	s_waitcnt vmcnt(3)
	v_pk_fma_f16 v22, v5, v27, v22
	v_pack_b32_f16 v5, v35, v6
	v_perm_b32 v6, v6, v35, s38
	v_pk_add_f16 v5, v5, v6
	s_waitcnt vmcnt(2)
	v_pk_fma_f16 v21, v5, v27, v21
	v_pack_b32_f16 v5, v3, v2
	v_perm_b32 v2, v2, v3, s38
	v_pk_add_f16 v2, v5, v2
	;; [unrolled: 5-line block ×3, first 2 shown]
	buffer_load_dword v1, off, s[40:43], 0 offset:164 ; 4-byte Folded Reload
	s_waitcnt vmcnt(1)
	v_pk_fma_f16 v18, v0, v27, v18
	buffer_load_dword v0, off, s[40:43], 0 offset:168 ; 4-byte Folded Reload
	s_waitcnt vmcnt(1)
	v_pk_fma_f16 v1, v41, v7, v1
	v_pk_fma_f16 v1, v42, v8, v1
	;; [unrolled: 1-line block ×10, first 2 shown]
	s_waitcnt vmcnt(0)
	v_pk_fma_f16 v0, v43, v7, v0
	v_pk_fma_f16 v0, v44, v8, v0
	;; [unrolled: 1-line block ×6, first 2 shown]
	buffer_load_dword v13, off, s[40:43], 0 offset:48 ; 4-byte Folded Reload
	buffer_load_dword v14, off, s[40:43], 0 offset:52 ; 4-byte Folded Reload
	;; [unrolled: 1-line block ×4, first 2 shown]
	v_pk_fma_f16 v0, v20, v11, v0
	v_pk_fma_f16 v0, v61, v12, v0
	buffer_load_dword v12, off, s[40:43], 0 offset:40 ; 4-byte Folded Reload
	v_pk_fma_f16 v0, v58, v9, v0
	v_pk_fma_f16 v0, v53, v10, v0
	s_waitcnt vmcnt(4)
	v_add_co_u32_e64 v13, s[6:7], s33, v13
	s_waitcnt vmcnt(1)
	v_pack_b32_f16 v2, v3, v4
	v_perm_b32 v3, v4, v3, s38
	v_pk_add_f16 v2, v2, v3
	buffer_load_dword v3, off, s[40:43], 0 offset:64 ; 4-byte Folded Reload
	buffer_load_dword v4, off, s[40:43], 0 offset:68 ; 4-byte Folded Reload
	s_waitcnt vmcnt(2)
	v_pk_fma_f16 v12, v2, v28, v12
	buffer_load_dword v11, off, s[40:43], 0 offset:32 ; 4-byte Folded Reload
	s_waitcnt vmcnt(1)
	v_pack_b32_f16 v2, v3, v4
	v_perm_b32 v3, v4, v3, s38
	v_pk_add_f16 v2, v2, v3
	buffer_load_dword v3, off, s[40:43], 0 offset:72 ; 4-byte Folded Reload
	buffer_load_dword v4, off, s[40:43], 0 offset:76 ; 4-byte Folded Reload
	s_waitcnt vmcnt(2)
	v_pk_fma_f16 v11, v2, v28, v11
	buffer_load_dword v10, off, s[40:43], 0 offset:24 ; 4-byte Folded Reload
	buffer_load_dword v8, off, s[40:43], 0 offset:8 ; 4-byte Folded Reload
	buffer_load_dword v7, off, s[40:43], 0  ; 4-byte Folded Reload
	s_waitcnt vmcnt(3)
	v_pack_b32_f16 v2, v3, v4
	v_perm_b32 v3, v4, v3, s38
	v_pk_add_f16 v2, v2, v3
	buffer_load_dword v3, off, s[40:43], 0 offset:80 ; 4-byte Folded Reload
	buffer_load_dword v9, off, s[40:43], 0 offset:16 ; 4-byte Folded Reload
	s_waitcnt vmcnt(4)
	v_pk_fma_f16 v10, v2, v28, v10
	s_waitcnt vmcnt(1)
	v_pack_b32_f16 v2, v3, v54
	v_perm_b32 v3, v54, v3, s38
	v_pk_add_f16 v2, v2, v3
	s_waitcnt vmcnt(0)
	v_pk_fma_f16 v9, v2, v28, v9
	v_pack_b32_f16 v2, v52, v34
	v_perm_b32 v3, v34, v52, s38
	v_pk_add_f16 v2, v2, v3
	v_pk_fma_f16 v8, v2, v28, v8
	v_pack_b32_f16 v2, v0, v1
	v_perm_b32 v0, v1, v0, s38
	v_pk_add_f16 v0, v2, v0
	v_pk_fma_f16 v7, v0, v28, v7
	v_mov_b32_e32 v0, s31
	v_addc_co_u32_e64 v14, s[6:7], v14, v0, s[6:7]
	s_cbranch_scc1 .LBB36_52
.LBB36_35:                              ; =>This Inner Loop Header: Depth=1
	s_cmp_lg_u32 s25, s30
	s_cbranch_scc1 .LBB36_34
; %bb.36:                               ;   in Loop: Header=BB36_35 Depth=1
	buffer_load_dword v0, off, s[40:43], 0 offset:236 ; 4-byte Folded Reload
	buffer_load_dword v1, off, s[40:43], 0 offset:240 ; 4-byte Folded Reload
	s_add_i32 s28, s28, 1
	s_mul_i32 s39, s28, s16
	s_ashr_i32 s6, s39, 31
	s_lshr_b32 s6, s6, 27
	s_add_i32 s6, s39, s6
	s_ashr_i32 s6, s6, 5
	v_mov_b32_e32 v2, s11
	s_waitcnt vmcnt(0)
	v_mad_u64_u32 v[0:1], s[6:7], s6, 3, v[0:1]
	v_ashrrev_i32_e32 v1, 31, v0
	v_lshlrev_b64 v[0:1], 2, v[0:1]
	v_add_co_u32_e64 v5, s[6:7], s10, v0
	v_addc_co_u32_e64 v6, s[6:7], v2, v1, s[6:7]
	global_load_dword v1, v[5:6], off
                                        ; implicit-def: $vgpr0
	s_and_saveexec_b64 s[6:7], vcc
	s_xor_b64 s[6:7], exec, s[6:7]
	s_cbranch_execz .LBB36_50
; %bb.37:                               ;   in Loop: Header=BB36_35 Depth=1
                                        ; implicit-def: $vgpr0
	s_and_saveexec_b64 s[18:19], s[0:1]
	s_xor_b64 s[18:19], exec, s[18:19]
	s_cbranch_execz .LBB36_47
; %bb.38:                               ;   in Loop: Header=BB36_35 Depth=1
                                        ; implicit-def: $vgpr0
	s_and_saveexec_b64 s[20:21], s[2:3]
	;; [unrolled: 5-line block ×3, first 2 shown]
	s_xor_b64 s[22:23], exec, s[22:23]
	s_cbranch_execz .LBB36_41
; %bb.40:                               ;   in Loop: Header=BB36_35 Depth=1
	buffer_load_dword v0, off, s[40:43], 0 offset:252 ; 4-byte Folded Reload
                                        ; implicit-def: $vgpr5_vgpr6
	s_waitcnt vmcnt(0)
	v_lshrrev_b32_e32 v0, v0, v1
                                        ; implicit-def: $vgpr1
.LBB36_41:                              ;   in Loop: Header=BB36_35 Depth=1
	s_andn2_saveexec_b64 s[22:23], s[22:23]
	s_cbranch_execz .LBB36_43
; %bb.42:                               ;   in Loop: Header=BB36_35 Depth=1
	global_load_dword v0, v[5:6], off offset:4
	s_waitcnt vmcnt(0)
	v_alignbit_b32 v0, v0, v1, 28
	v_and_b32_e32 v0, 0xfff, v0
.LBB36_43:                              ;   in Loop: Header=BB36_35 Depth=1
	s_or_b64 exec, exec, s[22:23]
                                        ; implicit-def: $vgpr1
.LBB36_44:                              ;   in Loop: Header=BB36_35 Depth=1
	s_andn2_saveexec_b64 s[20:21], s[20:21]
	s_cbranch_execz .LBB36_46
; %bb.45:                               ;   in Loop: Header=BB36_35 Depth=1
	buffer_load_dword v0, off, s[40:43], 0 offset:248 ; 4-byte Folded Reload
	s_waitcnt vmcnt(0)
	v_lshrrev_b32_e32 v0, v0, v1
.LBB36_46:                              ;   in Loop: Header=BB36_35 Depth=1
	s_or_b64 exec, exec, s[20:21]
                                        ; implicit-def: $vgpr5_vgpr6
                                        ; implicit-def: $vgpr1
.LBB36_47:                              ;   in Loop: Header=BB36_35 Depth=1
	s_andn2_saveexec_b64 s[18:19], s[18:19]
	s_cbranch_execz .LBB36_49
; %bb.48:                               ;   in Loop: Header=BB36_35 Depth=1
	global_load_dword v0, v[5:6], off offset:4
	s_waitcnt vmcnt(0)
	v_perm_b32 v0, v1, v0, s17
	v_and_b32_e32 v0, 0xfff, v0
.LBB36_49:                              ;   in Loop: Header=BB36_35 Depth=1
	s_or_b64 exec, exec, s[18:19]
                                        ; implicit-def: $vgpr1
.LBB36_50:                              ;   in Loop: Header=BB36_35 Depth=1
	s_andn2_saveexec_b64 s[6:7], s[6:7]
	s_cbranch_execz .LBB36_33
; %bb.51:                               ;   in Loop: Header=BB36_35 Depth=1
	buffer_load_dword v0, off, s[40:43], 0 offset:244 ; 4-byte Folded Reload
	s_waitcnt vmcnt(0)
	v_lshrrev_b32_e32 v0, v0, v1
	s_branch .LBB36_33
.LBB36_52:
	buffer_load_dword v0, off, s[40:43], 0 offset:228 ; 4-byte Folded Reload
	buffer_load_dword v1, off, s[40:43], 0 offset:232 ; 4-byte Folded Reload
	s_mul_i32 s24, s24, s16
	v_mov_b32_e32 v3, s15
	s_mov_b64 s[0:1], 0
	s_waitcnt vmcnt(1)
	v_add_u32_e32 v0, s24, v0
	s_waitcnt vmcnt(0)
	v_ashrrev_i32_e32 v1, 31, v0
	v_lshlrev_b64 v[1:2], 1, v[0:1]
	v_add_co_u32_e32 v1, vcc, s14, v1
	v_addc_co_u32_e32 v2, vcc, v3, v2, vcc
	global_load_dword v4, v[1:2], off
.LBB36_53:                              ; =>This Inner Loop Header: Depth=1
	s_waitcnt vmcnt(0)
	v_pk_add_f16 v3, v24, v4
	global_atomic_cmpswap v3, v[1:2], v[3:4], off glc
	s_waitcnt vmcnt(0)
	v_cmp_eq_u32_e32 vcc, v4, v3
	s_or_b64 s[0:1], vcc, s[0:1]
	v_mov_b32_e32 v4, v3
	s_andn2_b64 exec, exec, s[0:1]
	s_cbranch_execnz .LBB36_53
; %bb.54:
	s_or_b64 exec, exec, s[0:1]
	global_load_dword v4, v[1:2], off offset:4
	s_mov_b64 s[0:1], 0
.LBB36_55:                              ; =>This Inner Loop Header: Depth=1
	s_waitcnt vmcnt(0)
	v_pk_add_f16 v3, v12, v4
	global_atomic_cmpswap v3, v[1:2], v[3:4], off offset:4 glc
	s_waitcnt vmcnt(0)
	v_cmp_eq_u32_e32 vcc, v4, v3
	s_or_b64 s[0:1], vcc, s[0:1]
	v_mov_b32_e32 v4, v3
	s_andn2_b64 exec, exec, s[0:1]
	s_cbranch_execnz .LBB36_55
; %bb.56:
	s_or_b64 exec, exec, s[0:1]
	v_add_u32_e32 v0, s16, v0
	v_ashrrev_i32_e32 v1, 31, v0
	v_lshlrev_b64 v[1:2], 1, v[0:1]
	v_mov_b32_e32 v3, s15
	v_add_co_u32_e32 v1, vcc, s14, v1
	v_addc_co_u32_e32 v2, vcc, v3, v2, vcc
	global_load_dword v4, v[1:2], off
	s_mov_b64 s[0:1], 0
.LBB36_57:                              ; =>This Inner Loop Header: Depth=1
	s_waitcnt vmcnt(0)
	v_pk_add_f16 v3, v23, v4
	global_atomic_cmpswap v3, v[1:2], v[3:4], off glc
	s_waitcnt vmcnt(0)
	v_cmp_eq_u32_e32 vcc, v4, v3
	s_or_b64 s[0:1], vcc, s[0:1]
	v_mov_b32_e32 v4, v3
	s_andn2_b64 exec, exec, s[0:1]
	s_cbranch_execnz .LBB36_57
; %bb.58:
	s_or_b64 exec, exec, s[0:1]
	global_load_dword v4, v[1:2], off offset:4
	s_mov_b64 s[0:1], 0
.LBB36_59:                              ; =>This Inner Loop Header: Depth=1
	s_waitcnt vmcnt(0)
	v_pk_add_f16 v3, v11, v4
	global_atomic_cmpswap v3, v[1:2], v[3:4], off offset:4 glc
	s_waitcnt vmcnt(0)
	v_cmp_eq_u32_e32 vcc, v4, v3
	s_or_b64 s[0:1], vcc, s[0:1]
	v_mov_b32_e32 v4, v3
	s_andn2_b64 exec, exec, s[0:1]
	s_cbranch_execnz .LBB36_59
; %bb.60:
	s_or_b64 exec, exec, s[0:1]
	v_add_u32_e32 v0, s16, v0
	v_ashrrev_i32_e32 v1, 31, v0
	v_lshlrev_b64 v[1:2], 1, v[0:1]
	v_mov_b32_e32 v3, s15
	v_add_co_u32_e32 v1, vcc, s14, v1
	v_addc_co_u32_e32 v2, vcc, v3, v2, vcc
	global_load_dword v4, v[1:2], off
	s_mov_b64 s[0:1], 0
	;; [unrolled: 34-line block ×5, first 2 shown]
.LBB36_73:                              ; =>This Inner Loop Header: Depth=1
	s_waitcnt vmcnt(0)
	v_pk_add_f16 v2, v18, v3
	global_atomic_cmpswap v2, v[0:1], v[2:3], off glc
	s_waitcnt vmcnt(0)
	v_cmp_eq_u32_e32 vcc, v3, v2
	s_or_b64 s[0:1], vcc, s[0:1]
	v_mov_b32_e32 v3, v2
	s_andn2_b64 exec, exec, s[0:1]
	s_cbranch_execnz .LBB36_73
; %bb.74:
	s_or_b64 exec, exec, s[0:1]
	global_load_dword v3, v[0:1], off offset:4
	s_mov_b64 s[0:1], 0
.LBB36_75:                              ; =>This Inner Loop Header: Depth=1
	s_waitcnt vmcnt(0)
	v_pk_add_f16 v2, v7, v3
	global_atomic_cmpswap v2, v[0:1], v[2:3], off offset:4 glc
	s_waitcnt vmcnt(0)
	v_cmp_eq_u32_e32 vcc, v3, v2
	s_or_b64 s[0:1], vcc, s[0:1]
	v_mov_b32_e32 v3, v2
	s_andn2_b64 exec, exec, s[0:1]
	s_cbranch_execnz .LBB36_75
.LBB36_76:
	s_endpgm
	.section	.rodata,"a",@progbits
	.p2align	6, 0x0
	.amdhsa_kernel _ZN4vllm4gptq33gemm_half_q_half_gptq_3bit_kernelILb1ELi6EEEvPK6__halfPKjS6_S4_PS2_iiiibPKi
		.amdhsa_group_segment_fixed_size 1536
		.amdhsa_private_segment_fixed_size 260
		.amdhsa_kernarg_size 72
		.amdhsa_user_sgpr_count 6
		.amdhsa_user_sgpr_private_segment_buffer 1
		.amdhsa_user_sgpr_dispatch_ptr 0
		.amdhsa_user_sgpr_queue_ptr 0
		.amdhsa_user_sgpr_kernarg_segment_ptr 1
		.amdhsa_user_sgpr_dispatch_id 0
		.amdhsa_user_sgpr_flat_scratch_init 0
		.amdhsa_user_sgpr_private_segment_size 0
		.amdhsa_uses_dynamic_stack 0
		.amdhsa_system_sgpr_private_segment_wavefront_offset 1
		.amdhsa_system_sgpr_workgroup_id_x 1
		.amdhsa_system_sgpr_workgroup_id_y 1
		.amdhsa_system_sgpr_workgroup_id_z 1
		.amdhsa_system_sgpr_workgroup_info 0
		.amdhsa_system_vgpr_workitem_id 0
		.amdhsa_next_free_vgpr 64
		.amdhsa_next_free_sgpr 44
		.amdhsa_reserve_vcc 1
		.amdhsa_reserve_flat_scratch 0
		.amdhsa_float_round_mode_32 0
		.amdhsa_float_round_mode_16_64 0
		.amdhsa_float_denorm_mode_32 3
		.amdhsa_float_denorm_mode_16_64 3
		.amdhsa_dx10_clamp 1
		.amdhsa_ieee_mode 1
		.amdhsa_fp16_overflow 0
		.amdhsa_exception_fp_ieee_invalid_op 0
		.amdhsa_exception_fp_denorm_src 0
		.amdhsa_exception_fp_ieee_div_zero 0
		.amdhsa_exception_fp_ieee_overflow 0
		.amdhsa_exception_fp_ieee_underflow 0
		.amdhsa_exception_fp_ieee_inexact 0
		.amdhsa_exception_int_div_zero 0
	.end_amdhsa_kernel
	.section	.text._ZN4vllm4gptq33gemm_half_q_half_gptq_3bit_kernelILb1ELi6EEEvPK6__halfPKjS6_S4_PS2_iiiibPKi,"axG",@progbits,_ZN4vllm4gptq33gemm_half_q_half_gptq_3bit_kernelILb1ELi6EEEvPK6__halfPKjS6_S4_PS2_iiiibPKi,comdat
.Lfunc_end36:
	.size	_ZN4vllm4gptq33gemm_half_q_half_gptq_3bit_kernelILb1ELi6EEEvPK6__halfPKjS6_S4_PS2_iiiibPKi, .Lfunc_end36-_ZN4vllm4gptq33gemm_half_q_half_gptq_3bit_kernelILb1ELi6EEEvPK6__halfPKjS6_S4_PS2_iiiibPKi
                                        ; -- End function
	.set _ZN4vllm4gptq33gemm_half_q_half_gptq_3bit_kernelILb1ELi6EEEvPK6__halfPKjS6_S4_PS2_iiiibPKi.num_vgpr, 64
	.set _ZN4vllm4gptq33gemm_half_q_half_gptq_3bit_kernelILb1ELi6EEEvPK6__halfPKjS6_S4_PS2_iiiibPKi.num_agpr, 0
	.set _ZN4vllm4gptq33gemm_half_q_half_gptq_3bit_kernelILb1ELi6EEEvPK6__halfPKjS6_S4_PS2_iiiibPKi.numbered_sgpr, 44
	.set _ZN4vllm4gptq33gemm_half_q_half_gptq_3bit_kernelILb1ELi6EEEvPK6__halfPKjS6_S4_PS2_iiiibPKi.num_named_barrier, 0
	.set _ZN4vllm4gptq33gemm_half_q_half_gptq_3bit_kernelILb1ELi6EEEvPK6__halfPKjS6_S4_PS2_iiiibPKi.private_seg_size, 260
	.set _ZN4vllm4gptq33gemm_half_q_half_gptq_3bit_kernelILb1ELi6EEEvPK6__halfPKjS6_S4_PS2_iiiibPKi.uses_vcc, 1
	.set _ZN4vllm4gptq33gemm_half_q_half_gptq_3bit_kernelILb1ELi6EEEvPK6__halfPKjS6_S4_PS2_iiiibPKi.uses_flat_scratch, 0
	.set _ZN4vllm4gptq33gemm_half_q_half_gptq_3bit_kernelILb1ELi6EEEvPK6__halfPKjS6_S4_PS2_iiiibPKi.has_dyn_sized_stack, 0
	.set _ZN4vllm4gptq33gemm_half_q_half_gptq_3bit_kernelILb1ELi6EEEvPK6__halfPKjS6_S4_PS2_iiiibPKi.has_recursion, 0
	.set _ZN4vllm4gptq33gemm_half_q_half_gptq_3bit_kernelILb1ELi6EEEvPK6__halfPKjS6_S4_PS2_iiiibPKi.has_indirect_call, 0
	.section	.AMDGPU.csdata,"",@progbits
; Kernel info:
; codeLenInByte = 11048
; TotalNumSgprs: 48
; NumVgprs: 64
; ScratchSize: 260
; MemoryBound: 0
; FloatMode: 240
; IeeeMode: 1
; LDSByteSize: 1536 bytes/workgroup (compile time only)
; SGPRBlocks: 5
; VGPRBlocks: 15
; NumSGPRsForWavesPerEU: 48
; NumVGPRsForWavesPerEU: 64
; Occupancy: 4
; WaveLimiterHint : 0
; COMPUTE_PGM_RSRC2:SCRATCH_EN: 1
; COMPUTE_PGM_RSRC2:USER_SGPR: 6
; COMPUTE_PGM_RSRC2:TRAP_HANDLER: 0
; COMPUTE_PGM_RSRC2:TGID_X_EN: 1
; COMPUTE_PGM_RSRC2:TGID_Y_EN: 1
; COMPUTE_PGM_RSRC2:TGID_Z_EN: 1
; COMPUTE_PGM_RSRC2:TIDIG_COMP_CNT: 0
	.section	.text._ZN4vllm4gptq33gemm_half_q_half_gptq_4bit_kernelILb1ELi6EEEvPK6__halfPKjS6_S4_PS2_iiiibPKi,"axG",@progbits,_ZN4vllm4gptq33gemm_half_q_half_gptq_4bit_kernelILb1ELi6EEEvPK6__halfPKjS6_S4_PS2_iiiibPKi,comdat
	.protected	_ZN4vllm4gptq33gemm_half_q_half_gptq_4bit_kernelILb1ELi6EEEvPK6__halfPKjS6_S4_PS2_iiiibPKi ; -- Begin function _ZN4vllm4gptq33gemm_half_q_half_gptq_4bit_kernelILb1ELi6EEEvPK6__halfPKjS6_S4_PS2_iiiibPKi
	.globl	_ZN4vllm4gptq33gemm_half_q_half_gptq_4bit_kernelILb1ELi6EEEvPK6__halfPKjS6_S4_PS2_iiiibPKi
	.p2align	8
	.type	_ZN4vllm4gptq33gemm_half_q_half_gptq_4bit_kernelILb1ELi6EEEvPK6__halfPKjS6_S4_PS2_iiiibPKi,@function
_ZN4vllm4gptq33gemm_half_q_half_gptq_4bit_kernelILb1ELi6EEEvPK6__halfPKjS6_S4_PS2_iiiibPKi: ; @_ZN4vllm4gptq33gemm_half_q_half_gptq_4bit_kernelILb1ELi6EEEvPK6__halfPKjS6_S4_PS2_iiiibPKi
; %bb.0:
	s_mov_b64 s[30:31], s[2:3]
	s_load_dwordx4 s[16:19], s[4:5], 0x2c
	s_mov_b64 s[28:29], s[0:1]
	s_add_u32 s28, s28, s9
	s_addc_u32 s29, s29, 0
	s_lshl_b32 s24, s8, 7
	s_add_i32 s0, s24, 0x80
	v_cvt_f64_u32_e32 v[1:2], s0
	s_waitcnt lgkmcnt(0)
	v_cvt_f64_i32_e32 v[3:4], s17
	s_load_dwordx8 s[8:15], s[4:5], 0x8
	s_mul_i32 s7, s7, 6
	v_min_f64 v[1:2], v[1:2], v[3:4]
	v_cvt_i32_f64_e32 v2, v[1:2]
	v_add_u32_e32 v1, s24, v0
	v_readfirstlane_b32 s25, v2
	v_cmp_lt_u32_e32 vcc, v1, v2
	s_and_saveexec_b64 s[2:3], vcc
	s_cbranch_execz .LBB37_14
; %bb.1:
	s_load_dwordx2 s[0:1], s[4:5], 0x40
	s_load_dwordx2 s[20:21], s[4:5], 0x0
	v_mov_b32_e32 v2, 0
	v_lshlrev_b64 v[3:4], 2, v[1:2]
	s_waitcnt lgkmcnt(0)
	v_mov_b32_e32 v5, s1
	v_add_co_u32_e32 v3, vcc, s0, v3
	s_cmp_lg_u64 s[0:1], 0
	v_addc_co_u32_e32 v4, vcc, v5, v4, vcc
	v_mov_b32_e32 v6, v2
	s_cselect_b64 s[4:5], -1, 0
	s_cmp_eq_u64 s[0:1], 0
	v_mov_b32_e32 v5, v1
	s_cbranch_scc1 .LBB37_3
; %bb.2:
	global_load_dword v5, v[3:4], off
	s_waitcnt vmcnt(0)
	v_ashrrev_i32_e32 v6, 31, v5
.LBB37_3:
	s_mul_i32 s22, s7, s17
	s_ashr_i32 s23, s22, 31
	s_lshl_b64 s[0:1], s[22:23], 1
	s_add_u32 s0, s20, s0
	v_lshlrev_b64 v[5:6], 1, v[5:6]
	s_addc_u32 s1, s21, s1
	v_mov_b32_e32 v7, s1
	v_add_co_u32_e32 v5, vcc, s0, v5
	v_addc_co_u32_e32 v6, vcc, v7, v6, vcc
	global_load_ushort v5, v[5:6], off
	v_lshlrev_b32_e32 v7, 1, v0
	v_cndmask_b32_e64 v6, 0, 1, s[4:5]
	v_cmp_ne_u32_e64 s[0:1], 1, v6
	s_andn2_b64 vcc, exec, s[4:5]
	s_waitcnt vmcnt(0)
	ds_write_b16 v7, v5
	v_mov_b32_e32 v6, v2
	v_mov_b32_e32 v5, v1
	s_cbranch_vccnz .LBB37_5
; %bb.4:
	global_load_dword v5, v[3:4], off
	s_waitcnt vmcnt(0)
	v_ashrrev_i32_e32 v6, 31, v5
.LBB37_5:
	s_add_i32 s4, s22, s17
	s_ashr_i32 s5, s4, 31
	s_lshl_b64 s[22:23], s[4:5], 1
	s_add_u32 s5, s20, s22
	v_lshlrev_b64 v[5:6], 1, v[5:6]
	s_addc_u32 s22, s21, s23
	v_mov_b32_e32 v8, s22
	v_add_co_u32_e32 v5, vcc, s5, v5
	v_addc_co_u32_e32 v6, vcc, v8, v6, vcc
	global_load_ushort v5, v[5:6], off
	s_and_b64 vcc, exec, s[0:1]
	s_waitcnt vmcnt(0)
	ds_write_b16 v7, v5 offset:256
	v_mov_b32_e32 v6, v2
	v_mov_b32_e32 v5, v1
	s_cbranch_vccnz .LBB37_7
; %bb.6:
	global_load_dword v5, v[3:4], off
	s_waitcnt vmcnt(0)
	v_ashrrev_i32_e32 v6, 31, v5
.LBB37_7:
	s_add_i32 s4, s4, s17
	s_ashr_i32 s5, s4, 31
	s_lshl_b64 s[22:23], s[4:5], 1
	s_add_u32 s5, s20, s22
	v_lshlrev_b64 v[5:6], 1, v[5:6]
	s_addc_u32 s22, s21, s23
	v_mov_b32_e32 v8, s22
	v_add_co_u32_e32 v5, vcc, s5, v5
	v_addc_co_u32_e32 v6, vcc, v8, v6, vcc
	global_load_ushort v5, v[5:6], off
	s_and_b64 vcc, exec, s[0:1]
	s_waitcnt vmcnt(0)
	ds_write_b16 v7, v5 offset:512
	v_mov_b32_e32 v6, v2
	v_mov_b32_e32 v5, v1
	s_cbranch_vccnz .LBB37_9
; %bb.8:
	global_load_dword v5, v[3:4], off
	s_waitcnt vmcnt(0)
	v_ashrrev_i32_e32 v6, 31, v5
.LBB37_9:
	s_add_i32 s4, s4, s17
	s_ashr_i32 s5, s4, 31
	s_lshl_b64 s[22:23], s[4:5], 1
	s_add_u32 s5, s20, s22
	v_lshlrev_b64 v[5:6], 1, v[5:6]
	s_addc_u32 s22, s21, s23
	v_mov_b32_e32 v8, s22
	v_add_co_u32_e32 v5, vcc, s5, v5
	v_addc_co_u32_e32 v6, vcc, v8, v6, vcc
	global_load_ushort v5, v[5:6], off
	s_and_b64 vcc, exec, s[0:1]
	s_waitcnt vmcnt(0)
	ds_write_b16 v7, v5 offset:768
	v_mov_b32_e32 v6, v2
	v_mov_b32_e32 v5, v1
	s_cbranch_vccnz .LBB37_11
; %bb.10:
	global_load_dword v5, v[3:4], off
	s_waitcnt vmcnt(0)
	v_ashrrev_i32_e32 v6, 31, v5
.LBB37_11:
	s_add_i32 s4, s4, s17
	s_ashr_i32 s5, s4, 31
	s_lshl_b64 s[22:23], s[4:5], 1
	s_add_u32 s5, s20, s22
	v_lshlrev_b64 v[5:6], 1, v[5:6]
	s_addc_u32 s22, s21, s23
	v_mov_b32_e32 v8, s22
	v_add_co_u32_e32 v5, vcc, s5, v5
	v_addc_co_u32_e32 v6, vcc, v8, v6, vcc
	global_load_ushort v5, v[5:6], off
	s_and_b64 vcc, exec, s[0:1]
	s_waitcnt vmcnt(0)
	ds_write_b16 v7, v5 offset:1024
	s_cbranch_vccnz .LBB37_13
; %bb.12:
	global_load_dword v1, v[3:4], off
	s_waitcnt vmcnt(0)
	v_ashrrev_i32_e32 v2, 31, v1
.LBB37_13:
	s_add_i32 s0, s4, s17
	s_ashr_i32 s1, s0, 31
	s_lshl_b64 s[0:1], s[0:1], 1
	s_add_u32 s0, s20, s0
	v_lshlrev_b64 v[1:2], 1, v[1:2]
	s_addc_u32 s1, s21, s1
	v_mov_b32_e32 v3, s1
	v_add_co_u32_e32 v1, vcc, s0, v1
	v_addc_co_u32_e32 v2, vcc, v3, v2, vcc
	global_load_ushort v1, v[1:2], off
	s_waitcnt vmcnt(0)
	ds_write_b16 v7, v1 offset:1280
.LBB37_14:
	s_or_b64 exec, exec, s[2:3]
	v_lshlrev_b32_e32 v1, 2, v0
	v_lshl_add_u32 v2, s6, 9, v1
	v_mov_b32_e32 v1, v2
	buffer_store_dword v1, off, s[28:31], 0 ; 4-byte Folded Spill
	s_nop 0
	buffer_store_dword v2, off, s[28:31], 0 offset:4 ; 4-byte Folded Spill
	v_cmp_gt_i32_e32 vcc, s16, v2
	s_and_saveexec_b64 s[0:1], vcc
	s_cbranch_execz .LBB37_45
; %bb.15:
	s_abs_i32 s0, s18
	v_cvt_f32_u32_e32 v1, s0
	v_mov_b32_e32 v5, 0
	v_mov_b32_e32 v6, 0
	;; [unrolled: 1-line block ×3, first 2 shown]
	v_rcp_iflag_f32_e32 v1, v1
	v_mov_b32_e32 v8, 0
	v_mov_b32_e32 v9, 0
	s_cmp_ge_i32 s24, s25
	v_mul_f32_e32 v1, 0x4f7ffffe, v1
	v_cvt_u32_f32_e32 v1, v1
	v_mov_b32_e32 v10, 0
	v_mov_b32_e32 v11, 0
	v_mov_b32_e32 v12, 0
	v_readfirstlane_b32 s1, v1
	v_mov_b32_e32 v13, 0
	v_mov_b32_e32 v14, 0
	;; [unrolled: 1-line block ×16, first 2 shown]
	s_waitcnt vmcnt(0) lgkmcnt(0)
	s_barrier
	s_cbranch_scc1 .LBB37_21
; %bb.16:
	buffer_load_dword v6, off, s[28:31], 0  ; 4-byte Folded Reload
	buffer_load_dword v7, off, s[28:31], 0 offset:4 ; 4-byte Folded Reload
	s_sub_i32 s5, 0, s0
	s_mul_i32 s5, s5, s1
	s_mul_hi_u32 s5, s1, s5
	s_abs_i32 s4, s17
	s_add_i32 s1, s1, s5
	s_ashr_i32 s2, s17, 31
	s_ashr_i32 s3, s18, 31
	s_mul_hi_u32 s1, s4, s1
	s_xor_b32 s2, s2, s3
	s_mul_i32 s3, s1, s0
	s_sub_i32 s3, s4, s3
	s_add_i32 s4, s1, 1
	s_sub_i32 s5, s3, s0
	s_cmp_ge_u32 s3, s0
	s_cselect_b32 s1, s4, s1
	s_cselect_b32 s3, s5, s3
	s_add_i32 s4, s1, 1
	s_cmp_ge_u32 s3, s0
	s_cselect_b32 s0, s4, s1
	s_xor_b32 s0, s0, s2
	s_sub_i32 s4, s0, s2
	v_cvt_f32_u32_e32 v1, s4
	s_bitcmp1_b32 s19, 0
	s_cselect_b64 s[0:1], -1, 0
	s_sub_i32 s2, 0, s4
	v_rcp_iflag_f32_e32 v1, v1
	s_xor_b64 s[0:1], s[0:1], -1
	v_mov_b32_e32 v3, s13
	v_mov_b32_e32 v5, s11
	v_mul_f32_e32 v1, 0x4f7ffffe, v1
	v_cvt_u32_f32_e32 v1, v1
	v_lshlrev_b32_e32 v0, 4, v0
	v_and_b32_e32 v9, 16, v0
	s_mov_b32 s18, 0x10001
	v_readfirstlane_b32 s3, v1
	s_mul_i32 s2, s2, s3
	s_mul_hi_u32 s2, s3, s2
	s_add_i32 s3, s3, s2
	s_mul_hi_u32 s2, s24, s3
	s_mul_i32 s3, s2, s4
	s_sub_i32 s3, s24, s3
	s_add_i32 s5, s2, 1
	s_sub_i32 s6, s3, s4
	s_cmp_ge_u32 s3, s4
	s_cselect_b32 s2, s5, s2
	s_cselect_b32 s3, s6, s3
	s_add_i32 s5, s2, 1
	s_cmp_ge_u32 s3, s4
	s_cselect_b32 s5, s5, s2
	s_mul_i32 s2, s5, s16
	s_ashr_i32 s3, s2, 31
	s_lshr_b32 s3, s3, 29
	v_mov_b32_e32 v8, 0xe400e400
	s_mov_b32 s6, 0
	v_mov_b32_e32 v11, 0
	s_movk_i32 s19, 0x2c00
	v_mov_b32_e32 v12, 0
	v_mov_b32_e32 v13, 0
	;; [unrolled: 1-line block ×22, first 2 shown]
	s_waitcnt vmcnt(0)
	v_ashrrev_i32_e32 v7, 31, v6
	v_lshrrev_b32_e32 v2, 29, v7
	v_add_u32_e32 v2, v6, v2
	v_add_u32_e32 v1, s2, v6
	v_ashrrev_i32_e32 v4, 3, v2
	v_ashrrev_i32_e32 v2, 31, v1
	v_lshlrev_b64 v[1:2], 1, v[1:2]
	s_add_i32 s2, s2, s3
	v_add_co_u32_e32 v1, vcc, s12, v1
	s_ashr_i32 s2, s2, 3
	v_addc_co_u32_e32 v2, vcc, v3, v2, vcc
	v_add_u32_e32 v3, s2, v4
	buffer_store_dword v4, off, s[28:31], 0 offset:8 ; 4-byte Folded Spill
	v_ashrrev_i32_e32 v4, 31, v3
	v_lshlrev_b64 v[3:4], 2, v[3:4]
	global_load_dwordx2 v[1:2], v[1:2], off
	v_add_co_u32_e32 v3, vcc, s10, v3
	v_addc_co_u32_e32 v4, vcc, v5, v4, vcc
	global_load_dword v3, v[3:4], off
	v_mov_b32_e32 v4, v6
	buffer_store_dword v4, off, s[28:31], 0 ; 4-byte Folded Spill
	s_nop 0
	buffer_store_dword v5, off, s[28:31], 0 offset:4 ; 4-byte Folded Spill
	v_lshlrev_b64 v[5:6], 2, v[6:7]
	v_cndmask_b32_e64 v7, 0, 1, s[0:1]
	s_lshr_b32 s0, s24, 3
	s_mul_i32 s0, s16, s0
	s_ashr_i32 s1, s0, 31
	s_lshl_b64 s[0:1], s[0:1], 2
	s_add_u32 s20, s8, s0
	s_addc_u32 s0, s9, s1
	v_mov_b32_e32 v4, s0
	v_add_co_u32_e32 v5, vcc, s20, v5
	v_addc_co_u32_e32 v6, vcc, v4, v6, vcc
	s_ashr_i32 s17, s16, 31
	s_add_i32 s8, s4, s24
	s_lshl_b64 s[0:1], s[16:17], 4
	s_lshl_b64 s[2:3], s[16:17], 2
	v_mov_b32_e32 v36, 0
	buffer_store_dword v9, off, s[28:31], 0 offset:12 ; 4-byte Folded Spill
	buffer_store_dword v7, off, s[28:31], 0 offset:16 ; 4-byte Folded Spill
	s_waitcnt vmcnt(5)
	v_cvt_f32_f16_sdwa v37, v2 dst_sel:DWORD dst_unused:UNUSED_PAD src0_sel:WORD_1
	v_cvt_f32_f16_e32 v38, v2
	v_cvt_f32_f16_sdwa v39, v1 dst_sel:DWORD dst_unused:UNUSED_PAD src0_sel:WORD_1
	v_cvt_f32_f16_e32 v40, v1
	s_waitcnt vmcnt(4)
	v_lshrrev_b32_e32 v0, v0, v3
	v_bfe_u32 v1, v3, v9, 4
	v_bfe_u32 v2, v0, 12, 4
	;; [unrolled: 1-line block ×4, first 2 shown]
	v_add_u32_e32 v1, v1, v7
	v_add_u32_e32 v2, v2, v7
	;; [unrolled: 1-line block ×4, first 2 shown]
	v_cvt_f32_ubyte0_e32 v4, v1
	v_mad_u32_u24 v41, v1, s18, v8
	v_cvt_f32_ubyte0_e32 v1, v2
	v_mad_u32_u24 v44, v2, s18, v8
	;; [unrolled: 2-line block ×4, first 2 shown]
	v_cvt_f16_f32_e32 v0, v4
	v_cvt_f16_f32_e32 v1, v1
	;; [unrolled: 1-line block ×4, first 2 shown]
	v_sub_f16_e32 v0, 0xd400, v0
	v_sub_f16_e32 v1, 0xd400, v1
	;; [unrolled: 1-line block ×4, first 2 shown]
	v_mul_u32_u24_e32 v45, 0x10001, v0
	v_mul_u32_u24_e32 v46, 0x10001, v1
	;; [unrolled: 1-line block ×4, first 2 shown]
	s_branch .LBB37_18
.LBB37_17:                              ;   in Loop: Header=BB37_18 Depth=1
	global_load_dwordx4 v[50:53], v[5:6], off
	s_add_i32 s9, s6, 0x400
	s_add_i32 s24, s24, 32
	s_waitcnt vmcnt(0)
	v_lshrrev_b32_e32 v2, 8, v50
	v_and_b32_e32 v0, 0xf000f, v50
	v_and_b32_e32 v1, 0xf000f0, v50
	;; [unrolled: 1-line block ×4, first 2 shown]
	v_lshrrev_b32_e32 v8, 8, v51
	v_or_b32_e32 v0, 0x64006400, v0
	v_or_b32_e32 v1, 0x64006400, v1
	;; [unrolled: 1-line block ×4, first 2 shown]
	v_and_b32_e32 v9, 0xf000f, v8
	v_and_b32_e32 v8, 0xf000f0, v8
	;; [unrolled: 1-line block ×3, first 2 shown]
	v_lshrrev_b32_e32 v50, 8, v52
	v_pk_add_f16 v3, v41, v0
	v_pk_fma_f16 v2, v1, s19, v45 op_sel_hi:[1,0,1]
	v_pk_add_f16 v0, v41, v4
	v_pk_fma_f16 v1, v7, s19, v45 op_sel_hi:[1,0,1]
	v_and_b32_e32 v4, 0xf000f, v51
	v_and_b32_e32 v7, 0xf000f0, v51
	v_or_b32_e32 v9, 0x64006400, v9
	v_or_b32_e32 v10, 0x64006400, v8
	;; [unrolled: 1-line block ×3, first 2 shown]
	v_and_b32_e32 v51, 0xf000f, v50
	v_and_b32_e32 v50, 0xf000f0, v50
	v_pk_add_f16 v8, v43, v9
	v_pk_fma_f16 v9, v10, s19, v48 op_sel_hi:[1,0,1]
	v_and_b32_e32 v10, 0xf000f, v52
	v_or_b32_e32 v52, 0x64006400, v50
	v_pk_fma_f16 v50, v49, s19, v47 op_sel_hi:[1,0,1]
	v_and_b32_e32 v49, 0xf000f, v53
	v_and_b32_e32 v54, 0xf000f0, v53
	v_lshrrev_b32_e32 v53, 8, v53
	v_or_b32_e32 v49, 0x64006400, v49
	v_and_b32_e32 v55, 0xf000f, v53
	v_and_b32_e32 v53, 0xf000f0, v53
	v_or_b32_e32 v56, 0x64006400, v53
	v_pk_add_f16 v53, v44, v49
	v_mov_b32_e32 v49, s6
	ds_read2_b32 v[57:58], v49 offset1:1
	v_or_b32_e32 v4, 0x64006400, v4
	v_or_b32_e32 v7, 0x64006400, v7
	v_pk_add_f16 v4, v43, v4
	v_pk_fma_f16 v7, v7, s19, v48 op_sel_hi:[1,0,1]
	s_waitcnt lgkmcnt(0)
	v_pk_fma_f16 v59, v3, v57, 0
	v_pk_fma_f16 v61, v2, v58, v59
	ds_read2_b32 v[59:60], v49 offset0:2 offset1:3
	v_or_b32_e32 v10, 0x64006400, v10
	v_pk_add_f16 v10, v42, v10
	v_or_b32_e32 v54, 0x64006400, v54
	v_or_b32_e32 v55, 0x64006400, v55
	s_waitcnt lgkmcnt(0)
	v_pk_fma_f16 v61, v0, v59, v61
	v_pk_fma_f16 v61, v1, v60, v61
	v_cvt_f32_f16_e32 v62, v61
	v_cvt_f32_f16_sdwa v61, v61 dst_sel:DWORD dst_unused:UNUSED_PAD src0_sel:WORD_1
	v_pk_fma_f16 v54, v54, s19, v46 op_sel_hi:[1,0,1]
	v_pk_add_f16 v55, v44, v55
	v_pk_fma_f16 v56, v56, s19, v46 op_sel_hi:[1,0,1]
	v_add_f32_e32 v61, v62, v61
	v_fmac_f32_e32 v11, v61, v40
	v_pk_fma_f16 v61, v4, v57, 0
	v_pk_fma_f16 v61, v7, v58, v61
	;; [unrolled: 1-line block ×4, first 2 shown]
	v_cvt_f32_f16_e32 v62, v61
	v_cvt_f32_f16_sdwa v61, v61 dst_sel:DWORD dst_unused:UNUSED_PAD src0_sel:WORD_1
	v_or_b32_e32 v51, 0x64006400, v51
	v_pk_add_f16 v51, v42, v51
	v_pk_fma_f16 v52, v52, s19, v47 op_sel_hi:[1,0,1]
	v_add_f32_e32 v61, v62, v61
	v_fmac_f32_e32 v12, v61, v39
	v_pk_fma_f16 v61, v10, v57, 0
	v_pk_fma_f16 v57, v53, v57, 0
	v_pk_fma_f16 v57, v54, v58, v57
	v_pk_fma_f16 v57, v55, v59, v57
	v_pk_fma_f16 v57, v56, v60, v57
	v_pk_fma_f16 v61, v50, v58, v61
	v_cvt_f32_f16_e32 v58, v57
	v_cvt_f32_f16_sdwa v57, v57 dst_sel:DWORD dst_unused:UNUSED_PAD src0_sel:WORD_1
	v_pk_fma_f16 v61, v51, v59, v61
	v_pk_fma_f16 v61, v52, v60, v61
	v_cvt_f32_f16_e32 v62, v61
	v_add_f32_e32 v57, v58, v57
	v_fmac_f32_e32 v14, v57, v37
	ds_read2_b32 v[57:58], v49 offset0:64 offset1:65
	v_cvt_f32_f16_sdwa v61, v61 dst_sel:DWORD dst_unused:UNUSED_PAD src0_sel:WORD_1
	v_add_f32_e32 v61, v62, v61
	s_waitcnt lgkmcnt(0)
	v_pk_fma_f16 v59, v3, v57, 0
	v_fmac_f32_e32 v13, v61, v38
	v_pk_fma_f16 v61, v2, v58, v59
	ds_read2_b32 v[59:60], v49 offset0:66 offset1:67
	s_waitcnt lgkmcnt(0)
	v_pk_fma_f16 v61, v0, v59, v61
	v_pk_fma_f16 v61, v1, v60, v61
	v_cvt_f32_f16_e32 v62, v61
	v_cvt_f32_f16_sdwa v61, v61 dst_sel:DWORD dst_unused:UNUSED_PAD src0_sel:WORD_1
	v_add_f32_e32 v61, v62, v61
	v_fmac_f32_e32 v15, v61, v40
	v_pk_fma_f16 v61, v4, v57, 0
	v_pk_fma_f16 v61, v7, v58, v61
	v_pk_fma_f16 v61, v8, v59, v61
	v_pk_fma_f16 v61, v9, v60, v61
	v_cvt_f32_f16_e32 v62, v61
	v_cvt_f32_f16_sdwa v61, v61 dst_sel:DWORD dst_unused:UNUSED_PAD src0_sel:WORD_1
	v_add_f32_e32 v61, v62, v61
	v_fmac_f32_e32 v16, v61, v39
	v_pk_fma_f16 v61, v10, v57, 0
	v_pk_fma_f16 v57, v53, v57, 0
	v_pk_fma_f16 v57, v54, v58, v57
	v_pk_fma_f16 v57, v55, v59, v57
	v_pk_fma_f16 v57, v56, v60, v57
	v_pk_fma_f16 v61, v50, v58, v61
	v_cvt_f32_f16_e32 v58, v57
	v_cvt_f32_f16_sdwa v57, v57 dst_sel:DWORD dst_unused:UNUSED_PAD src0_sel:WORD_1
	v_pk_fma_f16 v61, v51, v59, v61
	v_pk_fma_f16 v61, v52, v60, v61
	v_cvt_f32_f16_e32 v62, v61
	v_add_f32_e32 v57, v58, v57
	v_fmac_f32_e32 v18, v57, v37
	ds_read2_b32 v[57:58], v49 offset0:128 offset1:129
	v_cvt_f32_f16_sdwa v61, v61 dst_sel:DWORD dst_unused:UNUSED_PAD src0_sel:WORD_1
	v_add_f32_e32 v61, v62, v61
	s_waitcnt lgkmcnt(0)
	v_pk_fma_f16 v59, v3, v57, 0
	v_fmac_f32_e32 v17, v61, v38
	v_pk_fma_f16 v61, v2, v58, v59
	ds_read2_b32 v[59:60], v49 offset0:130 offset1:131
	s_waitcnt lgkmcnt(0)
	v_pk_fma_f16 v61, v0, v59, v61
	v_pk_fma_f16 v61, v1, v60, v61
	v_cvt_f32_f16_e32 v62, v61
	v_cvt_f32_f16_sdwa v61, v61 dst_sel:DWORD dst_unused:UNUSED_PAD src0_sel:WORD_1
	v_add_f32_e32 v61, v62, v61
	v_fmac_f32_e32 v19, v61, v40
	v_pk_fma_f16 v61, v4, v57, 0
	v_pk_fma_f16 v61, v7, v58, v61
	v_pk_fma_f16 v61, v8, v59, v61
	v_pk_fma_f16 v61, v9, v60, v61
	v_cvt_f32_f16_e32 v62, v61
	v_cvt_f32_f16_sdwa v61, v61 dst_sel:DWORD dst_unused:UNUSED_PAD src0_sel:WORD_1
	v_add_f32_e32 v61, v62, v61
	v_fmac_f32_e32 v20, v61, v39
	v_pk_fma_f16 v61, v10, v57, 0
	v_pk_fma_f16 v57, v53, v57, 0
	v_pk_fma_f16 v57, v54, v58, v57
	v_pk_fma_f16 v57, v55, v59, v57
	v_pk_fma_f16 v57, v56, v60, v57
	v_pk_fma_f16 v61, v50, v58, v61
	v_cvt_f32_f16_e32 v58, v57
	v_cvt_f32_f16_sdwa v57, v57 dst_sel:DWORD dst_unused:UNUSED_PAD src0_sel:WORD_1
	v_pk_fma_f16 v61, v51, v59, v61
	v_pk_fma_f16 v61, v52, v60, v61
	v_cvt_f32_f16_e32 v62, v61
	v_add_f32_e32 v57, v58, v57
	v_fmac_f32_e32 v22, v57, v37
	ds_read2_b32 v[57:58], v49 offset0:192 offset1:193
	v_cvt_f32_f16_sdwa v61, v61 dst_sel:DWORD dst_unused:UNUSED_PAD src0_sel:WORD_1
	v_add_f32_e32 v61, v62, v61
	s_waitcnt lgkmcnt(0)
	v_pk_fma_f16 v59, v3, v57, 0
	v_fmac_f32_e32 v21, v61, v38
	v_pk_fma_f16 v61, v2, v58, v59
	ds_read2_b32 v[59:60], v49 offset0:194 offset1:195
	s_waitcnt lgkmcnt(0)
	v_pk_fma_f16 v61, v0, v59, v61
	v_pk_fma_f16 v61, v1, v60, v61
	v_cvt_f32_f16_e32 v62, v61
	v_cvt_f32_f16_sdwa v61, v61 dst_sel:DWORD dst_unused:UNUSED_PAD src0_sel:WORD_1
	v_add_f32_e32 v61, v62, v61
	v_fmac_f32_e32 v23, v61, v40
	v_pk_fma_f16 v61, v4, v57, 0
	v_pk_fma_f16 v61, v7, v58, v61
	v_pk_fma_f16 v61, v8, v59, v61
	v_pk_fma_f16 v61, v9, v60, v61
	v_cvt_f32_f16_e32 v62, v61
	v_cvt_f32_f16_sdwa v61, v61 dst_sel:DWORD dst_unused:UNUSED_PAD src0_sel:WORD_1
	v_add_f32_e32 v61, v62, v61
	v_fmac_f32_e32 v24, v61, v39
	v_pk_fma_f16 v61, v10, v57, 0
	v_pk_fma_f16 v57, v53, v57, 0
	;; [unrolled: 1-line block ×6, first 2 shown]
	v_cvt_f32_f16_e32 v58, v57
	v_cvt_f32_f16_sdwa v57, v57 dst_sel:DWORD dst_unused:UNUSED_PAD src0_sel:WORD_1
	v_pk_fma_f16 v61, v51, v59, v61
	v_pk_fma_f16 v61, v52, v60, v61
	v_cvt_f32_f16_e32 v62, v61
	v_add_f32_e32 v57, v58, v57
	v_fmac_f32_e32 v28, v57, v37
	v_mov_b32_e32 v57, s9
	ds_read2_b32 v[57:58], v57 offset1:1
	v_cvt_f32_f16_sdwa v61, v61 dst_sel:DWORD dst_unused:UNUSED_PAD src0_sel:WORD_1
	s_add_i32 s9, s6, 0x408
	v_add_f32_e32 v61, v62, v61
	s_waitcnt lgkmcnt(0)
	v_pk_fma_f16 v59, v3, v57, 0
	v_fmac_f32_e32 v27, v61, v38
	v_pk_fma_f16 v61, v2, v58, v59
	v_mov_b32_e32 v59, s9
	ds_read2_b32 v[59:60], v59 offset1:1
	s_add_i32 s9, s6, 0x500
	s_waitcnt lgkmcnt(0)
	v_pk_fma_f16 v61, v0, v59, v61
	v_pk_fma_f16 v61, v1, v60, v61
	v_cvt_f32_f16_e32 v62, v61
	v_cvt_f32_f16_sdwa v61, v61 dst_sel:DWORD dst_unused:UNUSED_PAD src0_sel:WORD_1
	v_add_f32_e32 v61, v62, v61
	v_fmac_f32_e32 v29, v61, v40
	v_pk_fma_f16 v61, v4, v57, 0
	v_pk_fma_f16 v61, v7, v58, v61
	;; [unrolled: 1-line block ×4, first 2 shown]
	v_cvt_f32_f16_e32 v62, v61
	v_cvt_f32_f16_sdwa v61, v61 dst_sel:DWORD dst_unused:UNUSED_PAD src0_sel:WORD_1
	v_add_f32_e32 v61, v62, v61
	v_fmac_f32_e32 v30, v61, v39
	v_pk_fma_f16 v61, v10, v57, 0
	v_pk_fma_f16 v57, v53, v57, 0
	;; [unrolled: 1-line block ×6, first 2 shown]
	v_cvt_f32_f16_e32 v58, v57
	v_cvt_f32_f16_sdwa v57, v57 dst_sel:DWORD dst_unused:UNUSED_PAD src0_sel:WORD_1
	v_pk_fma_f16 v61, v51, v59, v61
	v_pk_fma_f16 v61, v52, v60, v61
	v_cvt_f32_f16_e32 v62, v61
	v_add_f32_e32 v57, v58, v57
	v_fmac_f32_e32 v32, v57, v37
	v_mov_b32_e32 v57, s9
	ds_read2_b32 v[57:58], v57 offset1:1
	s_add_i32 s9, s6, 0x508
	v_cvt_f32_f16_sdwa v61, v61 dst_sel:DWORD dst_unused:UNUSED_PAD src0_sel:WORD_1
	s_waitcnt lgkmcnt(0)
	v_pk_fma_f16 v3, v3, v57, 0
	v_pk_fma_f16 v59, v2, v58, v3
	v_mov_b32_e32 v2, s9
	ds_read2_b32 v[2:3], v2 offset1:1
	v_add_f32_e32 v61, v62, v61
	v_fmac_f32_e32 v31, v61, v38
	s_add_i32 s9, s6, 0x410
	s_waitcnt lgkmcnt(0)
	v_pk_fma_f16 v0, v0, v2, v59
	v_pk_fma_f16 v0, v1, v3, v0
	v_cvt_f32_f16_e32 v1, v0
	v_cvt_f32_f16_sdwa v0, v0 dst_sel:DWORD dst_unused:UNUSED_PAD src0_sel:WORD_1
	v_add_f32_e32 v0, v1, v0
	v_fmac_f32_e32 v33, v0, v40
	v_pk_fma_f16 v0, v4, v57, 0
	v_pk_fma_f16 v0, v7, v58, v0
	;; [unrolled: 1-line block ×4, first 2 shown]
	v_cvt_f32_f16_e32 v1, v0
	v_cvt_f32_f16_sdwa v0, v0 dst_sel:DWORD dst_unused:UNUSED_PAD src0_sel:WORD_1
	v_add_f32_e32 v0, v1, v0
	v_fmac_f32_e32 v34, v0, v39
	v_pk_fma_f16 v0, v10, v57, 0
	v_pk_fma_f16 v0, v50, v58, v0
	;; [unrolled: 1-line block ×4, first 2 shown]
	v_cvt_f32_f16_e32 v1, v0
	v_cvt_f32_f16_sdwa v0, v0 dst_sel:DWORD dst_unused:UNUSED_PAD src0_sel:WORD_1
	v_mov_b32_e32 v50, s3
	v_add_f32_e32 v0, v1, v0
	v_fmac_f32_e32 v35, v0, v38
	v_pk_fma_f16 v0, v53, v57, 0
	v_pk_fma_f16 v0, v54, v58, v0
	;; [unrolled: 1-line block ×4, first 2 shown]
	v_cvt_f32_f16_e32 v1, v0
	v_cvt_f32_f16_sdwa v0, v0 dst_sel:DWORD dst_unused:UNUSED_PAD src0_sel:WORD_1
	v_add_f32_e32 v0, v1, v0
	v_fmac_f32_e32 v36, v0, v37
	v_add_co_u32_e32 v0, vcc, s2, v5
	v_addc_co_u32_e32 v1, vcc, v6, v50, vcc
	global_load_dwordx4 v[51:54], v[0:1], off
	s_waitcnt vmcnt(0)
	v_lshrrev_b32_e32 v4, 8, v51
	v_and_b32_e32 v2, 0xf000f, v51
	v_and_b32_e32 v3, 0xf000f0, v51
	;; [unrolled: 1-line block ×3, first 2 shown]
	v_or_b32_e32 v2, 0x64006400, v2
	v_or_b32_e32 v3, 0x64006400, v3
	;; [unrolled: 1-line block ×3, first 2 shown]
	v_and_b32_e32 v4, 0xf000f0, v4
	v_or_b32_e32 v8, 0x64006400, v4
	v_pk_add_f16 v10, v41, v2
	v_pk_fma_f16 v4, v3, s19, v45 op_sel_hi:[1,0,1]
	v_pk_add_f16 v63, v41, v7
	v_and_b32_e32 v2, 0xf000f, v52
	v_and_b32_e32 v3, 0xf000f0, v52
	v_lshrrev_b32_e32 v7, 8, v52
	v_pk_fma_f16 v9, v8, s19, v45 op_sel_hi:[1,0,1]
	v_or_b32_e32 v2, 0x64006400, v2
	v_or_b32_e32 v3, 0x64006400, v3
	v_and_b32_e32 v8, 0xf000f, v7
	v_and_b32_e32 v7, 0xf000f0, v7
	v_or_b32_e32 v7, 0x64006400, v7
	v_pk_add_f16 v59, v43, v2
	v_pk_fma_f16 v60, v3, s19, v48 op_sel_hi:[1,0,1]
	v_and_b32_e32 v2, 0xf000f, v53
	v_and_b32_e32 v3, 0xf000f0, v53
	v_or_b32_e32 v8, 0x64006400, v8
	v_pk_fma_f16 v62, v7, s19, v48 op_sel_hi:[1,0,1]
	v_or_b32_e32 v2, 0x64006400, v2
	v_or_b32_e32 v3, 0x64006400, v3
	v_lshrrev_b32_e32 v7, 8, v53
	v_pk_add_f16 v61, v43, v8
	v_and_b32_e32 v8, 0xf000f, v7
	v_and_b32_e32 v7, 0xf000f0, v7
	v_pk_add_f16 v55, v42, v2
	v_pk_fma_f16 v56, v3, s19, v47 op_sel_hi:[1,0,1]
	v_and_b32_e32 v2, 0xf000f, v54
	v_and_b32_e32 v3, 0xf000f0, v54
	v_or_b32_e32 v7, 0x64006400, v7
	v_or_b32_e32 v2, 0x64006400, v2
	;; [unrolled: 1-line block ×3, first 2 shown]
	v_pk_fma_f16 v58, v7, s19, v47 op_sel_hi:[1,0,1]
	v_lshrrev_b32_e32 v7, 8, v54
	v_pk_add_f16 v53, v44, v2
	v_pk_fma_f16 v54, v3, s19, v46 op_sel_hi:[1,0,1]
	ds_read2_b32 v[2:3], v49 offset0:4 offset1:5
	v_or_b32_e32 v8, 0x64006400, v8
	v_pk_add_f16 v57, v42, v8
	v_and_b32_e32 v8, 0xf000f, v7
	v_and_b32_e32 v7, 0xf000f0, v7
	v_or_b32_e32 v7, 0x64006400, v7
	v_or_b32_e32 v8, 0x64006400, v8
	v_pk_fma_f16 v52, v7, s19, v46 op_sel_hi:[1,0,1]
	s_waitcnt lgkmcnt(0)
	v_pk_fma_f16 v7, v10, v2, 0
	v_pk_add_f16 v51, v44, v8
	v_pk_fma_f16 v25, v4, v3, v7
	ds_read2_b32 v[7:8], v49 offset0:6 offset1:7
	s_waitcnt lgkmcnt(0)
	v_pk_fma_f16 v25, v63, v7, v25
	v_pk_fma_f16 v25, v9, v8, v25
	v_cvt_f32_f16_e32 v26, v25
	v_cvt_f32_f16_sdwa v25, v25 dst_sel:DWORD dst_unused:UNUSED_PAD src0_sel:WORD_1
	v_add_f32_e32 v25, v26, v25
	v_fmac_f32_e32 v11, v25, v40
	v_pk_fma_f16 v25, v59, v2, 0
	v_pk_fma_f16 v25, v60, v3, v25
	v_pk_fma_f16 v25, v61, v7, v25
	v_pk_fma_f16 v25, v62, v8, v25
	v_cvt_f32_f16_e32 v26, v25
	v_cvt_f32_f16_sdwa v25, v25 dst_sel:DWORD dst_unused:UNUSED_PAD src0_sel:WORD_1
	v_add_f32_e32 v25, v26, v25
	v_fmac_f32_e32 v12, v25, v39
	v_pk_fma_f16 v25, v55, v2, 0
	v_pk_fma_f16 v2, v53, v2, 0
	v_pk_fma_f16 v2, v54, v3, v2
	v_pk_fma_f16 v2, v51, v7, v2
	v_pk_fma_f16 v2, v52, v8, v2
	v_pk_fma_f16 v25, v56, v3, v25
	v_cvt_f32_f16_e32 v3, v2
	v_cvt_f32_f16_sdwa v2, v2 dst_sel:DWORD dst_unused:UNUSED_PAD src0_sel:WORD_1
	v_pk_fma_f16 v25, v57, v7, v25
	v_pk_fma_f16 v25, v58, v8, v25
	v_cvt_f32_f16_e32 v26, v25
	v_add_f32_e32 v2, v3, v2
	v_fmac_f32_e32 v14, v2, v37
	ds_read2_b32 v[2:3], v49 offset0:68 offset1:69
	v_cvt_f32_f16_sdwa v25, v25 dst_sel:DWORD dst_unused:UNUSED_PAD src0_sel:WORD_1
	v_add_f32_e32 v25, v26, v25
	s_waitcnt lgkmcnt(0)
	v_pk_fma_f16 v7, v10, v2, 0
	v_fmac_f32_e32 v13, v25, v38
	v_pk_fma_f16 v25, v4, v3, v7
	ds_read2_b32 v[7:8], v49 offset0:70 offset1:71
	s_waitcnt lgkmcnt(0)
	v_pk_fma_f16 v25, v63, v7, v25
	v_pk_fma_f16 v25, v9, v8, v25
	v_cvt_f32_f16_e32 v26, v25
	v_cvt_f32_f16_sdwa v25, v25 dst_sel:DWORD dst_unused:UNUSED_PAD src0_sel:WORD_1
	v_add_f32_e32 v25, v26, v25
	v_fmac_f32_e32 v15, v25, v40
	v_pk_fma_f16 v25, v59, v2, 0
	v_pk_fma_f16 v25, v60, v3, v25
	v_pk_fma_f16 v25, v61, v7, v25
	v_pk_fma_f16 v25, v62, v8, v25
	v_cvt_f32_f16_e32 v26, v25
	v_cvt_f32_f16_sdwa v25, v25 dst_sel:DWORD dst_unused:UNUSED_PAD src0_sel:WORD_1
	v_add_f32_e32 v25, v26, v25
	v_fmac_f32_e32 v16, v25, v39
	v_pk_fma_f16 v25, v55, v2, 0
	v_pk_fma_f16 v2, v53, v2, 0
	v_pk_fma_f16 v2, v54, v3, v2
	v_pk_fma_f16 v2, v51, v7, v2
	v_pk_fma_f16 v2, v52, v8, v2
	v_pk_fma_f16 v25, v56, v3, v25
	v_cvt_f32_f16_e32 v3, v2
	v_cvt_f32_f16_sdwa v2, v2 dst_sel:DWORD dst_unused:UNUSED_PAD src0_sel:WORD_1
	v_pk_fma_f16 v25, v57, v7, v25
	v_pk_fma_f16 v25, v58, v8, v25
	v_cvt_f32_f16_e32 v26, v25
	v_add_f32_e32 v2, v3, v2
	v_fmac_f32_e32 v18, v2, v37
	ds_read2_b32 v[2:3], v49 offset0:132 offset1:133
	v_cvt_f32_f16_sdwa v25, v25 dst_sel:DWORD dst_unused:UNUSED_PAD src0_sel:WORD_1
	v_add_f32_e32 v25, v26, v25
	s_waitcnt lgkmcnt(0)
	v_pk_fma_f16 v7, v10, v2, 0
	v_fmac_f32_e32 v17, v25, v38
	;; [unrolled: 36-line block ×3, first 2 shown]
	v_pk_fma_f16 v25, v4, v3, v7
	ds_read2_b32 v[7:8], v49 offset0:198 offset1:199
	s_waitcnt lgkmcnt(0)
	v_pk_fma_f16 v25, v63, v7, v25
	v_pk_fma_f16 v25, v9, v8, v25
	v_cvt_f32_f16_e32 v26, v25
	v_cvt_f32_f16_sdwa v25, v25 dst_sel:DWORD dst_unused:UNUSED_PAD src0_sel:WORD_1
	v_add_f32_e32 v25, v26, v25
	v_fmac_f32_e32 v23, v25, v40
	v_pk_fma_f16 v25, v59, v2, 0
	v_pk_fma_f16 v25, v60, v3, v25
	;; [unrolled: 1-line block ×4, first 2 shown]
	v_cvt_f32_f16_e32 v26, v25
	v_cvt_f32_f16_sdwa v25, v25 dst_sel:DWORD dst_unused:UNUSED_PAD src0_sel:WORD_1
	v_add_f32_e32 v25, v26, v25
	v_fmac_f32_e32 v24, v25, v39
	v_pk_fma_f16 v25, v55, v2, 0
	v_pk_fma_f16 v2, v53, v2, 0
	;; [unrolled: 1-line block ×6, first 2 shown]
	v_cvt_f32_f16_e32 v3, v2
	v_cvt_f32_f16_sdwa v2, v2 dst_sel:DWORD dst_unused:UNUSED_PAD src0_sel:WORD_1
	v_pk_fma_f16 v25, v57, v7, v25
	v_pk_fma_f16 v25, v58, v8, v25
	v_cvt_f32_f16_e32 v26, v25
	v_add_f32_e32 v2, v3, v2
	v_fmac_f32_e32 v28, v2, v37
	v_mov_b32_e32 v2, s9
	ds_read2_b32 v[2:3], v2 offset1:1
	v_cvt_f32_f16_sdwa v25, v25 dst_sel:DWORD dst_unused:UNUSED_PAD src0_sel:WORD_1
	s_add_i32 s9, s6, 0x418
	v_add_f32_e32 v25, v26, v25
	s_waitcnt lgkmcnt(0)
	v_pk_fma_f16 v7, v10, v2, 0
	v_fmac_f32_e32 v27, v25, v38
	v_pk_fma_f16 v25, v4, v3, v7
	v_mov_b32_e32 v7, s9
	ds_read2_b32 v[7:8], v7 offset1:1
	s_add_i32 s9, s6, 0x510
	s_waitcnt lgkmcnt(0)
	v_pk_fma_f16 v25, v63, v7, v25
	v_pk_fma_f16 v25, v9, v8, v25
	v_cvt_f32_f16_e32 v26, v25
	v_cvt_f32_f16_sdwa v25, v25 dst_sel:DWORD dst_unused:UNUSED_PAD src0_sel:WORD_1
	v_add_f32_e32 v25, v26, v25
	v_fmac_f32_e32 v29, v25, v40
	v_pk_fma_f16 v25, v59, v2, 0
	v_pk_fma_f16 v25, v60, v3, v25
	;; [unrolled: 1-line block ×4, first 2 shown]
	v_cvt_f32_f16_e32 v26, v25
	v_cvt_f32_f16_sdwa v25, v25 dst_sel:DWORD dst_unused:UNUSED_PAD src0_sel:WORD_1
	v_add_f32_e32 v25, v26, v25
	v_fmac_f32_e32 v30, v25, v39
	v_pk_fma_f16 v25, v55, v2, 0
	v_pk_fma_f16 v2, v53, v2, 0
	;; [unrolled: 1-line block ×6, first 2 shown]
	v_cvt_f32_f16_e32 v3, v2
	v_cvt_f32_f16_sdwa v2, v2 dst_sel:DWORD dst_unused:UNUSED_PAD src0_sel:WORD_1
	v_pk_fma_f16 v25, v57, v7, v25
	v_pk_fma_f16 v25, v58, v8, v25
	v_cvt_f32_f16_e32 v26, v25
	v_add_f32_e32 v2, v3, v2
	v_fmac_f32_e32 v32, v2, v37
	v_mov_b32_e32 v2, s9
	ds_read2_b32 v[7:8], v2 offset1:1
	s_add_i32 s9, s6, 0x518
	v_cvt_f32_f16_sdwa v25, v25 dst_sel:DWORD dst_unused:UNUSED_PAD src0_sel:WORD_1
	s_waitcnt lgkmcnt(0)
	v_pk_fma_f16 v2, v10, v7, 0
	v_pk_fma_f16 v4, v4, v8, v2
	v_mov_b32_e32 v2, s9
	ds_read2_b32 v[2:3], v2 offset1:1
	v_add_f32_e32 v25, v26, v25
	v_fmac_f32_e32 v31, v25, v38
	s_add_i32 s9, s6, 0x420
	s_waitcnt lgkmcnt(0)
	v_pk_fma_f16 v4, v63, v2, v4
	v_pk_fma_f16 v4, v9, v3, v4
	v_cvt_f32_f16_e32 v9, v4
	v_cvt_f32_f16_sdwa v4, v4 dst_sel:DWORD dst_unused:UNUSED_PAD src0_sel:WORD_1
	v_add_f32_e32 v4, v9, v4
	v_fmac_f32_e32 v33, v4, v40
	v_pk_fma_f16 v4, v59, v7, 0
	v_pk_fma_f16 v4, v60, v8, v4
	;; [unrolled: 1-line block ×4, first 2 shown]
	v_cvt_f32_f16_e32 v9, v4
	v_cvt_f32_f16_sdwa v4, v4 dst_sel:DWORD dst_unused:UNUSED_PAD src0_sel:WORD_1
	ds_read2_b32 v[60:61], v49 offset0:8 offset1:9
	ds_read2_b32 v[62:63], v49 offset0:10 offset1:11
	v_add_f32_e32 v4, v9, v4
	v_fmac_f32_e32 v34, v4, v39
	v_pk_fma_f16 v4, v55, v7, 0
	v_pk_fma_f16 v4, v56, v8, v4
	;; [unrolled: 1-line block ×4, first 2 shown]
	v_cvt_f32_f16_e32 v9, v4
	v_cvt_f32_f16_sdwa v4, v4 dst_sel:DWORD dst_unused:UNUSED_PAD src0_sel:WORD_1
	v_add_f32_e32 v4, v9, v4
	v_fmac_f32_e32 v35, v4, v38
	v_pk_fma_f16 v4, v53, v7, 0
	v_pk_fma_f16 v4, v54, v8, v4
	;; [unrolled: 1-line block ×4, first 2 shown]
	v_cvt_f32_f16_e32 v3, v2
	v_cvt_f32_f16_sdwa v2, v2 dst_sel:DWORD dst_unused:UNUSED_PAD src0_sel:WORD_1
	v_add_co_u32_e32 v7, vcc, s2, v0
	v_addc_co_u32_e32 v8, vcc, v1, v50, vcc
	v_add_f32_e32 v2, v3, v2
	v_fmac_f32_e32 v36, v2, v37
	global_load_dwordx4 v[0:3], v[7:8], off
	s_waitcnt vmcnt(0)
	v_and_b32_e32 v4, 0xf000f, v0
	v_and_b32_e32 v9, 0xf000f0, v0
	v_lshrrev_b32_e32 v0, 8, v0
	v_and_b32_e32 v10, 0xf000f, v0
	v_and_b32_e32 v0, 0xf000f0, v0
	v_or_b32_e32 v4, 0x64006400, v4
	v_or_b32_e32 v25, 0x64006400, v10
	;; [unrolled: 1-line block ×3, first 2 shown]
	v_pk_add_f16 v10, v41, v4
	v_pk_add_f16 v0, v41, v25
	v_pk_fma_f16 v4, v26, s19, v45 op_sel_hi:[1,0,1]
	v_and_b32_e32 v25, 0xf000f, v1
	v_and_b32_e32 v26, 0xf000f0, v1
	v_lshrrev_b32_e32 v1, 8, v1
	v_or_b32_e32 v25, 0x64006400, v25
	v_or_b32_e32 v26, 0x64006400, v26
	v_and_b32_e32 v51, 0xf000f, v1
	v_and_b32_e32 v1, 0xf000f0, v1
	v_or_b32_e32 v52, 0x64006400, v51
	v_or_b32_e32 v53, 0x64006400, v1
	v_pk_add_f16 v1, v43, v25
	v_pk_fma_f16 v51, v26, s19, v48 op_sel_hi:[1,0,1]
	v_and_b32_e32 v25, 0xf000f, v2
	v_and_b32_e32 v26, 0xf000f0, v2
	v_lshrrev_b32_e32 v2, 8, v2
	v_or_b32_e32 v25, 0x64006400, v25
	v_or_b32_e32 v26, 0x64006400, v26
	v_and_b32_e32 v54, 0xf000f, v2
	v_and_b32_e32 v2, 0xf000f0, v2
	v_or_b32_e32 v55, 0x64006400, v54
	v_or_b32_e32 v56, 0x64006400, v2
	v_pk_add_f16 v2, v42, v25
	v_pk_fma_f16 v54, v26, s19, v47 op_sel_hi:[1,0,1]
	v_and_b32_e32 v25, 0xf000f, v3
	v_and_b32_e32 v26, 0xf000f0, v3
	v_lshrrev_b32_e32 v3, 8, v3
	v_or_b32_e32 v9, 0x64006400, v9
	v_or_b32_e32 v25, 0x64006400, v25
	v_and_b32_e32 v57, 0xf000f, v3
	v_and_b32_e32 v3, 0xf000f0, v3
	v_pk_fma_f16 v9, v9, s19, v45 op_sel_hi:[1,0,1]
	v_or_b32_e32 v59, 0x64006400, v3
	v_pk_add_f16 v3, v44, v25
	s_waitcnt lgkmcnt(1)
	v_pk_fma_f16 v25, v10, v60, 0
	v_pk_fma_f16 v25, v9, v61, v25
	s_waitcnt lgkmcnt(0)
	v_pk_fma_f16 v25, v0, v62, v25
	v_or_b32_e32 v26, 0x64006400, v26
	v_pk_fma_f16 v25, v4, v63, v25
	v_or_b32_e32 v58, 0x64006400, v57
	v_pk_fma_f16 v57, v26, s19, v46 op_sel_hi:[1,0,1]
	v_cvt_f32_f16_e32 v26, v25
	v_cvt_f32_f16_sdwa v25, v25 dst_sel:DWORD dst_unused:UNUSED_PAD src0_sel:WORD_1
	v_pk_add_f16 v52, v43, v52
	v_pk_fma_f16 v53, v53, s19, v48 op_sel_hi:[1,0,1]
	v_pk_add_f16 v55, v42, v55
	v_add_f32_e32 v25, v26, v25
	v_fmac_f32_e32 v11, v25, v40
	v_pk_fma_f16 v25, v1, v60, 0
	v_pk_fma_f16 v25, v51, v61, v25
	;; [unrolled: 1-line block ×4, first 2 shown]
	v_cvt_f32_f16_e32 v26, v25
	v_cvt_f32_f16_sdwa v25, v25 dst_sel:DWORD dst_unused:UNUSED_PAD src0_sel:WORD_1
	v_pk_fma_f16 v56, v56, s19, v47 op_sel_hi:[1,0,1]
	v_pk_add_f16 v58, v44, v58
	v_pk_fma_f16 v59, v59, s19, v46 op_sel_hi:[1,0,1]
	v_add_f32_e32 v25, v26, v25
	v_fmac_f32_e32 v12, v25, v39
	v_pk_fma_f16 v25, v2, v60, 0
	v_pk_fma_f16 v25, v54, v61, v25
	v_pk_fma_f16 v25, v55, v62, v25
	v_pk_fma_f16 v25, v56, v63, v25
	v_cvt_f32_f16_e32 v26, v25
	v_cvt_f32_f16_sdwa v25, v25 dst_sel:DWORD dst_unused:UNUSED_PAD src0_sel:WORD_1
	v_add_f32_e32 v25, v26, v25
	v_fmac_f32_e32 v13, v25, v38
	v_pk_fma_f16 v25, v3, v60, 0
	v_pk_fma_f16 v25, v57, v61, v25
	v_pk_fma_f16 v25, v58, v62, v25
	v_pk_fma_f16 v25, v59, v63, v25
	v_cvt_f32_f16_e32 v26, v25
	v_cvt_f32_f16_sdwa v25, v25 dst_sel:DWORD dst_unused:UNUSED_PAD src0_sel:WORD_1
	ds_read2_b32 v[60:61], v49 offset0:72 offset1:73
	ds_read2_b32 v[62:63], v49 offset0:74 offset1:75
	v_add_f32_e32 v25, v26, v25
	v_fmac_f32_e32 v14, v25, v37
	s_waitcnt lgkmcnt(1)
	v_pk_fma_f16 v25, v10, v60, 0
	v_pk_fma_f16 v25, v9, v61, v25
	s_waitcnt lgkmcnt(0)
	v_pk_fma_f16 v25, v0, v62, v25
	v_pk_fma_f16 v25, v4, v63, v25
	v_cvt_f32_f16_e32 v26, v25
	v_cvt_f32_f16_sdwa v25, v25 dst_sel:DWORD dst_unused:UNUSED_PAD src0_sel:WORD_1
	v_add_f32_e32 v25, v26, v25
	v_fmac_f32_e32 v15, v25, v40
	v_pk_fma_f16 v25, v1, v60, 0
	v_pk_fma_f16 v25, v51, v61, v25
	v_pk_fma_f16 v25, v52, v62, v25
	v_pk_fma_f16 v25, v53, v63, v25
	v_cvt_f32_f16_e32 v26, v25
	v_cvt_f32_f16_sdwa v25, v25 dst_sel:DWORD dst_unused:UNUSED_PAD src0_sel:WORD_1
	v_add_f32_e32 v25, v26, v25
	v_fmac_f32_e32 v16, v25, v39
	v_pk_fma_f16 v25, v2, v60, 0
	v_pk_fma_f16 v25, v54, v61, v25
	v_pk_fma_f16 v25, v55, v62, v25
	v_pk_fma_f16 v25, v56, v63, v25
	v_cvt_f32_f16_e32 v26, v25
	v_cvt_f32_f16_sdwa v25, v25 dst_sel:DWORD dst_unused:UNUSED_PAD src0_sel:WORD_1
	v_add_f32_e32 v25, v26, v25
	v_fmac_f32_e32 v17, v25, v38
	v_pk_fma_f16 v25, v3, v60, 0
	v_pk_fma_f16 v25, v57, v61, v25
	v_pk_fma_f16 v25, v58, v62, v25
	v_pk_fma_f16 v25, v59, v63, v25
	v_cvt_f32_f16_e32 v26, v25
	v_cvt_f32_f16_sdwa v25, v25 dst_sel:DWORD dst_unused:UNUSED_PAD src0_sel:WORD_1
	ds_read2_b32 v[60:61], v49 offset0:136 offset1:137
	ds_read2_b32 v[62:63], v49 offset0:138 offset1:139
	v_add_f32_e32 v25, v26, v25
	v_fmac_f32_e32 v18, v25, v37
	s_waitcnt lgkmcnt(1)
	v_pk_fma_f16 v25, v10, v60, 0
	v_pk_fma_f16 v25, v9, v61, v25
	s_waitcnt lgkmcnt(0)
	v_pk_fma_f16 v25, v0, v62, v25
	v_pk_fma_f16 v25, v4, v63, v25
	v_cvt_f32_f16_e32 v26, v25
	v_cvt_f32_f16_sdwa v25, v25 dst_sel:DWORD dst_unused:UNUSED_PAD src0_sel:WORD_1
	v_add_f32_e32 v25, v26, v25
	v_fmac_f32_e32 v19, v25, v40
	v_pk_fma_f16 v25, v1, v60, 0
	v_pk_fma_f16 v25, v51, v61, v25
	v_pk_fma_f16 v25, v52, v62, v25
	v_pk_fma_f16 v25, v53, v63, v25
	v_cvt_f32_f16_e32 v26, v25
	v_cvt_f32_f16_sdwa v25, v25 dst_sel:DWORD dst_unused:UNUSED_PAD src0_sel:WORD_1
	;; [unrolled: 36-line block ×3, first 2 shown]
	v_add_f32_e32 v25, v26, v25
	v_fmac_f32_e32 v24, v25, v39
	v_pk_fma_f16 v25, v2, v60, 0
	v_pk_fma_f16 v25, v54, v61, v25
	;; [unrolled: 1-line block ×4, first 2 shown]
	v_cvt_f32_f16_e32 v26, v25
	v_cvt_f32_f16_sdwa v25, v25 dst_sel:DWORD dst_unused:UNUSED_PAD src0_sel:WORD_1
	v_add_f32_e32 v25, v26, v25
	v_fmac_f32_e32 v27, v25, v38
	v_pk_fma_f16 v25, v3, v60, 0
	v_pk_fma_f16 v25, v57, v61, v25
	;; [unrolled: 1-line block ×4, first 2 shown]
	v_cvt_f32_f16_e32 v26, v25
	v_cvt_f32_f16_sdwa v25, v25 dst_sel:DWORD dst_unused:UNUSED_PAD src0_sel:WORD_1
	v_add_f32_e32 v25, v26, v25
	v_fmac_f32_e32 v28, v25, v37
	v_mov_b32_e32 v25, s9
	ds_read2_b32 v[60:61], v25 offset1:1
	s_add_i32 s9, s6, 0x428
	v_mov_b32_e32 v26, s9
	ds_read2_b32 v[62:63], v26 offset1:1
	s_add_i32 s9, s6, 0x520
	s_waitcnt lgkmcnt(1)
	v_pk_fma_f16 v25, v10, v60, 0
	v_pk_fma_f16 v25, v9, v61, v25
	s_waitcnt lgkmcnt(0)
	v_pk_fma_f16 v25, v0, v62, v25
	v_pk_fma_f16 v25, v4, v63, v25
	v_cvt_f32_f16_e32 v26, v25
	v_cvt_f32_f16_sdwa v25, v25 dst_sel:DWORD dst_unused:UNUSED_PAD src0_sel:WORD_1
	v_add_f32_e32 v25, v26, v25
	v_fmac_f32_e32 v29, v25, v40
	v_pk_fma_f16 v25, v1, v60, 0
	v_pk_fma_f16 v25, v51, v61, v25
	v_pk_fma_f16 v25, v52, v62, v25
	v_pk_fma_f16 v25, v53, v63, v25
	v_cvt_f32_f16_e32 v26, v25
	v_cvt_f32_f16_sdwa v25, v25 dst_sel:DWORD dst_unused:UNUSED_PAD src0_sel:WORD_1
	v_add_f32_e32 v25, v26, v25
	v_fmac_f32_e32 v30, v25, v39
	v_pk_fma_f16 v25, v2, v60, 0
	v_pk_fma_f16 v25, v54, v61, v25
	;; [unrolled: 8-line block ×3, first 2 shown]
	v_pk_fma_f16 v25, v58, v62, v25
	v_pk_fma_f16 v25, v59, v63, v25
	v_cvt_f32_f16_e32 v26, v25
	v_cvt_f32_f16_sdwa v25, v25 dst_sel:DWORD dst_unused:UNUSED_PAD src0_sel:WORD_1
	v_add_f32_e32 v25, v26, v25
	v_fmac_f32_e32 v32, v25, v37
	v_mov_b32_e32 v25, s9
	ds_read2_b32 v[60:61], v25 offset1:1
	s_add_i32 s9, s6, 0x528
	s_waitcnt lgkmcnt(0)
	v_pk_fma_f16 v10, v10, v60, 0
	v_pk_fma_f16 v25, v9, v61, v10
	v_mov_b32_e32 v9, s9
	ds_read2_b32 v[9:10], v9 offset1:1
	s_add_i32 s9, s6, 0x430
	s_waitcnt lgkmcnt(0)
	v_pk_fma_f16 v0, v0, v9, v25
	v_pk_fma_f16 v0, v4, v10, v0
	v_cvt_f32_f16_e32 v4, v0
	v_cvt_f32_f16_sdwa v0, v0 dst_sel:DWORD dst_unused:UNUSED_PAD src0_sel:WORD_1
	v_add_f32_e32 v0, v4, v0
	v_fmac_f32_e32 v33, v0, v40
	v_pk_fma_f16 v0, v1, v60, 0
	v_pk_fma_f16 v0, v51, v61, v0
	v_pk_fma_f16 v0, v52, v9, v0
	v_pk_fma_f16 v0, v53, v10, v0
	v_cvt_f32_f16_e32 v1, v0
	v_cvt_f32_f16_sdwa v0, v0 dst_sel:DWORD dst_unused:UNUSED_PAD src0_sel:WORD_1
	v_add_f32_e32 v0, v1, v0
	v_fmac_f32_e32 v34, v0, v39
	v_pk_fma_f16 v0, v2, v60, 0
	v_pk_fma_f16 v0, v54, v61, v0
	;; [unrolled: 8-line block ×3, first 2 shown]
	v_pk_fma_f16 v0, v58, v9, v0
	v_pk_fma_f16 v0, v59, v10, v0
	v_cvt_f32_f16_e32 v1, v0
	v_cvt_f32_f16_sdwa v0, v0 dst_sel:DWORD dst_unused:UNUSED_PAD src0_sel:WORD_1
	v_add_f32_e32 v0, v1, v0
	v_fmac_f32_e32 v36, v0, v37
	v_add_co_u32_e32 v0, vcc, s2, v7
	v_addc_co_u32_e32 v1, vcc, v8, v50, vcc
	global_load_dwordx4 v[0:3], v[0:1], off
	v_add_co_u32_e32 v5, vcc, s0, v5
	s_waitcnt vmcnt(0)
	v_and_b32_e32 v4, 0xf000f, v0
	v_and_b32_e32 v7, 0xf000f0, v0
	v_lshrrev_b32_e32 v0, 8, v0
	v_and_b32_e32 v8, 0xf000f, v0
	v_and_b32_e32 v0, 0xf000f0, v0
	v_or_b32_e32 v4, 0x64006400, v4
	v_or_b32_e32 v0, 0x64006400, v0
	;; [unrolled: 1-line block ×3, first 2 shown]
	v_pk_add_f16 v63, v41, v4
	v_pk_fma_f16 v61, v0, s19, v45 op_sel_hi:[1,0,1]
	v_and_b32_e32 v0, 0xf000f, v1
	v_and_b32_e32 v4, 0xf000f0, v1
	v_lshrrev_b32_e32 v1, 8, v1
	v_pk_fma_f16 v62, v7, s19, v45 op_sel_hi:[1,0,1]
	v_and_b32_e32 v7, 0xf000f, v1
	v_and_b32_e32 v1, 0xf000f0, v1
	v_or_b32_e32 v0, 0x64006400, v0
	v_or_b32_e32 v1, 0x64006400, v1
	v_pk_add_f16 v56, v43, v0
	v_pk_fma_f16 v59, v1, s19, v48 op_sel_hi:[1,0,1]
	v_and_b32_e32 v0, 0xf000f, v2
	v_and_b32_e32 v1, 0xf000f0, v2
	v_or_b32_e32 v0, 0x64006400, v0
	v_or_b32_e32 v1, 0x64006400, v1
	v_pk_add_f16 v52, v42, v0
	v_pk_fma_f16 v53, v1, s19, v47 op_sel_hi:[1,0,1]
	v_and_b32_e32 v0, 0xf000f, v3
	v_and_b32_e32 v1, 0xf000f0, v3
	v_or_b32_e32 v4, 0x64006400, v4
	v_lshrrev_b32_e32 v2, 8, v2
	v_or_b32_e32 v0, 0x64006400, v0
	v_or_b32_e32 v1, 0x64006400, v1
	v_pk_fma_f16 v57, v4, s19, v48 op_sel_hi:[1,0,1]
	v_and_b32_e32 v4, 0xf000f, v2
	v_and_b32_e32 v2, 0xf000f0, v2
	v_pk_add_f16 v50, v44, v0
	v_pk_fma_f16 v51, v1, s19, v46 op_sel_hi:[1,0,1]
	ds_read2_b32 v[0:1], v49 offset0:12 offset1:13
	v_or_b32_e32 v2, 0x64006400, v2
	v_pk_fma_f16 v55, v2, s19, v47 op_sel_hi:[1,0,1]
	v_lshrrev_b32_e32 v2, 8, v3
	v_and_b32_e32 v3, 0xf000f, v2
	v_and_b32_e32 v2, 0xf000f0, v2
	v_or_b32_e32 v8, 0x64006400, v8
	v_or_b32_e32 v2, 0x64006400, v2
	v_pk_add_f16 v60, v41, v8
	v_or_b32_e32 v7, 0x64006400, v7
	v_or_b32_e32 v4, 0x64006400, v4
	;; [unrolled: 1-line block ×3, first 2 shown]
	v_pk_fma_f16 v8, v2, s19, v46 op_sel_hi:[1,0,1]
	s_waitcnt lgkmcnt(0)
	v_pk_fma_f16 v2, v63, v0, 0
	v_pk_add_f16 v58, v43, v7
	v_pk_add_f16 v54, v42, v4
	v_pk_add_f16 v7, v44, v3
	v_pk_fma_f16 v4, v62, v1, v2
	ds_read2_b32 v[2:3], v49 offset0:14 offset1:15
	s_waitcnt lgkmcnt(0)
	v_pk_fma_f16 v4, v60, v2, v4
	v_pk_fma_f16 v4, v61, v3, v4
	v_cvt_f32_f16_e32 v9, v4
	v_cvt_f32_f16_sdwa v4, v4 dst_sel:DWORD dst_unused:UNUSED_PAD src0_sel:WORD_1
	v_add_f32_e32 v4, v9, v4
	v_fmac_f32_e32 v11, v4, v40
	v_pk_fma_f16 v4, v56, v0, 0
	v_pk_fma_f16 v4, v57, v1, v4
	;; [unrolled: 1-line block ×4, first 2 shown]
	v_cvt_f32_f16_e32 v9, v4
	v_cvt_f32_f16_sdwa v4, v4 dst_sel:DWORD dst_unused:UNUSED_PAD src0_sel:WORD_1
	v_add_f32_e32 v4, v9, v4
	v_fmac_f32_e32 v12, v4, v39
	v_pk_fma_f16 v4, v52, v0, 0
	v_pk_fma_f16 v0, v50, v0, 0
	;; [unrolled: 1-line block ×6, first 2 shown]
	v_cvt_f32_f16_e32 v1, v0
	v_cvt_f32_f16_sdwa v0, v0 dst_sel:DWORD dst_unused:UNUSED_PAD src0_sel:WORD_1
	v_pk_fma_f16 v4, v54, v2, v4
	v_pk_fma_f16 v4, v55, v3, v4
	v_cvt_f32_f16_e32 v9, v4
	v_add_f32_e32 v0, v1, v0
	v_fmac_f32_e32 v14, v0, v37
	ds_read2_b32 v[0:1], v49 offset0:76 offset1:77
	v_cvt_f32_f16_sdwa v4, v4 dst_sel:DWORD dst_unused:UNUSED_PAD src0_sel:WORD_1
	v_add_f32_e32 v4, v9, v4
	s_waitcnt lgkmcnt(0)
	v_pk_fma_f16 v2, v63, v0, 0
	v_fmac_f32_e32 v13, v4, v38
	v_pk_fma_f16 v4, v62, v1, v2
	ds_read2_b32 v[2:3], v49 offset0:78 offset1:79
	s_waitcnt lgkmcnt(0)
	v_pk_fma_f16 v4, v60, v2, v4
	v_pk_fma_f16 v4, v61, v3, v4
	v_cvt_f32_f16_e32 v9, v4
	v_cvt_f32_f16_sdwa v4, v4 dst_sel:DWORD dst_unused:UNUSED_PAD src0_sel:WORD_1
	v_add_f32_e32 v4, v9, v4
	v_fmac_f32_e32 v15, v4, v40
	v_pk_fma_f16 v4, v56, v0, 0
	v_pk_fma_f16 v4, v57, v1, v4
	;; [unrolled: 1-line block ×4, first 2 shown]
	v_cvt_f32_f16_e32 v9, v4
	v_cvt_f32_f16_sdwa v4, v4 dst_sel:DWORD dst_unused:UNUSED_PAD src0_sel:WORD_1
	v_add_f32_e32 v4, v9, v4
	v_fmac_f32_e32 v16, v4, v39
	v_pk_fma_f16 v4, v52, v0, 0
	v_pk_fma_f16 v0, v50, v0, 0
	;; [unrolled: 1-line block ×6, first 2 shown]
	v_cvt_f32_f16_e32 v1, v0
	v_cvt_f32_f16_sdwa v0, v0 dst_sel:DWORD dst_unused:UNUSED_PAD src0_sel:WORD_1
	v_pk_fma_f16 v4, v54, v2, v4
	v_pk_fma_f16 v4, v55, v3, v4
	v_cvt_f32_f16_e32 v9, v4
	v_add_f32_e32 v0, v1, v0
	v_fmac_f32_e32 v18, v0, v37
	ds_read2_b32 v[0:1], v49 offset0:140 offset1:141
	v_cvt_f32_f16_sdwa v4, v4 dst_sel:DWORD dst_unused:UNUSED_PAD src0_sel:WORD_1
	v_add_f32_e32 v4, v9, v4
	s_waitcnt lgkmcnt(0)
	v_pk_fma_f16 v2, v63, v0, 0
	v_fmac_f32_e32 v17, v4, v38
	v_pk_fma_f16 v4, v62, v1, v2
	ds_read2_b32 v[2:3], v49 offset0:142 offset1:143
	s_waitcnt lgkmcnt(0)
	v_pk_fma_f16 v4, v60, v2, v4
	v_pk_fma_f16 v4, v61, v3, v4
	v_cvt_f32_f16_e32 v9, v4
	v_cvt_f32_f16_sdwa v4, v4 dst_sel:DWORD dst_unused:UNUSED_PAD src0_sel:WORD_1
	v_add_f32_e32 v4, v9, v4
	v_fmac_f32_e32 v19, v4, v40
	v_pk_fma_f16 v4, v56, v0, 0
	v_pk_fma_f16 v4, v57, v1, v4
	;; [unrolled: 1-line block ×4, first 2 shown]
	v_cvt_f32_f16_e32 v9, v4
	v_cvt_f32_f16_sdwa v4, v4 dst_sel:DWORD dst_unused:UNUSED_PAD src0_sel:WORD_1
	v_add_f32_e32 v4, v9, v4
	v_fmac_f32_e32 v20, v4, v39
	v_pk_fma_f16 v4, v52, v0, 0
	v_pk_fma_f16 v0, v50, v0, 0
	;; [unrolled: 1-line block ×8, first 2 shown]
	v_cvt_f32_f16_e32 v1, v0
	v_cvt_f32_f16_sdwa v0, v0 dst_sel:DWORD dst_unused:UNUSED_PAD src0_sel:WORD_1
	ds_read2_b32 v[2:3], v49 offset0:204 offset1:205
	v_cvt_f32_f16_e32 v9, v4
	v_cvt_f32_f16_sdwa v4, v4 dst_sel:DWORD dst_unused:UNUSED_PAD src0_sel:WORD_1
	v_add_f32_e32 v0, v1, v0
	v_fmac_f32_e32 v22, v0, v37
	s_waitcnt lgkmcnt(0)
	v_pk_fma_f16 v0, v63, v2, 0
	v_add_f32_e32 v4, v9, v4
	v_fmac_f32_e32 v21, v4, v38
	v_pk_fma_f16 v4, v62, v3, v0
	ds_read2_b32 v[0:1], v49 offset0:206 offset1:207
	s_waitcnt lgkmcnt(0)
	v_pk_fma_f16 v4, v60, v0, v4
	v_pk_fma_f16 v4, v61, v1, v4
	v_cvt_f32_f16_e32 v9, v4
	v_cvt_f32_f16_sdwa v4, v4 dst_sel:DWORD dst_unused:UNUSED_PAD src0_sel:WORD_1
	v_add_f32_e32 v4, v9, v4
	v_fmac_f32_e32 v23, v4, v40
	v_pk_fma_f16 v4, v56, v2, 0
	v_pk_fma_f16 v4, v57, v3, v4
	;; [unrolled: 1-line block ×4, first 2 shown]
	v_cvt_f32_f16_e32 v9, v4
	v_cvt_f32_f16_sdwa v4, v4 dst_sel:DWORD dst_unused:UNUSED_PAD src0_sel:WORD_1
	v_add_f32_e32 v4, v9, v4
	v_fmac_f32_e32 v24, v4, v39
	v_pk_fma_f16 v4, v52, v2, 0
	v_pk_fma_f16 v2, v50, v2, 0
	;; [unrolled: 1-line block ×8, first 2 shown]
	v_cvt_f32_f16_e32 v1, v0
	v_cvt_f32_f16_sdwa v0, v0 dst_sel:DWORD dst_unused:UNUSED_PAD src0_sel:WORD_1
	v_cvt_f32_f16_e32 v9, v4
	v_cvt_f32_f16_sdwa v4, v4 dst_sel:DWORD dst_unused:UNUSED_PAD src0_sel:WORD_1
	v_add_f32_e32 v0, v1, v0
	v_fmac_f32_e32 v28, v0, v37
	v_mov_b32_e32 v0, s9
	ds_read2_b32 v[0:1], v0 offset1:1
	v_add_f32_e32 v4, v9, v4
	s_add_i32 s9, s6, 0x438
	v_fmac_f32_e32 v27, v4, v38
	s_waitcnt lgkmcnt(0)
	v_pk_fma_f16 v2, v63, v0, 0
	v_pk_fma_f16 v4, v62, v1, v2
	v_mov_b32_e32 v2, s9
	ds_read2_b32 v[2:3], v2 offset1:1
	s_add_i32 s9, s6, 0x530
	s_waitcnt lgkmcnt(0)
	v_pk_fma_f16 v4, v60, v2, v4
	v_pk_fma_f16 v4, v61, v3, v4
	v_cvt_f32_f16_e32 v9, v4
	v_cvt_f32_f16_sdwa v4, v4 dst_sel:DWORD dst_unused:UNUSED_PAD src0_sel:WORD_1
	v_add_f32_e32 v4, v9, v4
	v_fmac_f32_e32 v29, v4, v40
	v_pk_fma_f16 v4, v56, v0, 0
	v_pk_fma_f16 v4, v57, v1, v4
	;; [unrolled: 1-line block ×4, first 2 shown]
	v_cvt_f32_f16_e32 v9, v4
	v_cvt_f32_f16_sdwa v4, v4 dst_sel:DWORD dst_unused:UNUSED_PAD src0_sel:WORD_1
	v_add_f32_e32 v4, v9, v4
	v_fmac_f32_e32 v30, v4, v39
	v_pk_fma_f16 v4, v52, v0, 0
	v_pk_fma_f16 v0, v50, v0, 0
	;; [unrolled: 1-line block ×6, first 2 shown]
	v_cvt_f32_f16_e32 v1, v0
	v_cvt_f32_f16_sdwa v0, v0 dst_sel:DWORD dst_unused:UNUSED_PAD src0_sel:WORD_1
	v_pk_fma_f16 v4, v54, v2, v4
	v_pk_fma_f16 v4, v55, v3, v4
	v_cvt_f32_f16_e32 v9, v4
	v_add_f32_e32 v0, v1, v0
	v_fmac_f32_e32 v32, v0, v37
	v_mov_b32_e32 v0, s9
	ds_read2_b32 v[2:3], v0 offset1:1
	v_cvt_f32_f16_sdwa v4, v4 dst_sel:DWORD dst_unused:UNUSED_PAD src0_sel:WORD_1
	s_add_i32 s9, s6, 0x538
	s_add_i32 s6, s6, 64
	s_cmp_ge_i32 s24, s25
	v_add_f32_e32 v4, v9, v4
	s_waitcnt lgkmcnt(0)
	v_pk_fma_f16 v0, v63, v2, 0
	v_fmac_f32_e32 v31, v4, v38
	v_pk_fma_f16 v4, v62, v3, v0
	v_mov_b32_e32 v0, s9
	ds_read2_b32 v[0:1], v0 offset1:1
	s_waitcnt lgkmcnt(0)
	v_pk_fma_f16 v4, v60, v0, v4
	v_pk_fma_f16 v4, v61, v1, v4
	v_cvt_f32_f16_e32 v9, v4
	v_cvt_f32_f16_sdwa v4, v4 dst_sel:DWORD dst_unused:UNUSED_PAD src0_sel:WORD_1
	v_add_f32_e32 v4, v9, v4
	v_fmac_f32_e32 v33, v4, v40
	v_pk_fma_f16 v4, v56, v2, 0
	v_pk_fma_f16 v4, v57, v3, v4
	;; [unrolled: 1-line block ×4, first 2 shown]
	v_cvt_f32_f16_e32 v9, v4
	v_cvt_f32_f16_sdwa v4, v4 dst_sel:DWORD dst_unused:UNUSED_PAD src0_sel:WORD_1
	v_add_f32_e32 v4, v9, v4
	v_fmac_f32_e32 v34, v4, v39
	v_pk_fma_f16 v4, v52, v2, 0
	v_pk_fma_f16 v2, v50, v2, 0
	;; [unrolled: 1-line block ×8, first 2 shown]
	v_cvt_f32_f16_e32 v1, v0
	v_cvt_f32_f16_sdwa v0, v0 dst_sel:DWORD dst_unused:UNUSED_PAD src0_sel:WORD_1
	v_cvt_f32_f16_e32 v9, v4
	v_cvt_f32_f16_sdwa v4, v4 dst_sel:DWORD dst_unused:UNUSED_PAD src0_sel:WORD_1
	v_add_f32_e32 v0, v1, v0
	v_fmac_f32_e32 v36, v0, v37
	v_add_f32_e32 v4, v9, v4
	v_mov_b32_e32 v0, s1
	v_fmac_f32_e32 v35, v4, v38
	v_addc_co_u32_e32 v6, vcc, v6, v0, vcc
	s_cbranch_scc1 .LBB37_20
.LBB37_18:                              ; =>This Inner Loop Header: Depth=1
	s_cmp_lg_u32 s24, s8
	s_cbranch_scc1 .LBB37_17
; %bb.19:                               ;   in Loop: Header=BB37_18 Depth=1
	buffer_load_dword v0, off, s[28:31], 0 offset:8 ; 4-byte Folded Reload
	buffer_load_dword v2, off, s[28:31], 0  ; 4-byte Folded Reload
	buffer_load_dword v3, off, s[28:31], 0 offset:4 ; 4-byte Folded Reload
	s_add_i32 s5, s5, 1
	s_mul_i32 s9, s5, s16
	v_mov_b32_e32 v7, s13
	s_ashr_i32 s17, s9, 31
	s_lshr_b32 s17, s17, 29
	s_add_i32 s17, s9, s17
	s_ashr_i32 s17, s17, 3
	v_mov_b32_e32 v4, s11
	s_add_i32 s8, s8, s4
	buffer_load_dword v8, off, s[28:31], 0 offset:16 ; 4-byte Folded Reload
	s_waitcnt vmcnt(2)
	v_add_u32_e32 v2, s9, v2
	s_waitcnt vmcnt(1)
	v_ashrrev_i32_e32 v3, 31, v2
	v_lshlrev_b64 v[2:3], 1, v[2:3]
	v_add_u32_e32 v0, s17, v0
	v_add_co_u32_e32 v2, vcc, s12, v2
	v_addc_co_u32_e32 v3, vcc, v7, v3, vcc
	global_load_dwordx2 v[2:3], v[2:3], off
	v_ashrrev_i32_e32 v1, 31, v0
	v_lshlrev_b64 v[0:1], 2, v[0:1]
	v_mov_b32_e32 v7, 0xe400e400
	v_add_co_u32_e32 v0, vcc, s10, v0
	v_addc_co_u32_e32 v1, vcc, v4, v1, vcc
	global_load_dword v0, v[0:1], off
	s_waitcnt vmcnt(1)
	v_cvt_f32_f16_e32 v40, v2
	v_cvt_f32_f16_sdwa v39, v2 dst_sel:DWORD dst_unused:UNUSED_PAD src0_sel:WORD_1
	buffer_load_dword v2, off, s[28:31], 0 offset:12 ; 4-byte Folded Reload
	v_cvt_f32_f16_e32 v38, v3
	v_cvt_f32_f16_sdwa v37, v3 dst_sel:DWORD dst_unused:UNUSED_PAD src0_sel:WORD_1
	s_waitcnt vmcnt(0)
	v_lshrrev_b32_e32 v1, v2, v0
	v_bfe_u32 v0, v0, v2, 4
	v_bfe_u32 v2, v1, 4, 4
	;; [unrolled: 1-line block ×4, first 2 shown]
	v_add_u32_e32 v0, v0, v8
	v_cvt_f32_ubyte0_e32 v4, v0
	v_mad_u32_u24 v41, v0, s18, v7
	v_add_u32_e32 v0, v2, v8
	v_add_u32_e32 v2, v3, v8
	v_add_u32_e32 v1, v1, v8
	v_cvt_f16_f32_e32 v3, v4
	v_cvt_f32_ubyte0_e32 v4, v0
	v_mad_u32_u24 v43, v0, s18, v7
	v_cvt_f32_ubyte0_e32 v0, v2
	v_mad_u32_u24 v42, v2, s18, v7
	;; [unrolled: 2-line block ×3, first 2 shown]
	v_cvt_f16_f32_e32 v1, v4
	v_cvt_f16_f32_e32 v0, v0
	;; [unrolled: 1-line block ×3, first 2 shown]
	v_sub_f16_e32 v3, 0xd400, v3
	v_sub_f16_e32 v1, 0xd400, v1
	;; [unrolled: 1-line block ×4, first 2 shown]
	v_mul_u32_u24_e32 v45, 0x10001, v3
	v_mul_u32_u24_e32 v48, 0x10001, v1
	;; [unrolled: 1-line block ×4, first 2 shown]
	s_branch .LBB37_17
.LBB37_20:
	v_cvt_f16_f32_e32 v42, v11
	v_cvt_f16_f32_e32 v3, v12
	;; [unrolled: 1-line block ×24, first 2 shown]
.LBB37_21:
	buffer_load_dword v0, off, s[28:31], 0  ; 4-byte Folded Reload
	buffer_load_dword v1, off, s[28:31], 0 offset:4 ; 4-byte Folded Reload
	s_mul_i32 s7, s7, s16
	v_mov_b32_e32 v4, s15
	s_mov_b32 s0, 0x5040100
	v_perm_b32 v20, v3, v42, s0
	s_mov_b64 s[0:1], 0
	s_waitcnt vmcnt(1)
	v_add_u32_e32 v0, s7, v0
	s_waitcnt vmcnt(0)
	v_ashrrev_i32_e32 v1, 31, v0
	v_lshlrev_b64 v[1:2], 1, v[0:1]
	v_add_co_u32_e32 v1, vcc, s14, v1
	v_addc_co_u32_e32 v2, vcc, v4, v2, vcc
	global_load_dword v4, v[1:2], off
.LBB37_22:                              ; =>This Inner Loop Header: Depth=1
	s_waitcnt vmcnt(0)
	v_pk_add_f16 v3, v20, v4
	global_atomic_cmpswap v3, v[1:2], v[3:4], off glc
	s_waitcnt vmcnt(0)
	v_cmp_eq_u32_e32 vcc, v4, v3
	s_or_b64 s[0:1], vcc, s[0:1]
	v_mov_b32_e32 v4, v3
	s_andn2_b64 exec, exec, s[0:1]
	s_cbranch_execnz .LBB37_22
; %bb.23:
	s_or_b64 exec, exec, s[0:1]
	global_load_dword v4, v[1:2], off offset:4
	s_mov_b32 s0, 0x5040100
	v_perm_b32 v20, v40, v41, s0
	s_mov_b64 s[0:1], 0
.LBB37_24:                              ; =>This Inner Loop Header: Depth=1
	s_waitcnt vmcnt(0)
	v_pk_add_f16 v3, v20, v4
	global_atomic_cmpswap v3, v[1:2], v[3:4], off offset:4 glc
	s_waitcnt vmcnt(0)
	v_cmp_eq_u32_e32 vcc, v4, v3
	s_or_b64 s[0:1], vcc, s[0:1]
	v_mov_b32_e32 v4, v3
	s_andn2_b64 exec, exec, s[0:1]
	s_cbranch_execnz .LBB37_24
; %bb.25:
	s_or_b64 exec, exec, s[0:1]
	v_add_u32_e32 v0, s16, v0
	v_ashrrev_i32_e32 v1, 31, v0
	v_lshlrev_b64 v[1:2], 1, v[0:1]
	v_mov_b32_e32 v3, s15
	v_add_co_u32_e32 v1, vcc, s14, v1
	v_addc_co_u32_e32 v2, vcc, v3, v2, vcc
	global_load_dword v4, v[1:2], off
	s_mov_b32 s0, 0x5040100
	v_perm_b32 v20, v38, v39, s0
	s_mov_b64 s[0:1], 0
.LBB37_26:                              ; =>This Inner Loop Header: Depth=1
	s_waitcnt vmcnt(0)
	v_pk_add_f16 v3, v20, v4
	global_atomic_cmpswap v3, v[1:2], v[3:4], off glc
	s_waitcnt vmcnt(0)
	v_cmp_eq_u32_e32 vcc, v4, v3
	s_or_b64 s[0:1], vcc, s[0:1]
	v_mov_b32_e32 v4, v3
	s_andn2_b64 exec, exec, s[0:1]
	s_cbranch_execnz .LBB37_26
; %bb.27:
	s_or_b64 exec, exec, s[0:1]
	global_load_dword v4, v[1:2], off offset:4
	s_mov_b32 s0, 0x5040100
	v_perm_b32 v20, v26, v37, s0
	s_mov_b64 s[0:1], 0
.LBB37_28:                              ; =>This Inner Loop Header: Depth=1
	s_waitcnt vmcnt(0)
	v_pk_add_f16 v3, v20, v4
	global_atomic_cmpswap v3, v[1:2], v[3:4], off offset:4 glc
	s_waitcnt vmcnt(0)
	v_cmp_eq_u32_e32 vcc, v4, v3
	s_or_b64 s[0:1], vcc, s[0:1]
	v_mov_b32_e32 v4, v3
	s_andn2_b64 exec, exec, s[0:1]
	s_cbranch_execnz .LBB37_28
; %bb.29:
	s_or_b64 exec, exec, s[0:1]
	v_add_u32_e32 v0, s16, v0
	v_ashrrev_i32_e32 v1, 31, v0
	v_lshlrev_b64 v[1:2], 1, v[0:1]
	v_mov_b32_e32 v3, s15
	v_add_co_u32_e32 v1, vcc, s14, v1
	v_addc_co_u32_e32 v2, vcc, v3, v2, vcc
	global_load_dword v4, v[1:2], off
	s_mov_b32 s0, 0x5040100
	v_perm_b32 v19, v19, v25, s0
	s_mov_b64 s[0:1], 0
	;; [unrolled: 38-line block ×5, first 2 shown]
.LBB37_42:                              ; =>This Inner Loop Header: Depth=1
	s_waitcnt vmcnt(0)
	v_pk_add_f16 v2, v4, v3
	global_atomic_cmpswap v2, v[0:1], v[2:3], off glc
	s_waitcnt vmcnt(0)
	v_cmp_eq_u32_e32 vcc, v3, v2
	s_or_b64 s[0:1], vcc, s[0:1]
	v_mov_b32_e32 v3, v2
	s_andn2_b64 exec, exec, s[0:1]
	s_cbranch_execnz .LBB37_42
; %bb.43:
	s_or_b64 exec, exec, s[0:1]
	global_load_dword v3, v[0:1], off offset:4
	s_mov_b32 s0, 0x5040100
	v_perm_b32 v4, v5, v6, s0
	s_mov_b64 s[0:1], 0
.LBB37_44:                              ; =>This Inner Loop Header: Depth=1
	s_waitcnt vmcnt(0)
	v_pk_add_f16 v2, v4, v3
	global_atomic_cmpswap v2, v[0:1], v[2:3], off offset:4 glc
	s_waitcnt vmcnt(0)
	v_cmp_eq_u32_e32 vcc, v3, v2
	s_or_b64 s[0:1], vcc, s[0:1]
	v_mov_b32_e32 v3, v2
	s_andn2_b64 exec, exec, s[0:1]
	s_cbranch_execnz .LBB37_44
.LBB37_45:
	s_endpgm
	.section	.rodata,"a",@progbits
	.p2align	6, 0x0
	.amdhsa_kernel _ZN4vllm4gptq33gemm_half_q_half_gptq_4bit_kernelILb1ELi6EEEvPK6__halfPKjS6_S4_PS2_iiiibPKi
		.amdhsa_group_segment_fixed_size 1536
		.amdhsa_private_segment_fixed_size 24
		.amdhsa_kernarg_size 72
		.amdhsa_user_sgpr_count 6
		.amdhsa_user_sgpr_private_segment_buffer 1
		.amdhsa_user_sgpr_dispatch_ptr 0
		.amdhsa_user_sgpr_queue_ptr 0
		.amdhsa_user_sgpr_kernarg_segment_ptr 1
		.amdhsa_user_sgpr_dispatch_id 0
		.amdhsa_user_sgpr_flat_scratch_init 0
		.amdhsa_user_sgpr_private_segment_size 0
		.amdhsa_uses_dynamic_stack 0
		.amdhsa_system_sgpr_private_segment_wavefront_offset 1
		.amdhsa_system_sgpr_workgroup_id_x 1
		.amdhsa_system_sgpr_workgroup_id_y 1
		.amdhsa_system_sgpr_workgroup_id_z 1
		.amdhsa_system_sgpr_workgroup_info 0
		.amdhsa_system_vgpr_workitem_id 0
		.amdhsa_next_free_vgpr 64
		.amdhsa_next_free_sgpr 32
		.amdhsa_reserve_vcc 1
		.amdhsa_reserve_flat_scratch 0
		.amdhsa_float_round_mode_32 0
		.amdhsa_float_round_mode_16_64 0
		.amdhsa_float_denorm_mode_32 3
		.amdhsa_float_denorm_mode_16_64 3
		.amdhsa_dx10_clamp 1
		.amdhsa_ieee_mode 1
		.amdhsa_fp16_overflow 0
		.amdhsa_exception_fp_ieee_invalid_op 0
		.amdhsa_exception_fp_denorm_src 0
		.amdhsa_exception_fp_ieee_div_zero 0
		.amdhsa_exception_fp_ieee_overflow 0
		.amdhsa_exception_fp_ieee_underflow 0
		.amdhsa_exception_fp_ieee_inexact 0
		.amdhsa_exception_int_div_zero 0
	.end_amdhsa_kernel
	.section	.text._ZN4vllm4gptq33gemm_half_q_half_gptq_4bit_kernelILb1ELi6EEEvPK6__halfPKjS6_S4_PS2_iiiibPKi,"axG",@progbits,_ZN4vllm4gptq33gemm_half_q_half_gptq_4bit_kernelILb1ELi6EEEvPK6__halfPKjS6_S4_PS2_iiiibPKi,comdat
.Lfunc_end37:
	.size	_ZN4vllm4gptq33gemm_half_q_half_gptq_4bit_kernelILb1ELi6EEEvPK6__halfPKjS6_S4_PS2_iiiibPKi, .Lfunc_end37-_ZN4vllm4gptq33gemm_half_q_half_gptq_4bit_kernelILb1ELi6EEEvPK6__halfPKjS6_S4_PS2_iiiibPKi
                                        ; -- End function
	.set _ZN4vllm4gptq33gemm_half_q_half_gptq_4bit_kernelILb1ELi6EEEvPK6__halfPKjS6_S4_PS2_iiiibPKi.num_vgpr, 64
	.set _ZN4vllm4gptq33gemm_half_q_half_gptq_4bit_kernelILb1ELi6EEEvPK6__halfPKjS6_S4_PS2_iiiibPKi.num_agpr, 0
	.set _ZN4vllm4gptq33gemm_half_q_half_gptq_4bit_kernelILb1ELi6EEEvPK6__halfPKjS6_S4_PS2_iiiibPKi.numbered_sgpr, 32
	.set _ZN4vllm4gptq33gemm_half_q_half_gptq_4bit_kernelILb1ELi6EEEvPK6__halfPKjS6_S4_PS2_iiiibPKi.num_named_barrier, 0
	.set _ZN4vllm4gptq33gemm_half_q_half_gptq_4bit_kernelILb1ELi6EEEvPK6__halfPKjS6_S4_PS2_iiiibPKi.private_seg_size, 24
	.set _ZN4vllm4gptq33gemm_half_q_half_gptq_4bit_kernelILb1ELi6EEEvPK6__halfPKjS6_S4_PS2_iiiibPKi.uses_vcc, 1
	.set _ZN4vllm4gptq33gemm_half_q_half_gptq_4bit_kernelILb1ELi6EEEvPK6__halfPKjS6_S4_PS2_iiiibPKi.uses_flat_scratch, 0
	.set _ZN4vllm4gptq33gemm_half_q_half_gptq_4bit_kernelILb1ELi6EEEvPK6__halfPKjS6_S4_PS2_iiiibPKi.has_dyn_sized_stack, 0
	.set _ZN4vllm4gptq33gemm_half_q_half_gptq_4bit_kernelILb1ELi6EEEvPK6__halfPKjS6_S4_PS2_iiiibPKi.has_recursion, 0
	.set _ZN4vllm4gptq33gemm_half_q_half_gptq_4bit_kernelILb1ELi6EEEvPK6__halfPKjS6_S4_PS2_iiiibPKi.has_indirect_call, 0
	.section	.AMDGPU.csdata,"",@progbits
; Kernel info:
; codeLenInByte = 10720
; TotalNumSgprs: 36
; NumVgprs: 64
; ScratchSize: 24
; MemoryBound: 0
; FloatMode: 240
; IeeeMode: 1
; LDSByteSize: 1536 bytes/workgroup (compile time only)
; SGPRBlocks: 4
; VGPRBlocks: 15
; NumSGPRsForWavesPerEU: 36
; NumVGPRsForWavesPerEU: 64
; Occupancy: 4
; WaveLimiterHint : 0
; COMPUTE_PGM_RSRC2:SCRATCH_EN: 1
; COMPUTE_PGM_RSRC2:USER_SGPR: 6
; COMPUTE_PGM_RSRC2:TRAP_HANDLER: 0
; COMPUTE_PGM_RSRC2:TGID_X_EN: 1
; COMPUTE_PGM_RSRC2:TGID_Y_EN: 1
; COMPUTE_PGM_RSRC2:TGID_Z_EN: 1
; COMPUTE_PGM_RSRC2:TIDIG_COMP_CNT: 0
	.section	.text._ZN4vllm4gptq33gemm_half_q_half_gptq_8bit_kernelILb1ELi6EEEvPK6__halfPKjS6_S4_PS2_iiiibPKi,"axG",@progbits,_ZN4vllm4gptq33gemm_half_q_half_gptq_8bit_kernelILb1ELi6EEEvPK6__halfPKjS6_S4_PS2_iiiibPKi,comdat
	.protected	_ZN4vllm4gptq33gemm_half_q_half_gptq_8bit_kernelILb1ELi6EEEvPK6__halfPKjS6_S4_PS2_iiiibPKi ; -- Begin function _ZN4vllm4gptq33gemm_half_q_half_gptq_8bit_kernelILb1ELi6EEEvPK6__halfPKjS6_S4_PS2_iiiibPKi
	.globl	_ZN4vllm4gptq33gemm_half_q_half_gptq_8bit_kernelILb1ELi6EEEvPK6__halfPKjS6_S4_PS2_iiiibPKi
	.p2align	8
	.type	_ZN4vllm4gptq33gemm_half_q_half_gptq_8bit_kernelILb1ELi6EEEvPK6__halfPKjS6_S4_PS2_iiiibPKi,@function
_ZN4vllm4gptq33gemm_half_q_half_gptq_8bit_kernelILb1ELi6EEEvPK6__halfPKjS6_S4_PS2_iiiibPKi: ; @_ZN4vllm4gptq33gemm_half_q_half_gptq_8bit_kernelILb1ELi6EEEvPK6__halfPKjS6_S4_PS2_iiiibPKi
; %bb.0:
	s_mov_b64 s[30:31], s[2:3]
	s_load_dwordx4 s[16:19], s[4:5], 0x2c
	s_mov_b64 s[28:29], s[0:1]
	s_add_u32 s28, s28, s9
	s_addc_u32 s29, s29, 0
	s_lshl_b32 s24, s8, 7
	s_add_i32 s0, s24, 0x80
	v_cvt_f64_u32_e32 v[1:2], s0
	s_waitcnt lgkmcnt(0)
	v_cvt_f64_i32_e32 v[3:4], s17
	s_load_dwordx8 s[8:15], s[4:5], 0x8
	s_mul_i32 s7, s7, 6
	v_min_f64 v[1:2], v[1:2], v[3:4]
	v_cvt_i32_f64_e32 v2, v[1:2]
	v_add_u32_e32 v1, s24, v0
	v_readfirstlane_b32 s25, v2
	v_cmp_lt_u32_e32 vcc, v1, v2
	s_and_saveexec_b64 s[2:3], vcc
	s_cbranch_execz .LBB38_14
; %bb.1:
	s_load_dwordx2 s[0:1], s[4:5], 0x40
	s_load_dwordx2 s[20:21], s[4:5], 0x0
	v_mov_b32_e32 v2, 0
	v_lshlrev_b64 v[3:4], 2, v[1:2]
	s_waitcnt lgkmcnt(0)
	v_mov_b32_e32 v5, s1
	v_add_co_u32_e32 v3, vcc, s0, v3
	s_cmp_lg_u64 s[0:1], 0
	v_addc_co_u32_e32 v4, vcc, v5, v4, vcc
	v_mov_b32_e32 v6, v2
	s_cselect_b64 s[4:5], -1, 0
	s_cmp_eq_u64 s[0:1], 0
	v_mov_b32_e32 v5, v1
	s_cbranch_scc1 .LBB38_3
; %bb.2:
	global_load_dword v5, v[3:4], off
	s_waitcnt vmcnt(0)
	v_ashrrev_i32_e32 v6, 31, v5
.LBB38_3:
	s_mul_i32 s22, s7, s17
	s_ashr_i32 s23, s22, 31
	s_lshl_b64 s[0:1], s[22:23], 1
	s_add_u32 s0, s20, s0
	v_lshlrev_b64 v[5:6], 1, v[5:6]
	s_addc_u32 s1, s21, s1
	v_mov_b32_e32 v7, s1
	v_add_co_u32_e32 v5, vcc, s0, v5
	v_addc_co_u32_e32 v6, vcc, v7, v6, vcc
	global_load_ushort v5, v[5:6], off
	v_lshlrev_b32_e32 v7, 1, v0
	v_cndmask_b32_e64 v6, 0, 1, s[4:5]
	v_cmp_ne_u32_e64 s[0:1], 1, v6
	s_andn2_b64 vcc, exec, s[4:5]
	s_waitcnt vmcnt(0)
	ds_write_b16 v7, v5
	v_mov_b32_e32 v6, v2
	v_mov_b32_e32 v5, v1
	s_cbranch_vccnz .LBB38_5
; %bb.4:
	global_load_dword v5, v[3:4], off
	s_waitcnt vmcnt(0)
	v_ashrrev_i32_e32 v6, 31, v5
.LBB38_5:
	s_add_i32 s4, s22, s17
	s_ashr_i32 s5, s4, 31
	s_lshl_b64 s[22:23], s[4:5], 1
	s_add_u32 s5, s20, s22
	v_lshlrev_b64 v[5:6], 1, v[5:6]
	s_addc_u32 s22, s21, s23
	v_mov_b32_e32 v8, s22
	v_add_co_u32_e32 v5, vcc, s5, v5
	v_addc_co_u32_e32 v6, vcc, v8, v6, vcc
	global_load_ushort v5, v[5:6], off
	s_and_b64 vcc, exec, s[0:1]
	s_waitcnt vmcnt(0)
	ds_write_b16 v7, v5 offset:256
	v_mov_b32_e32 v6, v2
	v_mov_b32_e32 v5, v1
	s_cbranch_vccnz .LBB38_7
; %bb.6:
	global_load_dword v5, v[3:4], off
	s_waitcnt vmcnt(0)
	v_ashrrev_i32_e32 v6, 31, v5
.LBB38_7:
	s_add_i32 s4, s4, s17
	s_ashr_i32 s5, s4, 31
	s_lshl_b64 s[22:23], s[4:5], 1
	s_add_u32 s5, s20, s22
	v_lshlrev_b64 v[5:6], 1, v[5:6]
	s_addc_u32 s22, s21, s23
	v_mov_b32_e32 v8, s22
	v_add_co_u32_e32 v5, vcc, s5, v5
	v_addc_co_u32_e32 v6, vcc, v8, v6, vcc
	global_load_ushort v5, v[5:6], off
	s_and_b64 vcc, exec, s[0:1]
	s_waitcnt vmcnt(0)
	ds_write_b16 v7, v5 offset:512
	;; [unrolled: 21-line block ×4, first 2 shown]
	s_cbranch_vccnz .LBB38_13
; %bb.12:
	global_load_dword v1, v[3:4], off
	s_waitcnt vmcnt(0)
	v_ashrrev_i32_e32 v2, 31, v1
.LBB38_13:
	s_add_i32 s0, s4, s17
	s_ashr_i32 s1, s0, 31
	s_lshl_b64 s[0:1], s[0:1], 1
	s_add_u32 s0, s20, s0
	v_lshlrev_b64 v[1:2], 1, v[1:2]
	s_addc_u32 s1, s21, s1
	v_mov_b32_e32 v3, s1
	v_add_co_u32_e32 v1, vcc, s0, v1
	v_addc_co_u32_e32 v2, vcc, v3, v2, vcc
	global_load_ushort v1, v[1:2], off
	s_waitcnt vmcnt(0)
	ds_write_b16 v7, v1 offset:1280
.LBB38_14:
	s_or_b64 exec, exec, s[2:3]
	v_lshlrev_b32_e32 v0, 2, v0
	v_lshl_add_u32 v1, s6, 9, v0
	v_mov_b32_e32 v0, v1
	buffer_store_dword v0, off, s[28:31], 0 offset:120 ; 4-byte Folded Spill
	s_nop 0
	buffer_store_dword v1, off, s[28:31], 0 offset:124 ; 4-byte Folded Spill
	v_cmp_gt_i32_e32 vcc, s16, v1
	s_and_saveexec_b64 s[0:1], vcc
	s_cbranch_execz .LBB38_45
; %bb.15:
	s_abs_i32 s0, s18
	v_cvt_f32_u32_e32 v0, s0
	s_mov_b32 s2, 0
	v_mov_b32_e32 v21, 0
	v_mov_b32_e32 v20, 0
	v_rcp_iflag_f32_e32 v0, v0
	v_mov_b32_e32 v7, 0
	v_mov_b32_e32 v6, 0
	s_cmp_ge_i32 s24, s25
	v_mul_f32_e32 v0, 0x4f7ffffe, v0
	v_cvt_u32_f32_e32 v0, v0
	v_mov_b32_e32 v29, 0
	v_mov_b32_e32 v8, 0
	;; [unrolled: 1-line block ×3, first 2 shown]
	v_readfirstlane_b32 s1, v0
	v_mov_b32_e32 v11, 0
	v_mov_b32_e32 v24, 0
	;; [unrolled: 1-line block ×5, first 2 shown]
	s_waitcnt vmcnt(0) lgkmcnt(0)
	s_barrier
	s_cbranch_scc1 .LBB38_21
; %bb.16:
	buffer_load_dword v1, off, s[28:31], 0 offset:120 ; 4-byte Folded Reload
	buffer_load_dword v2, off, s[28:31], 0 offset:124 ; 4-byte Folded Reload
	s_sub_i32 s6, 0, s0
	s_mul_i32 s6, s6, s1
	s_mul_hi_u32 s6, s1, s6
	s_abs_i32 s5, s17
	s_add_i32 s1, s1, s6
	s_ashr_i32 s3, s17, 31
	s_ashr_i32 s4, s18, 31
	s_mul_hi_u32 s1, s5, s1
	s_xor_b32 s3, s3, s4
	s_mul_i32 s4, s1, s0
	s_sub_i32 s4, s5, s4
	s_add_i32 s5, s1, 1
	s_sub_i32 s6, s4, s0
	s_cmp_ge_u32 s4, s0
	s_cselect_b32 s1, s5, s1
	s_cselect_b32 s4, s6, s4
	s_add_i32 s5, s1, 1
	s_cmp_ge_u32 s4, s0
	s_cselect_b32 s0, s5, s1
	s_xor_b32 s0, s0, s3
	s_sub_i32 s3, s0, s3
	v_cvt_f32_u32_e32 v0, s3
	s_bitcmp1_b32 s19, 0
	s_cselect_b64 s[0:1], -1, 0
	s_sub_i32 s4, 0, s3
	v_rcp_iflag_f32_e32 v0, v0
	s_xor_b64 s[0:1], s[0:1], -1
	v_mov_b32_e32 v3, s11
	v_mov_b32_e32 v9, 0
	v_mul_f32_e32 v0, 0x4f7ffffe, v0
	v_cvt_u32_f32_e32 v0, v0
	v_mov_b32_e32 v22, 0
	v_mov_b32_e32 v24, 0
	;; [unrolled: 1-line block ×3, first 2 shown]
	v_readfirstlane_b32 s5, v0
	s_mul_i32 s4, s4, s5
	s_mul_hi_u32 s4, s5, s4
	s_add_i32 s5, s5, s4
	s_mul_hi_u32 s4, s24, s5
	s_mul_i32 s5, s4, s3
	s_sub_i32 s5, s24, s5
	s_add_i32 s6, s4, 1
	s_sub_i32 s17, s5, s3
	s_cmp_ge_u32 s5, s3
	s_cselect_b32 s4, s6, s4
	s_cselect_b32 s5, s17, s5
	s_add_i32 s6, s4, 1
	s_cmp_ge_u32 s5, s3
	s_cselect_b32 s4, s6, s4
	s_mul_i32 s5, s4, s16
	s_ashr_i32 s6, s5, 31
	s_lshr_b32 s6, s6, 30
	v_mov_b32_e32 v19, 0
	v_mov_b32_e32 v8, 0
	;; [unrolled: 1-line block ×6, first 2 shown]
	s_waitcnt vmcnt(1)
	v_mov_b32_e32 v4, v1
	v_add_u32_e32 v0, s5, v4
	s_add_i32 s5, s5, s6
	v_ashrrev_i32_e32 v1, 2, v4
	s_ashr_i32 s5, s5, 2
	buffer_store_dword v1, off, s[28:31], 0 offset:128 ; 4-byte Folded Spill
	v_add_u32_e32 v1, s5, v1
	s_waitcnt vmcnt(1)
	v_ashrrev_i32_e32 v2, 31, v1
	v_lshlrev_b64 v[1:2], 2, v[1:2]
	v_ashrrev_i32_e32 v5, 31, v4
	v_add_co_u32_e32 v1, vcc, s10, v1
	v_addc_co_u32_e32 v2, vcc, v3, v2, vcc
	global_load_dword v2, v[1:2], off
	v_ashrrev_i32_e32 v1, 31, v0
	v_lshlrev_b64 v[0:1], 1, v[0:1]
	v_mov_b32_e32 v3, s13
	v_add_co_u32_e32 v0, vcc, s12, v0
	v_addc_co_u32_e32 v1, vcc, v3, v1, vcc
	global_load_dwordx2 v[60:61], v[0:1], off
	v_mov_b32_e32 v0, 0
	v_cndmask_b32_e64 v3, 0, 1, s[0:1]
	s_lshr_b32 s0, s24, 2
	buffer_store_dword v0, off, s[28:31], 0 offset:28 ; 4-byte Folded Spill
	v_mov_b32_e32 v0, 0
	s_mul_i32 s0, s16, s0
	buffer_store_dword v0, off, s[28:31], 0 ; 4-byte Folded Spill
	v_mov_b32_e32 v0, v4
	s_ashr_i32 s1, s0, 31
	buffer_store_dword v0, off, s[28:31], 0 offset:120 ; 4-byte Folded Spill
	s_nop 0
	buffer_store_dword v1, off, s[28:31], 0 offset:124 ; 4-byte Folded Spill
	s_lshl_b64 s[0:1], s[0:1], 2
	v_lshlrev_b64 v[0:1], 2, v[4:5]
	s_add_u32 s6, s8, s0
	s_addc_u32 s0, s9, s1
	buffer_store_dword v3, off, s[28:31], 0 offset:116 ; 4-byte Folded Spill
	s_ashr_i32 s17, s16, 31
	v_mov_b32_e32 v3, s0
	v_add_co_u32_e32 v0, vcc, s6, v0
	s_add_i32 s5, s3, s24
	s_lshl_b64 s[0:1], s[16:17], 2
	v_addc_co_u32_e32 v1, vcc, v3, v1, vcc
	s_waitcnt vmcnt(6)
	v_and_b32_e32 v3, 0xff, v2
	v_bfe_u32 v5, v2, 8, 8
	v_bfe_u32 v6, v2, 16, 8
	v_lshrrev_b32_e32 v4, 24, v2
.LBB38_17:                              ; =>This Inner Loop Header: Depth=1
	s_cmp_lg_u32 s24, s5
	buffer_store_dword v7, off, s[28:31], 0 offset:4 ; 4-byte Folded Spill
	buffer_store_dword v8, off, s[28:31], 0 offset:8 ; 4-byte Folded Spill
	;; [unrolled: 1-line block ×7, first 2 shown]
	s_cbranch_scc1 .LBB38_19
; %bb.18:                               ;   in Loop: Header=BB38_17 Depth=1
	buffer_load_dword v2, off, s[28:31], 0 offset:128 ; 4-byte Folded Reload
	s_add_i32 s4, s4, 1
	s_mul_i32 s6, s4, s16
	s_ashr_i32 s8, s6, 31
	s_lshr_b32 s8, s8, 30
	s_add_i32 s8, s6, s8
	s_ashr_i32 s8, s8, 2
	s_waitcnt vmcnt(8)
	v_mov_b32_e32 v4, s11
	v_mov_b32_e32 v5, s13
	s_add_i32 s5, s5, s3
	s_waitcnt vmcnt(0)
	v_add_u32_e32 v2, s8, v2
	v_ashrrev_i32_e32 v3, 31, v2
	v_lshlrev_b64 v[2:3], 2, v[2:3]
	v_add_co_u32_e32 v2, vcc, s10, v2
	v_addc_co_u32_e32 v3, vcc, v4, v3, vcc
	global_load_dword v4, v[2:3], off
	s_nop 0
	buffer_load_dword v2, off, s[28:31], 0 offset:120 ; 4-byte Folded Reload
	buffer_load_dword v3, off, s[28:31], 0 offset:124 ; 4-byte Folded Reload
	s_waitcnt vmcnt(1)
	v_add_u32_e32 v2, s6, v2
	s_waitcnt vmcnt(0)
	v_ashrrev_i32_e32 v3, 31, v2
	v_lshlrev_b64 v[2:3], 1, v[2:3]
	v_bfe_u32 v6, v4, 16, 8
	v_add_co_u32_e32 v2, vcc, s12, v2
	v_addc_co_u32_e32 v3, vcc, v5, v3, vcc
	global_load_dwordx2 v[60:61], v[2:3], off
	v_and_b32_e32 v3, 0xff, v4
	v_bfe_u32 v5, v4, 8, 8
	v_lshrrev_b32_e32 v4, 24, v4
.LBB38_19:                              ;   in Loop: Header=BB38_17 Depth=1
	buffer_load_dword v2, off, s[28:31], 0 offset:116 ; 4-byte Folded Reload
	v_add_co_u32_e32 v12, vcc, s0, v0
	s_waitcnt vmcnt(10)
	buffer_store_dword v5, off, s[28:31], 0 offset:104 ; 4-byte Folded Spill
	s_waitcnt vmcnt(10)
	buffer_store_dword v6, off, s[28:31], 0 offset:108 ; 4-byte Folded Spill
	;; [unrolled: 2-line block ×3, first 2 shown]
	buffer_store_dword v3, off, s[28:31], 0 offset:100 ; 4-byte Folded Spill
	v_mov_b32_e32 v28, s2
	s_add_i32 s2, s2, 64
	s_add_i32 s24, s24, 32
	s_cmp_ge_i32 s24, s25
	s_waitcnt vmcnt(4)
	v_add_u32_e32 v31, v5, v2
	v_add_u32_e32 v30, v6, v2
	v_add_u32_e32 v62, v4, v2
	global_load_dwordx4 v[4:7], v[0:1], off
	v_mov_b32_e32 v0, s1
	v_addc_co_u32_e32 v13, vcc, v1, v0, vcc
	v_add_u32_e32 v32, v3, v2
	buffer_store_dword v0, off, s[28:31], 0 offset:96 ; 4-byte Folded Spill
	global_load_dwordx4 v[0:3], v[12:13], off
	v_add_co_u32_e32 v12, vcc, s0, v12
	s_waitcnt vmcnt(2)
	v_sub_u32_sdwa v8, v4, v32 dst_sel:DWORD dst_unused:UNUSED_PAD src0_sel:BYTE_0 src1_sel:DWORD
	v_cvt_f32_i32_e32 v8, v8
	v_cvt_f16_f32_e32 v22, v8
	v_sub_u32_sdwa v8, v4, v32 dst_sel:DWORD dst_unused:UNUSED_PAD src0_sel:BYTE_1 src1_sel:DWORD
	v_cvt_f32_i32_e32 v8, v8
	v_cvt_f16_f32_e32 v23, v8
	v_sub_u32_sdwa v8, v4, v32 dst_sel:DWORD dst_unused:UNUSED_PAD src0_sel:BYTE_2 src1_sel:DWORD
	v_sub_u32_sdwa v4, v4, v32 dst_sel:DWORD dst_unused:UNUSED_PAD src0_sel:BYTE_3 src1_sel:DWORD
	v_cvt_f32_i32_e32 v4, v4
	v_cvt_f32_i32_e32 v8, v8
	v_cvt_f16_f32_e32 v25, v4
	s_waitcnt vmcnt(0)
	v_sub_u32_sdwa v4, v0, v32 dst_sel:DWORD dst_unused:UNUSED_PAD src0_sel:BYTE_0 src1_sel:DWORD
	v_cvt_f32_i32_e32 v4, v4
	v_cvt_f16_f32_e32 v24, v8
	v_cvt_f16_f32_e32 v37, v4
	v_sub_u32_sdwa v4, v0, v32 dst_sel:DWORD dst_unused:UNUSED_PAD src0_sel:BYTE_1 src1_sel:DWORD
	v_cvt_f32_i32_e32 v4, v4
	v_cvt_f16_f32_e32 v38, v4
	v_sub_u32_sdwa v4, v0, v32 dst_sel:DWORD dst_unused:UNUSED_PAD src0_sel:BYTE_2 src1_sel:DWORD
	v_sub_u32_sdwa v0, v0, v32 dst_sel:DWORD dst_unused:UNUSED_PAD src0_sel:BYTE_3 src1_sel:DWORD
	v_cvt_f32_i32_e32 v0, v0
	v_cvt_f32_i32_e32 v4, v4
	v_cvt_f16_f32_e32 v40, v0
	v_sub_u32_sdwa v0, v5, v31 dst_sel:DWORD dst_unused:UNUSED_PAD src0_sel:BYTE_0 src1_sel:DWORD
	v_cvt_f32_i32_e32 v0, v0
	v_cvt_f16_f32_e32 v39, v4
	v_cvt_f16_f32_e32 v41, v0
	v_sub_u32_sdwa v0, v5, v31 dst_sel:DWORD dst_unused:UNUSED_PAD src0_sel:BYTE_1 src1_sel:DWORD
	v_cvt_f32_i32_e32 v0, v0
	v_cvt_f16_f32_e32 v42, v0
	v_sub_u32_sdwa v0, v5, v31 dst_sel:DWORD dst_unused:UNUSED_PAD src0_sel:BYTE_2 src1_sel:DWORD
	v_cvt_f32_i32_e32 v0, v0
	v_cvt_f16_f32_e32 v43, v0
	v_sub_u32_sdwa v0, v5, v31 dst_sel:DWORD dst_unused:UNUSED_PAD src0_sel:BYTE_3 src1_sel:DWORD
	v_cvt_f32_i32_e32 v0, v0
	v_cvt_f16_f32_e32 v44, v0
	v_sub_u32_sdwa v0, v1, v31 dst_sel:DWORD dst_unused:UNUSED_PAD src0_sel:BYTE_0 src1_sel:DWORD
	v_cvt_f32_i32_e32 v0, v0
	v_cvt_f16_f32_e32 v45, v0
	v_sub_u32_sdwa v0, v1, v31 dst_sel:DWORD dst_unused:UNUSED_PAD src0_sel:BYTE_1 src1_sel:DWORD
	v_cvt_f32_i32_e32 v0, v0
	v_cvt_f16_f32_e32 v46, v0
	v_sub_u32_sdwa v0, v1, v31 dst_sel:DWORD dst_unused:UNUSED_PAD src0_sel:BYTE_2 src1_sel:DWORD
	v_cvt_f32_i32_e32 v0, v0
	v_cvt_f16_f32_e32 v47, v0
	v_sub_u32_sdwa v0, v1, v31 dst_sel:DWORD dst_unused:UNUSED_PAD src0_sel:BYTE_3 src1_sel:DWORD
	v_cvt_f32_i32_e32 v0, v0
	v_sub_u32_sdwa v1, v7, v62 dst_sel:DWORD dst_unused:UNUSED_PAD src0_sel:BYTE_3 src1_sel:DWORD
	v_cvt_f32_i32_e32 v1, v1
	v_cvt_f16_f32_e32 v48, v0
	v_sub_u32_sdwa v0, v6, v30 dst_sel:DWORD dst_unused:UNUSED_PAD src0_sel:BYTE_0 src1_sel:DWORD
	v_cvt_f32_i32_e32 v0, v0
	v_cvt_f16_f32_e32 v63, v1
	v_sub_u32_sdwa v1, v3, v62 dst_sel:DWORD dst_unused:UNUSED_PAD src0_sel:BYTE_0 src1_sel:DWORD
	v_cvt_f32_i32_e32 v1, v1
	v_cvt_f16_f32_e32 v50, v0
	v_sub_u32_sdwa v0, v6, v30 dst_sel:DWORD dst_unused:UNUSED_PAD src0_sel:BYTE_1 src1_sel:DWORD
	v_cvt_f32_i32_e32 v0, v0
	v_cvt_f16_f32_e32 v49, v1
	v_sub_u32_sdwa v1, v3, v62 dst_sel:DWORD dst_unused:UNUSED_PAD src0_sel:BYTE_1 src1_sel:DWORD
	v_cvt_f32_i32_e32 v1, v1
	v_cvt_f16_f32_e32 v51, v0
	v_sub_u32_sdwa v0, v6, v30 dst_sel:DWORD dst_unused:UNUSED_PAD src0_sel:BYTE_2 src1_sel:DWORD
	v_cvt_f32_i32_e32 v0, v0
	v_cvt_f16_f32_e32 v26, v1
	v_sub_u32_sdwa v1, v3, v62 dst_sel:DWORD dst_unused:UNUSED_PAD src0_sel:BYTE_2 src1_sel:DWORD
	v_cvt_f32_i32_e32 v1, v1
	v_cvt_f16_f32_e32 v52, v0
	v_sub_u32_sdwa v0, v6, v30 dst_sel:DWORD dst_unused:UNUSED_PAD src0_sel:BYTE_3 src1_sel:DWORD
	v_cvt_f32_i32_e32 v0, v0
	v_cvt_f16_f32_e32 v15, v1
	v_sub_u32_sdwa v1, v3, v62 dst_sel:DWORD dst_unused:UNUSED_PAD src0_sel:BYTE_3 src1_sel:DWORD
	v_cvt_f32_i32_e32 v1, v1
	v_cvt_f16_f32_e32 v53, v0
	v_sub_u32_sdwa v0, v2, v30 dst_sel:DWORD dst_unused:UNUSED_PAD src0_sel:BYTE_0 src1_sel:DWORD
	v_cvt_f32_i32_e32 v0, v0
	v_cvt_f16_f32_e32 v27, v1
	v_cvt_f16_f32_e32 v54, v0
	v_sub_u32_sdwa v0, v2, v30 dst_sel:DWORD dst_unused:UNUSED_PAD src0_sel:BYTE_1 src1_sel:DWORD
	v_cvt_f32_i32_e32 v0, v0
	v_cvt_f16_f32_e32 v55, v0
	v_sub_u32_sdwa v0, v2, v30 dst_sel:DWORD dst_unused:UNUSED_PAD src0_sel:BYTE_2 src1_sel:DWORD
	v_cvt_f32_i32_e32 v0, v0
	v_cvt_f16_f32_e32 v56, v0
	v_sub_u32_sdwa v0, v2, v30 dst_sel:DWORD dst_unused:UNUSED_PAD src0_sel:BYTE_3 src1_sel:DWORD
	v_cvt_f32_i32_e32 v0, v0
	v_cvt_f16_f32_e32 v57, v0
	v_sub_u32_sdwa v0, v7, v62 dst_sel:DWORD dst_unused:UNUSED_PAD src0_sel:BYTE_0 src1_sel:DWORD
	v_cvt_f32_i32_e32 v0, v0
	v_cvt_f16_f32_e32 v58, v0
	v_sub_u32_sdwa v0, v7, v62 dst_sel:DWORD dst_unused:UNUSED_PAD src0_sel:BYTE_1 src1_sel:DWORD
	v_cvt_f32_i32_e32 v0, v0
	v_cvt_f16_f32_e32 v59, v0
	v_sub_u32_sdwa v0, v7, v62 dst_sel:DWORD dst_unused:UNUSED_PAD src0_sel:BYTE_2 src1_sel:DWORD
	ds_read_b128 v[16:19], v28
	ds_read_b128 v[8:11], v28 offset:16
	ds_read_b128 v[4:7], v28 offset:32
	ds_read_b128 v[33:36], v28 offset:48
	buffer_load_dword v3, off, s[28:31], 0 offset:4 ; 4-byte Folded Reload
	s_waitcnt lgkmcnt(3)
	v_fma_mix_f32 v2, v41, v16, 0 op_sel_hi:[1,1,0]
	v_fma_mix_f32 v2, v42, v16, v2 op_sel:[0,1,0] op_sel_hi:[1,1,0]
	v_fma_mix_f32 v2, v43, v17, v2 op_sel_hi:[1,1,0]
	v_fma_mix_f32 v2, v44, v17, v2 op_sel:[0,1,0] op_sel_hi:[1,1,0]
	;; [unrolled: 2-line block ×4, first 2 shown]
	v_fma_mixlo_f16 v2, v2, v60, 0 op_sel:[0,1,0] op_sel_hi:[0,1,0]
	v_fma_mix_f32 v1, v22, v16, 0 op_sel_hi:[1,1,0]
	v_add_f16_sdwa v14, v21, v2 dst_sel:DWORD dst_unused:UNUSED_PAD src0_sel:WORD_1 src1_sel:DWORD
	v_fma_mix_f32 v2, v50, v16, 0 op_sel_hi:[1,1,0]
	v_fma_mix_f32 v1, v23, v16, v1 op_sel:[0,1,0] op_sel_hi:[1,1,0]
	v_fma_mix_f32 v2, v51, v16, v2 op_sel:[0,1,0] op_sel_hi:[1,1,0]
	v_fma_mix_f32 v1, v24, v17, v1 op_sel_hi:[1,1,0]
	v_fma_mix_f32 v2, v52, v17, v2 op_sel_hi:[1,1,0]
	v_cvt_f32_i32_e32 v0, v0
	v_fma_mix_f32 v1, v25, v17, v1 op_sel:[0,1,0] op_sel_hi:[1,1,0]
	v_fma_mix_f32 v2, v53, v17, v2 op_sel:[0,1,0] op_sel_hi:[1,1,0]
	v_fma_mix_f32 v1, v37, v18, v1 op_sel_hi:[1,1,0]
	v_fma_mix_f32 v2, v54, v18, v2 op_sel_hi:[1,1,0]
	v_fma_mix_f32 v1, v38, v18, v1 op_sel:[0,1,0] op_sel_hi:[1,1,0]
	v_fma_mix_f32 v2, v55, v18, v2 op_sel:[0,1,0] op_sel_hi:[1,1,0]
	v_fma_mix_f32 v1, v39, v19, v1 op_sel_hi:[1,1,0]
	v_fma_mix_f32 v2, v56, v19, v2 op_sel_hi:[1,1,0]
	v_cvt_f16_f32_e32 v0, v0
	v_fma_mix_f32 v1, v40, v19, v1 op_sel:[0,1,0] op_sel_hi:[1,1,0]
	v_fma_mix_f32 v2, v57, v19, v2 op_sel:[0,1,0] op_sel_hi:[1,1,0]
	v_fma_mixlo_f16 v1, v1, v60, 0 op_sel_hi:[0,1,0]
	v_fma_mixlo_f16 v2, v2, v61, 0 op_sel_hi:[0,1,0]
	v_add_f16_e32 v1, v21, v1
	v_add_f16_e32 v21, v20, v2
	v_fma_mix_f32 v2, v58, v16, 0 op_sel_hi:[1,1,0]
	v_fma_mix_f32 v2, v59, v16, v2 op_sel:[0,1,0] op_sel_hi:[1,1,0]
	v_fma_mix_f32 v2, v0, v17, v2 op_sel_hi:[1,1,0]
	v_fma_mix_f32 v2, v63, v17, v2 op_sel:[0,1,0] op_sel_hi:[1,1,0]
	;; [unrolled: 2-line block ×4, first 2 shown]
	ds_read_b128 v[16:19], v28 offset:256
	v_fma_mixlo_f16 v2, v2, v61, 0 op_sel:[0,1,0] op_sel_hi:[0,1,0]
	v_add_f16_sdwa v20, v20, v2 dst_sel:DWORD dst_unused:UNUSED_PAD src0_sel:WORD_1 src1_sel:DWORD
	s_waitcnt lgkmcnt(0)
	v_fma_mix_f32 v2, v22, v16, 0 op_sel_hi:[1,1,0]
	v_fma_mix_f32 v2, v23, v16, v2 op_sel:[0,1,0] op_sel_hi:[1,1,0]
	v_fma_mix_f32 v2, v24, v17, v2 op_sel_hi:[1,1,0]
	v_fma_mix_f32 v2, v25, v17, v2 op_sel:[0,1,0] op_sel_hi:[1,1,0]
	;; [unrolled: 2-line block ×4, first 2 shown]
	v_fma_mixlo_f16 v2, v2, v60, 0 op_sel_hi:[0,1,0]
	s_waitcnt vmcnt(0)
	v_add_f16_e32 v2, v3, v2
	buffer_store_dword v2, off, s[28:31], 0 offset:84 ; 4-byte Folded Spill
	v_fma_mix_f32 v2, v41, v16, 0 op_sel_hi:[1,1,0]
	v_fma_mix_f32 v2, v42, v16, v2 op_sel:[0,1,0] op_sel_hi:[1,1,0]
	v_fma_mix_f32 v2, v43, v17, v2 op_sel_hi:[1,1,0]
	v_fma_mix_f32 v2, v44, v17, v2 op_sel:[0,1,0] op_sel_hi:[1,1,0]
	;; [unrolled: 2-line block ×4, first 2 shown]
	v_fma_mixlo_f16 v2, v2, v60, 0 op_sel:[0,1,0] op_sel_hi:[0,1,0]
	v_add_f16_sdwa v2, v3, v2 dst_sel:DWORD dst_unused:UNUSED_PAD src0_sel:WORD_1 src1_sel:DWORD
	buffer_store_dword v2, off, s[28:31], 0 offset:88 ; 4-byte Folded Spill
	buffer_load_dword v2, off, s[28:31], 0  ; 4-byte Folded Reload
	v_fma_mix_f32 v3, v50, v16, 0 op_sel_hi:[1,1,0]
	v_fma_mix_f32 v3, v51, v16, v3 op_sel:[0,1,0] op_sel_hi:[1,1,0]
	v_fma_mix_f32 v3, v52, v17, v3 op_sel_hi:[1,1,0]
	v_fma_mix_f32 v3, v53, v17, v3 op_sel:[0,1,0] op_sel_hi:[1,1,0]
	;; [unrolled: 2-line block ×4, first 2 shown]
	v_fma_mixlo_f16 v3, v3, v61, 0 op_sel_hi:[0,1,0]
	s_waitcnt vmcnt(0)
	v_add_f16_e32 v3, v2, v3
	buffer_store_dword v3, off, s[28:31], 0 offset:92 ; 4-byte Folded Spill
	v_fma_mix_f32 v3, v58, v16, 0 op_sel_hi:[1,1,0]
	v_fma_mix_f32 v3, v59, v16, v3 op_sel:[0,1,0] op_sel_hi:[1,1,0]
	v_fma_mix_f32 v3, v0, v17, v3 op_sel_hi:[1,1,0]
	v_fma_mix_f32 v3, v63, v17, v3 op_sel:[0,1,0] op_sel_hi:[1,1,0]
	;; [unrolled: 2-line block ×4, first 2 shown]
	ds_read_b128 v[16:19], v28 offset:512
	v_fma_mixlo_f16 v3, v3, v61, 0 op_sel:[0,1,0] op_sel_hi:[0,1,0]
	v_add_f16_sdwa v3, v2, v3 dst_sel:DWORD dst_unused:UNUSED_PAD src0_sel:WORD_1 src1_sel:DWORD
	s_waitcnt lgkmcnt(0)
	v_fma_mix_f32 v2, v22, v16, 0 op_sel_hi:[1,1,0]
	v_fma_mix_f32 v2, v23, v16, v2 op_sel:[0,1,0] op_sel_hi:[1,1,0]
	v_fma_mix_f32 v2, v24, v17, v2 op_sel_hi:[1,1,0]
	v_fma_mix_f32 v2, v25, v17, v2 op_sel:[0,1,0] op_sel_hi:[1,1,0]
	;; [unrolled: 2-line block ×4, first 2 shown]
	v_fma_mixlo_f16 v2, v2, v60, 0 op_sel_hi:[0,1,0]
	v_add_f16_e32 v2, v29, v2
	buffer_store_dword v2, off, s[28:31], 0 offset:36 ; 4-byte Folded Spill
	v_fma_mix_f32 v2, v41, v16, 0 op_sel_hi:[1,1,0]
	v_fma_mix_f32 v2, v42, v16, v2 op_sel:[0,1,0] op_sel_hi:[1,1,0]
	v_fma_mix_f32 v2, v43, v17, v2 op_sel_hi:[1,1,0]
	v_fma_mix_f32 v2, v44, v17, v2 op_sel:[0,1,0] op_sel_hi:[1,1,0]
	;; [unrolled: 2-line block ×4, first 2 shown]
	v_fma_mixlo_f16 v2, v2, v60, 0 op_sel:[0,1,0] op_sel_hi:[0,1,0]
	v_add_f16_sdwa v2, v29, v2 dst_sel:DWORD dst_unused:UNUSED_PAD src0_sel:WORD_1 src1_sel:DWORD
	buffer_load_dword v29, off, s[28:31], 0 offset:8 ; 4-byte Folded Reload
	s_nop 0
	buffer_store_dword v2, off, s[28:31], 0 offset:40 ; 4-byte Folded Spill
	v_fma_mix_f32 v2, v50, v16, 0 op_sel_hi:[1,1,0]
	v_fma_mix_f32 v2, v51, v16, v2 op_sel:[0,1,0] op_sel_hi:[1,1,0]
	v_fma_mix_f32 v2, v52, v17, v2 op_sel_hi:[1,1,0]
	v_fma_mix_f32 v2, v53, v17, v2 op_sel:[0,1,0] op_sel_hi:[1,1,0]
	;; [unrolled: 2-line block ×4, first 2 shown]
	v_fma_mixlo_f16 v2, v2, v61, 0 op_sel_hi:[0,1,0]
	s_waitcnt vmcnt(1)
	v_add_f16_e32 v2, v29, v2
	buffer_store_dword v2, off, s[28:31], 0 offset:44 ; 4-byte Folded Spill
	v_fma_mix_f32 v2, v58, v16, 0 op_sel_hi:[1,1,0]
	v_fma_mix_f32 v2, v59, v16, v2 op_sel:[0,1,0] op_sel_hi:[1,1,0]
	v_fma_mix_f32 v2, v0, v17, v2 op_sel_hi:[1,1,0]
	v_fma_mix_f32 v2, v63, v17, v2 op_sel:[0,1,0] op_sel_hi:[1,1,0]
	;; [unrolled: 2-line block ×4, first 2 shown]
	v_fma_mixlo_f16 v2, v2, v61, 0 op_sel:[0,1,0] op_sel_hi:[0,1,0]
	v_add_f16_sdwa v2, v29, v2 dst_sel:DWORD dst_unused:UNUSED_PAD src0_sel:WORD_1 src1_sel:DWORD
	buffer_load_dword v29, off, s[28:31], 0 offset:16 ; 4-byte Folded Reload
	ds_read_b128 v[16:19], v28 offset:768
	buffer_store_dword v2, off, s[28:31], 0 offset:48 ; 4-byte Folded Spill
	s_waitcnt lgkmcnt(0)
	v_fma_mix_f32 v2, v22, v16, 0 op_sel_hi:[1,1,0]
	v_fma_mix_f32 v2, v23, v16, v2 op_sel:[0,1,0] op_sel_hi:[1,1,0]
	v_fma_mix_f32 v2, v24, v17, v2 op_sel_hi:[1,1,0]
	v_fma_mix_f32 v2, v25, v17, v2 op_sel:[0,1,0] op_sel_hi:[1,1,0]
	;; [unrolled: 2-line block ×4, first 2 shown]
	v_fma_mixlo_f16 v2, v2, v60, 0 op_sel_hi:[0,1,0]
	s_waitcnt vmcnt(1)
	v_add_f16_e32 v2, v29, v2
	buffer_store_dword v2, off, s[28:31], 0 offset:52 ; 4-byte Folded Spill
	v_fma_mix_f32 v2, v41, v16, 0 op_sel_hi:[1,1,0]
	v_fma_mix_f32 v2, v42, v16, v2 op_sel:[0,1,0] op_sel_hi:[1,1,0]
	v_fma_mix_f32 v2, v43, v17, v2 op_sel_hi:[1,1,0]
	v_fma_mix_f32 v2, v44, v17, v2 op_sel:[0,1,0] op_sel_hi:[1,1,0]
	;; [unrolled: 2-line block ×4, first 2 shown]
	v_fma_mixlo_f16 v2, v2, v60, 0 op_sel:[0,1,0] op_sel_hi:[0,1,0]
	v_add_f16_sdwa v2, v29, v2 dst_sel:DWORD dst_unused:UNUSED_PAD src0_sel:WORD_1 src1_sel:DWORD
	buffer_load_dword v29, off, s[28:31], 0 offset:12 ; 4-byte Folded Reload
	s_nop 0
	buffer_store_dword v2, off, s[28:31], 0 offset:56 ; 4-byte Folded Spill
	v_fma_mix_f32 v2, v50, v16, 0 op_sel_hi:[1,1,0]
	v_fma_mix_f32 v2, v51, v16, v2 op_sel:[0,1,0] op_sel_hi:[1,1,0]
	v_fma_mix_f32 v2, v52, v17, v2 op_sel_hi:[1,1,0]
	v_fma_mix_f32 v2, v53, v17, v2 op_sel:[0,1,0] op_sel_hi:[1,1,0]
	;; [unrolled: 2-line block ×4, first 2 shown]
	v_fma_mixlo_f16 v2, v2, v61, 0 op_sel_hi:[0,1,0]
	s_waitcnt vmcnt(1)
	v_add_f16_e32 v2, v29, v2
	buffer_store_dword v2, off, s[28:31], 0 offset:60 ; 4-byte Folded Spill
	v_fma_mix_f32 v2, v58, v16, 0 op_sel_hi:[1,1,0]
	v_fma_mix_f32 v2, v59, v16, v2 op_sel:[0,1,0] op_sel_hi:[1,1,0]
	v_fma_mix_f32 v2, v0, v17, v2 op_sel_hi:[1,1,0]
	v_fma_mix_f32 v2, v63, v17, v2 op_sel:[0,1,0] op_sel_hi:[1,1,0]
	;; [unrolled: 2-line block ×4, first 2 shown]
	v_fma_mixlo_f16 v2, v2, v61, 0 op_sel:[0,1,0] op_sel_hi:[0,1,0]
	v_add_f16_sdwa v2, v29, v2 dst_sel:DWORD dst_unused:UNUSED_PAD src0_sel:WORD_1 src1_sel:DWORD
	buffer_load_dword v29, off, s[28:31], 0 offset:24 ; 4-byte Folded Reload
	ds_read_b128 v[16:19], v28 offset:1024
	buffer_store_dword v2, off, s[28:31], 0 offset:64 ; 4-byte Folded Spill
	s_waitcnt lgkmcnt(0)
	v_fma_mix_f32 v2, v22, v16, 0 op_sel_hi:[1,1,0]
	v_fma_mix_f32 v2, v23, v16, v2 op_sel:[0,1,0] op_sel_hi:[1,1,0]
	v_fma_mix_f32 v2, v24, v17, v2 op_sel_hi:[1,1,0]
	v_fma_mix_f32 v2, v25, v17, v2 op_sel:[0,1,0] op_sel_hi:[1,1,0]
	;; [unrolled: 2-line block ×4, first 2 shown]
	v_fma_mixlo_f16 v2, v2, v60, 0 op_sel_hi:[0,1,0]
	s_waitcnt vmcnt(1)
	v_add_f16_e32 v2, v29, v2
	buffer_store_dword v2, off, s[28:31], 0 offset:68 ; 4-byte Folded Spill
	v_fma_mix_f32 v2, v41, v16, 0 op_sel_hi:[1,1,0]
	v_fma_mix_f32 v2, v42, v16, v2 op_sel:[0,1,0] op_sel_hi:[1,1,0]
	v_fma_mix_f32 v2, v43, v17, v2 op_sel_hi:[1,1,0]
	v_fma_mix_f32 v2, v44, v17, v2 op_sel:[0,1,0] op_sel_hi:[1,1,0]
	v_fma_mix_f32 v2, v45, v18, v2 op_sel_hi:[1,1,0]
	v_fma_mix_f32 v2, v46, v18, v2 op_sel:[0,1,0] op_sel_hi:[1,1,0]
	v_fma_mix_f32 v2, v47, v19, v2 op_sel_hi:[1,1,0]
	v_fma_mix_f32 v2, v48, v19, v2 op_sel:[0,1,0] op_sel_hi:[1,1,0]
	v_fma_mixlo_f16 v2, v2, v60, 0 op_sel:[0,1,0] op_sel_hi:[0,1,0]
	v_add_f16_sdwa v2, v29, v2 dst_sel:DWORD dst_unused:UNUSED_PAD src0_sel:WORD_1 src1_sel:DWORD
	buffer_load_dword v29, off, s[28:31], 0 offset:20 ; 4-byte Folded Reload
	s_nop 0
	buffer_store_dword v2, off, s[28:31], 0 offset:72 ; 4-byte Folded Spill
	v_fma_mix_f32 v2, v50, v16, 0 op_sel_hi:[1,1,0]
	v_fma_mix_f32 v2, v51, v16, v2 op_sel:[0,1,0] op_sel_hi:[1,1,0]
	v_fma_mix_f32 v2, v52, v17, v2 op_sel_hi:[1,1,0]
	v_fma_mix_f32 v2, v53, v17, v2 op_sel:[0,1,0] op_sel_hi:[1,1,0]
	;; [unrolled: 2-line block ×4, first 2 shown]
	v_fma_mixlo_f16 v2, v2, v61, 0 op_sel_hi:[0,1,0]
	s_waitcnt vmcnt(1)
	v_add_f16_e32 v2, v29, v2
	buffer_store_dword v2, off, s[28:31], 0 offset:76 ; 4-byte Folded Spill
	v_fma_mix_f32 v2, v58, v16, 0 op_sel_hi:[1,1,0]
	v_fma_mix_f32 v2, v59, v16, v2 op_sel:[0,1,0] op_sel_hi:[1,1,0]
	v_fma_mix_f32 v2, v0, v17, v2 op_sel_hi:[1,1,0]
	v_fma_mix_f32 v2, v63, v17, v2 op_sel:[0,1,0] op_sel_hi:[1,1,0]
	;; [unrolled: 2-line block ×4, first 2 shown]
	ds_read_b128 v[16:19], v28 offset:1280
	v_fma_mixlo_f16 v2, v2, v61, 0 op_sel:[0,1,0] op_sel_hi:[0,1,0]
	v_add_f16_sdwa v2, v29, v2 dst_sel:DWORD dst_unused:UNUSED_PAD src0_sel:WORD_1 src1_sel:DWORD
	buffer_store_dword v2, off, s[28:31], 0 offset:80 ; 4-byte Folded Spill
	s_waitcnt lgkmcnt(0)
	v_fma_mix_f32 v2, v22, v16, 0 op_sel_hi:[1,1,0]
	buffer_load_dword v22, off, s[28:31], 0 offset:32 ; 4-byte Folded Reload
	v_fma_mix_f32 v2, v23, v16, v2 op_sel:[0,1,0] op_sel_hi:[1,1,0]
	v_fma_mix_f32 v2, v24, v17, v2 op_sel_hi:[1,1,0]
	v_fma_mix_f32 v2, v25, v17, v2 op_sel:[0,1,0] op_sel_hi:[1,1,0]
	v_fma_mix_f32 v2, v37, v18, v2 op_sel_hi:[1,1,0]
	;; [unrolled: 2-line block ×3, first 2 shown]
	v_fma_mix_f32 v2, v40, v19, v2 op_sel:[0,1,0] op_sel_hi:[1,1,0]
	v_fma_mixlo_f16 v2, v2, v60, 0 op_sel_hi:[0,1,0]
	s_waitcnt vmcnt(0)
	v_add_f16_e32 v29, v22, v2
	v_fma_mix_f32 v2, v41, v16, 0 op_sel_hi:[1,1,0]
	v_fma_mix_f32 v2, v42, v16, v2 op_sel:[0,1,0] op_sel_hi:[1,1,0]
	v_fma_mix_f32 v2, v43, v17, v2 op_sel_hi:[1,1,0]
	v_fma_mix_f32 v2, v44, v17, v2 op_sel:[0,1,0] op_sel_hi:[1,1,0]
	;; [unrolled: 2-line block ×4, first 2 shown]
	v_fma_mixlo_f16 v2, v2, v60, 0 op_sel:[0,1,0] op_sel_hi:[0,1,0]
	v_add_f16_sdwa v2, v22, v2 dst_sel:DWORD dst_unused:UNUSED_PAD src0_sel:WORD_1 src1_sel:DWORD
	buffer_load_dword v22, off, s[28:31], 0 offset:28 ; 4-byte Folded Reload
	s_nop 0
	buffer_store_dword v2, off, s[28:31], 0 offset:16 ; 4-byte Folded Spill
	v_fma_mix_f32 v2, v50, v16, 0 op_sel_hi:[1,1,0]
	v_fma_mix_f32 v2, v51, v16, v2 op_sel:[0,1,0] op_sel_hi:[1,1,0]
	v_fma_mix_f32 v2, v52, v17, v2 op_sel_hi:[1,1,0]
	v_fma_mix_f32 v2, v53, v17, v2 op_sel:[0,1,0] op_sel_hi:[1,1,0]
	;; [unrolled: 2-line block ×4, first 2 shown]
	v_fma_mixlo_f16 v2, v2, v61, 0 op_sel_hi:[0,1,0]
	s_waitcnt vmcnt(1)
	v_add_f16_e32 v2, v22, v2
	buffer_store_dword v2, off, s[28:31], 0 offset:12 ; 4-byte Folded Spill
	v_fma_mix_f32 v2, v58, v16, 0 op_sel_hi:[1,1,0]
	v_fma_mix_f32 v2, v59, v16, v2 op_sel:[0,1,0] op_sel_hi:[1,1,0]
	v_fma_mix_f32 v0, v0, v17, v2 op_sel_hi:[1,1,0]
	v_fma_mix_f32 v0, v63, v17, v0 op_sel:[0,1,0] op_sel_hi:[1,1,0]
	;; [unrolled: 2-line block ×4, first 2 shown]
	v_fma_mixlo_f16 v0, v0, v61, 0 op_sel:[0,1,0] op_sel_hi:[0,1,0]
	v_add_f16_sdwa v27, v22, v0 dst_sel:DWORD dst_unused:UNUSED_PAD src0_sel:WORD_1 src1_sel:DWORD
	buffer_load_dword v0, off, s[28:31], 0 offset:96 ; 4-byte Folded Reload
	s_waitcnt vmcnt(0)
	v_addc_co_u32_e32 v13, vcc, v13, v0, vcc
	global_load_dwordx4 v[15:18], v[12:13], off
	v_add_co_u32_e32 v12, vcc, s0, v12
	v_addc_co_u32_e32 v13, vcc, v13, v0, vcc
	global_load_dwordx4 v[22:25], v[12:13], off
	v_mov_b32_e32 v19, v0
	s_waitcnt vmcnt(1)
	v_sub_u32_sdwa v0, v15, v32 dst_sel:DWORD dst_unused:UNUSED_PAD src0_sel:BYTE_0 src1_sel:DWORD
	v_cvt_f32_i32_e32 v0, v0
	v_cvt_f16_f32_e32 v37, v0
	v_sub_u32_sdwa v0, v15, v32 dst_sel:DWORD dst_unused:UNUSED_PAD src0_sel:BYTE_1 src1_sel:DWORD
	v_cvt_f32_i32_e32 v0, v0
	v_cvt_f16_f32_e32 v38, v0
	v_sub_u32_sdwa v0, v15, v32 dst_sel:DWORD dst_unused:UNUSED_PAD src0_sel:BYTE_2 src1_sel:DWORD
	v_cvt_f32_i32_e32 v0, v0
	v_cvt_f16_f32_e32 v39, v0
	v_sub_u32_sdwa v0, v15, v32 dst_sel:DWORD dst_unused:UNUSED_PAD src0_sel:BYTE_3 src1_sel:DWORD
	v_cvt_f32_i32_e32 v0, v0
	v_cvt_f16_f32_e32 v40, v0
	s_waitcnt vmcnt(0)
	v_sub_u32_sdwa v0, v22, v32 dst_sel:DWORD dst_unused:UNUSED_PAD src0_sel:BYTE_0 src1_sel:DWORD
	v_cvt_f32_i32_e32 v0, v0
	v_cvt_f16_f32_e32 v41, v0
	v_sub_u32_sdwa v0, v22, v32 dst_sel:DWORD dst_unused:UNUSED_PAD src0_sel:BYTE_1 src1_sel:DWORD
	v_cvt_f32_i32_e32 v0, v0
	v_cvt_f16_f32_e32 v43, v0
	v_sub_u32_sdwa v0, v22, v32 dst_sel:DWORD dst_unused:UNUSED_PAD src0_sel:BYTE_2 src1_sel:DWORD
	v_cvt_f32_i32_e32 v0, v0
	v_cvt_f16_f32_e32 v45, v0
	v_sub_u32_sdwa v0, v22, v32 dst_sel:DWORD dst_unused:UNUSED_PAD src0_sel:BYTE_3 src1_sel:DWORD
	v_cvt_f32_i32_e32 v0, v0
	v_mov_b32_e32 v22, v62
	v_sub_u32_sdwa v2, v18, v22 dst_sel:DWORD dst_unused:UNUSED_PAD src0_sel:BYTE_2 src1_sel:DWORD
	v_cvt_f32_i32_e32 v2, v2
	v_cvt_f16_f32_e32 v47, v0
	v_sub_u32_sdwa v0, v16, v31 dst_sel:DWORD dst_unused:UNUSED_PAD src0_sel:BYTE_0 src1_sel:DWORD
	v_cvt_f32_i32_e32 v0, v0
	v_cvt_f16_f32_e32 v62, v2
	v_sub_u32_sdwa v2, v18, v22 dst_sel:DWORD dst_unused:UNUSED_PAD src0_sel:BYTE_3 src1_sel:DWORD
	v_cvt_f32_i32_e32 v2, v2
	v_cvt_f16_f32_e32 v42, v0
	v_sub_u32_sdwa v0, v16, v31 dst_sel:DWORD dst_unused:UNUSED_PAD src0_sel:BYTE_1 src1_sel:DWORD
	v_cvt_f32_i32_e32 v0, v0
	v_cvt_f16_f32_e32 v44, v0
	v_sub_u32_sdwa v0, v16, v31 dst_sel:DWORD dst_unused:UNUSED_PAD src0_sel:BYTE_2 src1_sel:DWORD
	v_cvt_f32_i32_e32 v0, v0
	v_cvt_f16_f32_e32 v46, v0
	v_sub_u32_sdwa v0, v16, v31 dst_sel:DWORD dst_unused:UNUSED_PAD src0_sel:BYTE_3 src1_sel:DWORD
	v_cvt_f32_i32_e32 v0, v0
	v_cvt_f16_f32_e32 v48, v0
	v_sub_u32_sdwa v0, v23, v31 dst_sel:DWORD dst_unused:UNUSED_PAD src0_sel:BYTE_0 src1_sel:DWORD
	v_cvt_f32_i32_e32 v0, v0
	v_cvt_f16_f32_e32 v49, v0
	v_sub_u32_sdwa v0, v23, v31 dst_sel:DWORD dst_unused:UNUSED_PAD src0_sel:BYTE_1 src1_sel:DWORD
	v_cvt_f32_i32_e32 v0, v0
	v_cvt_f16_f32_e32 v51, v0
	v_sub_u32_sdwa v0, v23, v31 dst_sel:DWORD dst_unused:UNUSED_PAD src0_sel:BYTE_2 src1_sel:DWORD
	v_cvt_f32_i32_e32 v0, v0
	v_cvt_f16_f32_e32 v53, v0
	v_sub_u32_sdwa v0, v23, v31 dst_sel:DWORD dst_unused:UNUSED_PAD src0_sel:BYTE_3 src1_sel:DWORD
	v_cvt_f32_i32_e32 v0, v0
	v_cvt_f16_f32_e32 v55, v0
	v_sub_u32_sdwa v0, v17, v30 dst_sel:DWORD dst_unused:UNUSED_PAD src0_sel:BYTE_0 src1_sel:DWORD
	;; [unrolled: 12-line block ×4, first 2 shown]
	v_cvt_f32_i32_e32 v0, v0
	v_cvt_f16_f32_e32 v58, v0
	v_sub_u32_sdwa v0, v18, v22 dst_sel:DWORD dst_unused:UNUSED_PAD src0_sel:BYTE_1 src1_sel:DWORD
	v_cvt_f16_f32_e32 v18, v2
	v_sub_u32_sdwa v2, v25, v22 dst_sel:DWORD dst_unused:UNUSED_PAD src0_sel:BYTE_0 src1_sel:DWORD
	v_cvt_f32_i32_e32 v2, v2
	v_cvt_f32_i32_e32 v0, v0
	v_cvt_f16_f32_e32 v16, v2
	v_sub_u32_sdwa v2, v25, v22 dst_sel:DWORD dst_unused:UNUSED_PAD src0_sel:BYTE_1 src1_sel:DWORD
	v_cvt_f32_i32_e32 v2, v2
	v_cvt_f16_f32_e32 v0, v0
	v_cvt_f16_f32_e32 v23, v2
	v_sub_u32_sdwa v2, v25, v22 dst_sel:DWORD dst_unused:UNUSED_PAD src0_sel:BYTE_2 src1_sel:DWORD
	v_cvt_f32_i32_e32 v2, v2
	v_cvt_f16_f32_e32 v24, v2
	v_sub_u32_sdwa v2, v25, v22 dst_sel:DWORD dst_unused:UNUSED_PAD src0_sel:BYTE_3 src1_sel:DWORD
	v_cvt_f32_i32_e32 v2, v2
	v_cvt_f16_f32_e32 v25, v2
	v_fma_mix_f32 v2, v37, v8, 0 op_sel_hi:[1,1,0]
	v_fma_mix_f32 v2, v38, v8, v2 op_sel:[0,1,0] op_sel_hi:[1,1,0]
	v_fma_mix_f32 v2, v39, v9, v2 op_sel_hi:[1,1,0]
	v_fma_mix_f32 v2, v40, v9, v2 op_sel:[0,1,0] op_sel_hi:[1,1,0]
	v_fma_mix_f32 v2, v41, v10, v2 op_sel_hi:[1,1,0]
	v_fma_mix_f32 v2, v43, v10, v2 op_sel:[0,1,0] op_sel_hi:[1,1,0]
	v_fma_mix_f32 v2, v45, v11, v2 op_sel_hi:[1,1,0]
	v_fma_mix_f32 v2, v47, v11, v2 op_sel:[0,1,0] op_sel_hi:[1,1,0]
	v_fma_mixlo_f16 v2, v2, v60, 0 op_sel_hi:[0,1,0]
	v_add_f16_e32 v1, v1, v2
	buffer_load_dword v2, off, s[28:31], 0 offset:84 ; 4-byte Folded Reload
	s_nop 0
	buffer_store_dword v1, off, s[28:31], 0 offset:8 ; 4-byte Folded Spill
	v_fma_mix_f32 v1, v42, v8, 0 op_sel_hi:[1,1,0]
	v_fma_mix_f32 v1, v44, v8, v1 op_sel:[0,1,0] op_sel_hi:[1,1,0]
	v_fma_mix_f32 v1, v46, v9, v1 op_sel_hi:[1,1,0]
	v_fma_mix_f32 v1, v48, v9, v1 op_sel:[0,1,0] op_sel_hi:[1,1,0]
	;; [unrolled: 2-line block ×4, first 2 shown]
	v_fma_mixlo_f16 v1, v1, v60, 0 op_sel:[0,1,0] op_sel_hi:[0,1,0]
	v_add_f16_e32 v1, v14, v1
	buffer_store_dword v1, off, s[28:31], 0 offset:4 ; 4-byte Folded Spill
	v_fma_mix_f32 v1, v50, v8, 0 op_sel_hi:[1,1,0]
	v_fma_mix_f32 v1, v52, v8, v1 op_sel:[0,1,0] op_sel_hi:[1,1,0]
	v_fma_mix_f32 v1, v54, v9, v1 op_sel_hi:[1,1,0]
	v_fma_mix_f32 v1, v56, v9, v1 op_sel:[0,1,0] op_sel_hi:[1,1,0]
	;; [unrolled: 2-line block ×4, first 2 shown]
	v_fma_mixlo_f16 v1, v1, v61, 0 op_sel_hi:[0,1,0]
	v_add_f16_e32 v1, v21, v1
	buffer_store_dword v1, off, s[28:31], 0 ; 4-byte Folded Spill
	v_fma_mix_f32 v1, v58, v8, 0 op_sel_hi:[1,1,0]
	v_fma_mix_f32 v1, v0, v8, v1 op_sel:[0,1,0] op_sel_hi:[1,1,0]
	v_fma_mix_f32 v1, v62, v9, v1 op_sel_hi:[1,1,0]
	v_fma_mix_f32 v1, v18, v9, v1 op_sel:[0,1,0] op_sel_hi:[1,1,0]
	;; [unrolled: 2-line block ×4, first 2 shown]
	ds_read_b128 v[8:11], v28 offset:272
	v_fma_mixlo_f16 v1, v1, v61, 0 op_sel:[0,1,0] op_sel_hi:[0,1,0]
	v_add_f16_e32 v26, v20, v1
	s_waitcnt lgkmcnt(0)
	v_fma_mix_f32 v1, v37, v8, 0 op_sel_hi:[1,1,0]
	v_fma_mix_f32 v1, v38, v8, v1 op_sel:[0,1,0] op_sel_hi:[1,1,0]
	v_fma_mix_f32 v1, v39, v9, v1 op_sel_hi:[1,1,0]
	v_fma_mix_f32 v1, v40, v9, v1 op_sel:[0,1,0] op_sel_hi:[1,1,0]
	;; [unrolled: 2-line block ×4, first 2 shown]
	v_fma_mixlo_f16 v1, v1, v60, 0 op_sel_hi:[0,1,0]
	s_waitcnt vmcnt(3)
	v_add_f16_e32 v1, v2, v1
	buffer_load_dword v2, off, s[28:31], 0 offset:88 ; 4-byte Folded Reload
	s_nop 0
	buffer_store_dword v1, off, s[28:31], 0 offset:20 ; 4-byte Folded Spill
	v_fma_mix_f32 v1, v42, v8, 0 op_sel_hi:[1,1,0]
	v_fma_mix_f32 v1, v44, v8, v1 op_sel:[0,1,0] op_sel_hi:[1,1,0]
	v_fma_mix_f32 v1, v46, v9, v1 op_sel_hi:[1,1,0]
	v_fma_mix_f32 v1, v48, v9, v1 op_sel:[0,1,0] op_sel_hi:[1,1,0]
	;; [unrolled: 2-line block ×4, first 2 shown]
	v_fma_mixlo_f16 v1, v1, v60, 0 op_sel:[0,1,0] op_sel_hi:[0,1,0]
	s_waitcnt vmcnt(1)
	v_add_f16_e32 v1, v2, v1
	buffer_load_dword v2, off, s[28:31], 0 offset:92 ; 4-byte Folded Reload
	s_nop 0
	buffer_store_dword v1, off, s[28:31], 0 offset:24 ; 4-byte Folded Spill
	v_fma_mix_f32 v1, v50, v8, 0 op_sel_hi:[1,1,0]
	v_fma_mix_f32 v1, v52, v8, v1 op_sel:[0,1,0] op_sel_hi:[1,1,0]
	v_fma_mix_f32 v1, v54, v9, v1 op_sel_hi:[1,1,0]
	v_fma_mix_f32 v1, v56, v9, v1 op_sel:[0,1,0] op_sel_hi:[1,1,0]
	;; [unrolled: 2-line block ×4, first 2 shown]
	v_fma_mixlo_f16 v1, v1, v61, 0 op_sel_hi:[0,1,0]
	s_waitcnt vmcnt(1)
	v_add_f16_e32 v1, v2, v1
	buffer_load_dword v2, off, s[28:31], 0 offset:36 ; 4-byte Folded Reload
	s_nop 0
	buffer_store_dword v1, off, s[28:31], 0 offset:28 ; 4-byte Folded Spill
	v_fma_mix_f32 v1, v58, v8, 0 op_sel_hi:[1,1,0]
	v_fma_mix_f32 v1, v0, v8, v1 op_sel:[0,1,0] op_sel_hi:[1,1,0]
	v_fma_mix_f32 v1, v62, v9, v1 op_sel_hi:[1,1,0]
	v_fma_mix_f32 v1, v18, v9, v1 op_sel:[0,1,0] op_sel_hi:[1,1,0]
	;; [unrolled: 2-line block ×4, first 2 shown]
	ds_read_b128 v[8:11], v28 offset:528
	v_fma_mixlo_f16 v1, v1, v61, 0 op_sel:[0,1,0] op_sel_hi:[0,1,0]
	v_add_f16_e32 v1, v3, v1
	buffer_store_dword v1, off, s[28:31], 0 offset:32 ; 4-byte Folded Spill
	s_waitcnt lgkmcnt(0)
	v_fma_mix_f32 v1, v37, v8, 0 op_sel_hi:[1,1,0]
	v_fma_mix_f32 v1, v38, v8, v1 op_sel:[0,1,0] op_sel_hi:[1,1,0]
	v_fma_mix_f32 v1, v39, v9, v1 op_sel_hi:[1,1,0]
	v_fma_mix_f32 v1, v40, v9, v1 op_sel:[0,1,0] op_sel_hi:[1,1,0]
	v_fma_mix_f32 v1, v41, v10, v1 op_sel_hi:[1,1,0]
	v_fma_mix_f32 v1, v43, v10, v1 op_sel:[0,1,0] op_sel_hi:[1,1,0]
	v_fma_mix_f32 v1, v45, v11, v1 op_sel_hi:[1,1,0]
	v_fma_mix_f32 v1, v47, v11, v1 op_sel:[0,1,0] op_sel_hi:[1,1,0]
	v_fma_mixlo_f16 v1, v1, v60, 0 op_sel_hi:[0,1,0]
	s_waitcnt vmcnt(2)
	v_add_f16_e32 v1, v2, v1
	buffer_load_dword v2, off, s[28:31], 0 offset:40 ; 4-byte Folded Reload
	s_nop 0
	buffer_store_dword v1, off, s[28:31], 0 offset:36 ; 4-byte Folded Spill
	v_fma_mix_f32 v1, v42, v8, 0 op_sel_hi:[1,1,0]
	v_fma_mix_f32 v1, v44, v8, v1 op_sel:[0,1,0] op_sel_hi:[1,1,0]
	v_fma_mix_f32 v1, v46, v9, v1 op_sel_hi:[1,1,0]
	v_fma_mix_f32 v1, v48, v9, v1 op_sel:[0,1,0] op_sel_hi:[1,1,0]
	v_fma_mix_f32 v1, v49, v10, v1 op_sel_hi:[1,1,0]
	v_fma_mix_f32 v1, v51, v10, v1 op_sel:[0,1,0] op_sel_hi:[1,1,0]
	v_fma_mix_f32 v1, v53, v11, v1 op_sel_hi:[1,1,0]
	v_fma_mix_f32 v1, v55, v11, v1 op_sel:[0,1,0] op_sel_hi:[1,1,0]
	v_fma_mixlo_f16 v1, v1, v60, 0 op_sel:[0,1,0] op_sel_hi:[0,1,0]
	s_waitcnt vmcnt(1)
	v_add_f16_e32 v1, v2, v1
	buffer_load_dword v2, off, s[28:31], 0 offset:44 ; 4-byte Folded Reload
	s_nop 0
	buffer_store_dword v1, off, s[28:31], 0 offset:40 ; 4-byte Folded Spill
	v_fma_mix_f32 v1, v50, v8, 0 op_sel_hi:[1,1,0]
	v_fma_mix_f32 v1, v52, v8, v1 op_sel:[0,1,0] op_sel_hi:[1,1,0]
	v_fma_mix_f32 v1, v54, v9, v1 op_sel_hi:[1,1,0]
	v_fma_mix_f32 v1, v56, v9, v1 op_sel:[0,1,0] op_sel_hi:[1,1,0]
	v_fma_mix_f32 v1, v57, v10, v1 op_sel_hi:[1,1,0]
	v_fma_mix_f32 v1, v59, v10, v1 op_sel:[0,1,0] op_sel_hi:[1,1,0]
	v_fma_mix_f32 v1, v15, v11, v1 op_sel_hi:[1,1,0]
	v_fma_mix_f32 v1, v63, v11, v1 op_sel:[0,1,0] op_sel_hi:[1,1,0]
	v_fma_mixlo_f16 v1, v1, v61, 0 op_sel_hi:[0,1,0]
	s_waitcnt vmcnt(1)
	v_add_f16_e32 v1, v2, v1
	buffer_load_dword v2, off, s[28:31], 0 offset:48 ; 4-byte Folded Reload
	s_nop 0
	buffer_store_dword v1, off, s[28:31], 0 offset:44 ; 4-byte Folded Spill
	v_fma_mix_f32 v1, v58, v8, 0 op_sel_hi:[1,1,0]
	v_fma_mix_f32 v1, v0, v8, v1 op_sel:[0,1,0] op_sel_hi:[1,1,0]
	v_fma_mix_f32 v1, v62, v9, v1 op_sel_hi:[1,1,0]
	v_fma_mix_f32 v1, v18, v9, v1 op_sel:[0,1,0] op_sel_hi:[1,1,0]
	v_fma_mix_f32 v1, v16, v10, v1 op_sel_hi:[1,1,0]
	v_fma_mix_f32 v1, v23, v10, v1 op_sel:[0,1,0] op_sel_hi:[1,1,0]
	v_fma_mix_f32 v1, v24, v11, v1 op_sel_hi:[1,1,0]
	v_fma_mix_f32 v1, v25, v11, v1 op_sel:[0,1,0] op_sel_hi:[1,1,0]
	v_fma_mixlo_f16 v1, v1, v61, 0 op_sel:[0,1,0] op_sel_hi:[0,1,0]
	ds_read_b128 v[8:11], v28 offset:784
	s_waitcnt vmcnt(1)
	v_add_f16_e32 v1, v2, v1
	buffer_load_dword v2, off, s[28:31], 0 offset:52 ; 4-byte Folded Reload
	s_nop 0
	buffer_store_dword v1, off, s[28:31], 0 offset:48 ; 4-byte Folded Spill
	s_waitcnt lgkmcnt(0)
	v_fma_mix_f32 v1, v37, v8, 0 op_sel_hi:[1,1,0]
	v_fma_mix_f32 v1, v38, v8, v1 op_sel:[0,1,0] op_sel_hi:[1,1,0]
	v_fma_mix_f32 v1, v39, v9, v1 op_sel_hi:[1,1,0]
	v_fma_mix_f32 v1, v40, v9, v1 op_sel:[0,1,0] op_sel_hi:[1,1,0]
	v_fma_mix_f32 v1, v41, v10, v1 op_sel_hi:[1,1,0]
	v_fma_mix_f32 v1, v43, v10, v1 op_sel:[0,1,0] op_sel_hi:[1,1,0]
	v_fma_mix_f32 v1, v45, v11, v1 op_sel_hi:[1,1,0]
	v_fma_mix_f32 v1, v47, v11, v1 op_sel:[0,1,0] op_sel_hi:[1,1,0]
	v_fma_mixlo_f16 v1, v1, v60, 0 op_sel_hi:[0,1,0]
	s_waitcnt vmcnt(1)
	v_add_f16_e32 v1, v2, v1
	buffer_load_dword v2, off, s[28:31], 0 offset:56 ; 4-byte Folded Reload
	s_nop 0
	buffer_store_dword v1, off, s[28:31], 0 offset:52 ; 4-byte Folded Spill
	v_fma_mix_f32 v1, v42, v8, 0 op_sel_hi:[1,1,0]
	v_fma_mix_f32 v1, v44, v8, v1 op_sel:[0,1,0] op_sel_hi:[1,1,0]
	v_fma_mix_f32 v1, v46, v9, v1 op_sel_hi:[1,1,0]
	v_fma_mix_f32 v1, v48, v9, v1 op_sel:[0,1,0] op_sel_hi:[1,1,0]
	v_fma_mix_f32 v1, v49, v10, v1 op_sel_hi:[1,1,0]
	v_fma_mix_f32 v1, v51, v10, v1 op_sel:[0,1,0] op_sel_hi:[1,1,0]
	v_fma_mix_f32 v1, v53, v11, v1 op_sel_hi:[1,1,0]
	v_fma_mix_f32 v1, v55, v11, v1 op_sel:[0,1,0] op_sel_hi:[1,1,0]
	v_fma_mixlo_f16 v1, v1, v60, 0 op_sel:[0,1,0] op_sel_hi:[0,1,0]
	s_waitcnt vmcnt(1)
	v_add_f16_e32 v1, v2, v1
	buffer_load_dword v2, off, s[28:31], 0 offset:60 ; 4-byte Folded Reload
	s_nop 0
	buffer_store_dword v1, off, s[28:31], 0 offset:56 ; 4-byte Folded Spill
	v_fma_mix_f32 v1, v50, v8, 0 op_sel_hi:[1,1,0]
	v_fma_mix_f32 v1, v52, v8, v1 op_sel:[0,1,0] op_sel_hi:[1,1,0]
	v_fma_mix_f32 v1, v54, v9, v1 op_sel_hi:[1,1,0]
	v_fma_mix_f32 v1, v56, v9, v1 op_sel:[0,1,0] op_sel_hi:[1,1,0]
	v_fma_mix_f32 v1, v57, v10, v1 op_sel_hi:[1,1,0]
	v_fma_mix_f32 v1, v59, v10, v1 op_sel:[0,1,0] op_sel_hi:[1,1,0]
	v_fma_mix_f32 v1, v15, v11, v1 op_sel_hi:[1,1,0]
	v_fma_mix_f32 v1, v63, v11, v1 op_sel:[0,1,0] op_sel_hi:[1,1,0]
	v_fma_mixlo_f16 v1, v1, v61, 0 op_sel_hi:[0,1,0]
	s_waitcnt vmcnt(1)
	v_add_f16_e32 v1, v2, v1
	buffer_load_dword v2, off, s[28:31], 0 offset:64 ; 4-byte Folded Reload
	s_nop 0
	buffer_store_dword v1, off, s[28:31], 0 offset:60 ; 4-byte Folded Spill
	v_fma_mix_f32 v1, v58, v8, 0 op_sel_hi:[1,1,0]
	v_fma_mix_f32 v1, v0, v8, v1 op_sel:[0,1,0] op_sel_hi:[1,1,0]
	v_fma_mix_f32 v1, v62, v9, v1 op_sel_hi:[1,1,0]
	v_fma_mix_f32 v1, v18, v9, v1 op_sel:[0,1,0] op_sel_hi:[1,1,0]
	v_fma_mix_f32 v1, v16, v10, v1 op_sel_hi:[1,1,0]
	v_fma_mix_f32 v1, v23, v10, v1 op_sel:[0,1,0] op_sel_hi:[1,1,0]
	v_fma_mix_f32 v1, v24, v11, v1 op_sel_hi:[1,1,0]
	v_fma_mix_f32 v1, v25, v11, v1 op_sel:[0,1,0] op_sel_hi:[1,1,0]
	v_fma_mixlo_f16 v1, v1, v61, 0 op_sel:[0,1,0] op_sel_hi:[0,1,0]
	ds_read_b128 v[8:11], v28 offset:1040
	s_waitcnt vmcnt(1)
	v_add_f16_e32 v1, v2, v1
	buffer_load_dword v2, off, s[28:31], 0 offset:68 ; 4-byte Folded Reload
	s_nop 0
	buffer_store_dword v1, off, s[28:31], 0 offset:64 ; 4-byte Folded Spill
	s_waitcnt lgkmcnt(0)
	v_fma_mix_f32 v1, v37, v8, 0 op_sel_hi:[1,1,0]
	v_fma_mix_f32 v1, v38, v8, v1 op_sel:[0,1,0] op_sel_hi:[1,1,0]
	v_fma_mix_f32 v1, v39, v9, v1 op_sel_hi:[1,1,0]
	v_fma_mix_f32 v1, v40, v9, v1 op_sel:[0,1,0] op_sel_hi:[1,1,0]
	v_fma_mix_f32 v1, v41, v10, v1 op_sel_hi:[1,1,0]
	v_fma_mix_f32 v1, v43, v10, v1 op_sel:[0,1,0] op_sel_hi:[1,1,0]
	v_fma_mix_f32 v1, v45, v11, v1 op_sel_hi:[1,1,0]
	v_fma_mix_f32 v1, v47, v11, v1 op_sel:[0,1,0] op_sel_hi:[1,1,0]
	v_fma_mixlo_f16 v1, v1, v60, 0 op_sel_hi:[0,1,0]
	s_waitcnt vmcnt(1)
	v_add_f16_e32 v1, v2, v1
	buffer_load_dword v2, off, s[28:31], 0 offset:72 ; 4-byte Folded Reload
	s_nop 0
	buffer_store_dword v1, off, s[28:31], 0 offset:68 ; 4-byte Folded Spill
	v_fma_mix_f32 v1, v42, v8, 0 op_sel_hi:[1,1,0]
	v_fma_mix_f32 v1, v44, v8, v1 op_sel:[0,1,0] op_sel_hi:[1,1,0]
	v_fma_mix_f32 v1, v46, v9, v1 op_sel_hi:[1,1,0]
	v_fma_mix_f32 v1, v48, v9, v1 op_sel:[0,1,0] op_sel_hi:[1,1,0]
	v_fma_mix_f32 v1, v49, v10, v1 op_sel_hi:[1,1,0]
	v_fma_mix_f32 v1, v51, v10, v1 op_sel:[0,1,0] op_sel_hi:[1,1,0]
	v_fma_mix_f32 v1, v53, v11, v1 op_sel_hi:[1,1,0]
	v_fma_mix_f32 v1, v55, v11, v1 op_sel:[0,1,0] op_sel_hi:[1,1,0]
	v_fma_mixlo_f16 v1, v1, v60, 0 op_sel:[0,1,0] op_sel_hi:[0,1,0]
	s_waitcnt vmcnt(1)
	v_add_f16_e32 v1, v2, v1
	buffer_load_dword v2, off, s[28:31], 0 offset:76 ; 4-byte Folded Reload
	s_nop 0
	buffer_store_dword v1, off, s[28:31], 0 offset:72 ; 4-byte Folded Spill
	v_fma_mix_f32 v1, v50, v8, 0 op_sel_hi:[1,1,0]
	v_fma_mix_f32 v1, v52, v8, v1 op_sel:[0,1,0] op_sel_hi:[1,1,0]
	v_fma_mix_f32 v1, v54, v9, v1 op_sel_hi:[1,1,0]
	v_fma_mix_f32 v1, v56, v9, v1 op_sel:[0,1,0] op_sel_hi:[1,1,0]
	v_fma_mix_f32 v1, v57, v10, v1 op_sel_hi:[1,1,0]
	v_fma_mix_f32 v1, v59, v10, v1 op_sel:[0,1,0] op_sel_hi:[1,1,0]
	v_fma_mix_f32 v1, v15, v11, v1 op_sel_hi:[1,1,0]
	v_fma_mix_f32 v1, v63, v11, v1 op_sel:[0,1,0] op_sel_hi:[1,1,0]
	v_fma_mixlo_f16 v1, v1, v61, 0 op_sel_hi:[0,1,0]
	s_waitcnt vmcnt(1)
	v_add_f16_e32 v1, v2, v1
	buffer_load_dword v2, off, s[28:31], 0 offset:80 ; 4-byte Folded Reload
	s_nop 0
	buffer_store_dword v1, off, s[28:31], 0 offset:76 ; 4-byte Folded Spill
	v_fma_mix_f32 v1, v58, v8, 0 op_sel_hi:[1,1,0]
	v_fma_mix_f32 v1, v0, v8, v1 op_sel:[0,1,0] op_sel_hi:[1,1,0]
	v_fma_mix_f32 v1, v62, v9, v1 op_sel_hi:[1,1,0]
	v_fma_mix_f32 v1, v18, v9, v1 op_sel:[0,1,0] op_sel_hi:[1,1,0]
	v_fma_mix_f32 v1, v16, v10, v1 op_sel_hi:[1,1,0]
	v_fma_mix_f32 v1, v23, v10, v1 op_sel:[0,1,0] op_sel_hi:[1,1,0]
	v_fma_mix_f32 v1, v24, v11, v1 op_sel_hi:[1,1,0]
	v_fma_mix_f32 v1, v25, v11, v1 op_sel:[0,1,0] op_sel_hi:[1,1,0]
	v_fma_mixlo_f16 v1, v1, v61, 0 op_sel:[0,1,0] op_sel_hi:[0,1,0]
	ds_read_b128 v[8:11], v28 offset:1296
	s_waitcnt vmcnt(1)
	v_add_f16_e32 v1, v2, v1
	buffer_load_dword v2, off, s[28:31], 0 offset:16 ; 4-byte Folded Reload
	s_nop 0
	buffer_store_dword v1, off, s[28:31], 0 offset:80 ; 4-byte Folded Spill
	s_waitcnt lgkmcnt(0)
	v_fma_mix_f32 v1, v37, v8, 0 op_sel_hi:[1,1,0]
	v_fma_mix_f32 v1, v38, v8, v1 op_sel:[0,1,0] op_sel_hi:[1,1,0]
	v_fma_mix_f32 v1, v39, v9, v1 op_sel_hi:[1,1,0]
	v_fma_mix_f32 v1, v40, v9, v1 op_sel:[0,1,0] op_sel_hi:[1,1,0]
	;; [unrolled: 2-line block ×4, first 2 shown]
	v_fma_mixlo_f16 v1, v1, v60, 0 op_sel_hi:[0,1,0]
	v_add_f16_e32 v29, v29, v1
	v_fma_mix_f32 v1, v42, v8, 0 op_sel_hi:[1,1,0]
	v_fma_mix_f32 v1, v44, v8, v1 op_sel:[0,1,0] op_sel_hi:[1,1,0]
	v_fma_mix_f32 v1, v46, v9, v1 op_sel_hi:[1,1,0]
	v_fma_mix_f32 v1, v48, v9, v1 op_sel:[0,1,0] op_sel_hi:[1,1,0]
	;; [unrolled: 2-line block ×4, first 2 shown]
	v_fma_mixlo_f16 v1, v1, v60, 0 op_sel:[0,1,0] op_sel_hi:[0,1,0]
	s_waitcnt vmcnt(1)
	v_add_f16_e32 v37, v2, v1
	buffer_load_dword v2, off, s[28:31], 0 offset:12 ; 4-byte Folded Reload
	v_fma_mix_f32 v1, v50, v8, 0 op_sel_hi:[1,1,0]
	v_fma_mix_f32 v1, v52, v8, v1 op_sel:[0,1,0] op_sel_hi:[1,1,0]
	v_fma_mix_f32 v1, v54, v9, v1 op_sel_hi:[1,1,0]
	v_fma_mix_f32 v1, v56, v9, v1 op_sel:[0,1,0] op_sel_hi:[1,1,0]
	v_fma_mix_f32 v1, v57, v10, v1 op_sel_hi:[1,1,0]
	v_fma_mix_f32 v1, v59, v10, v1 op_sel:[0,1,0] op_sel_hi:[1,1,0]
	v_fma_mix_f32 v1, v15, v11, v1 op_sel_hi:[1,1,0]
	v_fma_mix_f32 v1, v63, v11, v1 op_sel:[0,1,0] op_sel_hi:[1,1,0]
	v_fma_mixlo_f16 v1, v1, v61, 0 op_sel_hi:[0,1,0]
	s_waitcnt vmcnt(0)
	v_add_f16_e32 v38, v2, v1
	v_fma_mix_f32 v1, v58, v8, 0 op_sel_hi:[1,1,0]
	v_fma_mix_f32 v0, v0, v8, v1 op_sel:[0,1,0] op_sel_hi:[1,1,0]
	v_fma_mix_f32 v0, v62, v9, v0 op_sel_hi:[1,1,0]
	v_fma_mix_f32 v0, v18, v9, v0 op_sel:[0,1,0] op_sel_hi:[1,1,0]
	;; [unrolled: 2-line block ×4, first 2 shown]
	v_fma_mixlo_f16 v0, v0, v61, 0 op_sel:[0,1,0] op_sel_hi:[0,1,0]
	v_add_f16_e32 v39, v27, v0
	v_add_co_u32_e32 v0, vcc, s0, v12
	v_mov_b32_e32 v27, v19
	v_addc_co_u32_e32 v1, vcc, v13, v27, vcc
	global_load_dwordx4 v[12:15], v[0:1], off
	v_add_co_u32_e32 v20, vcc, s0, v0
	v_addc_co_u32_e32 v21, vcc, v1, v27, vcc
	global_load_dwordx4 v[8:11], v[20:21], off
	buffer_load_dword v24, off, s[28:31], 0 offset:20 ; 4-byte Folded Reload
	buffer_load_dword v19, off, s[28:31], 0 ; 4-byte Folded Reload
	s_waitcnt vmcnt(3)
	v_sub_u32_sdwa v0, v12, v32 dst_sel:DWORD dst_unused:UNUSED_PAD src0_sel:BYTE_0 src1_sel:DWORD
	v_cvt_f32_i32_e32 v0, v0
	v_cvt_f16_f32_e32 v40, v0
	v_sub_u32_sdwa v0, v12, v32 dst_sel:DWORD dst_unused:UNUSED_PAD src0_sel:BYTE_1 src1_sel:DWORD
	v_cvt_f32_i32_e32 v0, v0
	v_cvt_f16_f32_e32 v41, v0
	v_sub_u32_sdwa v0, v12, v32 dst_sel:DWORD dst_unused:UNUSED_PAD src0_sel:BYTE_2 src1_sel:DWORD
	v_cvt_f32_i32_e32 v0, v0
	v_cvt_f16_f32_e32 v42, v0
	v_sub_u32_sdwa v0, v12, v32 dst_sel:DWORD dst_unused:UNUSED_PAD src0_sel:BYTE_3 src1_sel:DWORD
	v_cvt_f32_i32_e32 v0, v0
	v_cvt_f16_f32_e32 v12, v0
	s_waitcnt vmcnt(2)
	v_sub_u32_sdwa v0, v8, v32 dst_sel:DWORD dst_unused:UNUSED_PAD src0_sel:BYTE_0 src1_sel:DWORD
	v_cvt_f32_i32_e32 v0, v0
	v_cvt_f16_f32_e32 v43, v0
	v_sub_u32_sdwa v0, v8, v32 dst_sel:DWORD dst_unused:UNUSED_PAD src0_sel:BYTE_1 src1_sel:DWORD
	v_cvt_f32_i32_e32 v0, v0
	v_cvt_f16_f32_e32 v44, v0
	v_sub_u32_sdwa v0, v8, v32 dst_sel:DWORD dst_unused:UNUSED_PAD src0_sel:BYTE_2 src1_sel:DWORD
	v_cvt_f32_i32_e32 v0, v0
	v_cvt_f16_f32_e32 v45, v0
	v_sub_u32_sdwa v0, v8, v32 dst_sel:DWORD dst_unused:UNUSED_PAD src0_sel:BYTE_3 src1_sel:DWORD
	v_cvt_f32_i32_e32 v0, v0
	v_sub_u32_sdwa v8, v11, v22 dst_sel:DWORD dst_unused:UNUSED_PAD src0_sel:BYTE_1 src1_sel:DWORD
	v_cvt_f32_i32_e32 v8, v8
	v_cvt_f16_f32_e32 v46, v0
	v_sub_u32_sdwa v0, v13, v31 dst_sel:DWORD dst_unused:UNUSED_PAD src0_sel:BYTE_0 src1_sel:DWORD
	v_cvt_f32_i32_e32 v0, v0
	v_cvt_f16_f32_e32 v23, v8
	v_sub_u32_sdwa v8, v11, v22 dst_sel:DWORD dst_unused:UNUSED_PAD src0_sel:BYTE_2 src1_sel:DWORD
	v_cvt_f32_i32_e32 v8, v8
	v_cvt_f16_f32_e32 v47, v0
	v_sub_u32_sdwa v0, v13, v31 dst_sel:DWORD dst_unused:UNUSED_PAD src0_sel:BYTE_1 src1_sel:DWORD
	v_cvt_f32_i32_e32 v0, v0
	v_cvt_f16_f32_e32 v18, v8
	v_sub_u32_sdwa v8, v11, v22 dst_sel:DWORD dst_unused:UNUSED_PAD src0_sel:BYTE_3 src1_sel:DWORD
	v_cvt_f32_i32_e32 v8, v8
	v_cvt_f16_f32_e32 v48, v0
	v_sub_u32_sdwa v0, v13, v31 dst_sel:DWORD dst_unused:UNUSED_PAD src0_sel:BYTE_2 src1_sel:DWORD
	v_cvt_f32_i32_e32 v0, v0
	v_cvt_f16_f32_e32 v25, v8
	v_fma_mix_f32 v8, v40, v4, 0 op_sel_hi:[1,1,0]
	v_fma_mix_f32 v8, v41, v4, v8 op_sel:[0,1,0] op_sel_hi:[1,1,0]
	v_cvt_f16_f32_e32 v50, v0
	v_sub_u32_sdwa v0, v13, v31 dst_sel:DWORD dst_unused:UNUSED_PAD src0_sel:BYTE_3 src1_sel:DWORD
	v_cvt_f32_i32_e32 v0, v0
	v_fma_mix_f32 v8, v42, v5, v8 op_sel_hi:[1,1,0]
	v_fma_mix_f32 v8, v12, v5, v8 op_sel:[0,1,0] op_sel_hi:[1,1,0]
	v_fma_mix_f32 v8, v43, v6, v8 op_sel_hi:[1,1,0]
	v_cvt_f16_f32_e32 v13, v0
	v_sub_u32_sdwa v0, v9, v31 dst_sel:DWORD dst_unused:UNUSED_PAD src0_sel:BYTE_0 src1_sel:DWORD
	v_cvt_f32_i32_e32 v0, v0
	v_fma_mix_f32 v8, v44, v6, v8 op_sel:[0,1,0] op_sel_hi:[1,1,0]
	v_fma_mix_f32 v8, v45, v7, v8 op_sel_hi:[1,1,0]
	v_fma_mix_f32 v8, v46, v7, v8 op_sel:[0,1,0] op_sel_hi:[1,1,0]
	v_cvt_f16_f32_e32 v51, v0
	v_sub_u32_sdwa v0, v9, v31 dst_sel:DWORD dst_unused:UNUSED_PAD src0_sel:BYTE_1 src1_sel:DWORD
	v_cvt_f32_i32_e32 v0, v0
	v_fma_mixlo_f16 v8, v8, v60, 0 op_sel_hi:[0,1,0]
	v_cvt_f16_f32_e32 v52, v0
	v_sub_u32_sdwa v0, v9, v31 dst_sel:DWORD dst_unused:UNUSED_PAD src0_sel:BYTE_2 src1_sel:DWORD
	v_cvt_f32_i32_e32 v0, v0
	v_cvt_f16_f32_e32 v53, v0
	v_sub_u32_sdwa v0, v9, v31 dst_sel:DWORD dst_unused:UNUSED_PAD src0_sel:BYTE_3 src1_sel:DWORD
	v_cvt_f32_i32_e32 v0, v0
	buffer_load_dword v9, off, s[28:31], 0 offset:8 ; 4-byte Folded Reload
	v_cvt_f16_f32_e32 v54, v0
	v_sub_u32_sdwa v0, v14, v30 dst_sel:DWORD dst_unused:UNUSED_PAD src0_sel:BYTE_0 src1_sel:DWORD
	v_cvt_f32_i32_e32 v0, v0
	v_cvt_f16_f32_e32 v55, v0
	v_sub_u32_sdwa v0, v14, v30 dst_sel:DWORD dst_unused:UNUSED_PAD src0_sel:BYTE_1 src1_sel:DWORD
	v_cvt_f32_i32_e32 v0, v0
	v_cvt_f16_f32_e32 v56, v0
	v_sub_u32_sdwa v0, v14, v30 dst_sel:DWORD dst_unused:UNUSED_PAD src0_sel:BYTE_2 src1_sel:DWORD
	v_cvt_f32_i32_e32 v0, v0
	v_cvt_f16_f32_e32 v57, v0
	v_sub_u32_sdwa v0, v14, v30 dst_sel:DWORD dst_unused:UNUSED_PAD src0_sel:BYTE_3 src1_sel:DWORD
	v_cvt_f32_i32_e32 v0, v0
	v_cvt_f16_f32_e32 v14, v0
	v_sub_u32_sdwa v0, v10, v30 dst_sel:DWORD dst_unused:UNUSED_PAD src0_sel:BYTE_0 src1_sel:DWORD
	v_cvt_f32_i32_e32 v0, v0
	v_cvt_f16_f32_e32 v58, v0
	v_sub_u32_sdwa v0, v10, v30 dst_sel:DWORD dst_unused:UNUSED_PAD src0_sel:BYTE_1 src1_sel:DWORD
	v_cvt_f32_i32_e32 v0, v0
	v_cvt_f16_f32_e32 v59, v0
	v_sub_u32_sdwa v0, v10, v30 dst_sel:DWORD dst_unused:UNUSED_PAD src0_sel:BYTE_2 src1_sel:DWORD
	v_cvt_f32_i32_e32 v0, v0
	v_cvt_f16_f32_e32 v3, v0
	v_sub_u32_sdwa v0, v10, v30 dst_sel:DWORD dst_unused:UNUSED_PAD src0_sel:BYTE_3 src1_sel:DWORD
	v_cvt_f32_i32_e32 v0, v0
	;; [unrolled: 12-line block ×3, first 2 shown]
	v_cvt_f16_f32_e32 v15, v0
	v_sub_u32_sdwa v0, v11, v22 dst_sel:DWORD dst_unused:UNUSED_PAD src0_sel:BYTE_0 src1_sel:DWORD
	buffer_load_dword v11, off, s[28:31], 0 offset:4 ; 4-byte Folded Reload
	v_cvt_f32_i32_e32 v0, v0
	s_waitcnt vmcnt(1)
	v_add_f16_e32 v9, v9, v8
	v_fma_mix_f32 v8, v47, v4, 0 op_sel_hi:[1,1,0]
	v_fma_mix_f32 v8, v48, v4, v8 op_sel:[0,1,0] op_sel_hi:[1,1,0]
	v_fma_mix_f32 v8, v50, v5, v8 op_sel_hi:[1,1,0]
	v_fma_mix_f32 v8, v13, v5, v8 op_sel:[0,1,0] op_sel_hi:[1,1,0]
	;; [unrolled: 2-line block ×4, first 2 shown]
	v_fma_mixlo_f16 v8, v8, v60, 0 op_sel:[0,1,0] op_sel_hi:[0,1,0]
	v_cvt_f16_f32_e32 v0, v0
	s_waitcnt vmcnt(0)
	v_add_f16_e32 v11, v11, v8
	v_fma_mix_f32 v8, v55, v4, 0 op_sel_hi:[1,1,0]
	v_fma_mix_f32 v8, v56, v4, v8 op_sel:[0,1,0] op_sel_hi:[1,1,0]
	v_fma_mix_f32 v8, v57, v5, v8 op_sel_hi:[1,1,0]
	v_fma_mix_f32 v8, v14, v5, v8 op_sel:[0,1,0] op_sel_hi:[1,1,0]
	;; [unrolled: 2-line block ×4, first 2 shown]
	v_fma_mixlo_f16 v8, v8, v61, 0 op_sel_hi:[0,1,0]
	v_add_f16_e32 v62, v19, v8
	v_fma_mix_f32 v8, v16, v4, 0 op_sel_hi:[1,1,0]
	v_fma_mix_f32 v4, v2, v4, v8 op_sel:[0,1,0] op_sel_hi:[1,1,0]
	v_fma_mix_f32 v4, v1, v5, v4 op_sel_hi:[1,1,0]
	v_fma_mix_f32 v4, v15, v5, v4 op_sel:[0,1,0] op_sel_hi:[1,1,0]
	;; [unrolled: 2-line block ×4, first 2 shown]
	ds_read_b128 v[5:8], v28 offset:288
	v_fma_mixlo_f16 v4, v4, v61, 0 op_sel:[0,1,0] op_sel_hi:[0,1,0]
	v_add_f16_e32 v4, v26, v4
	buffer_load_dword v26, off, s[28:31], 0 offset:36 ; 4-byte Folded Reload
	s_waitcnt lgkmcnt(0)
	v_fma_mix_f32 v19, v40, v5, 0 op_sel_hi:[1,1,0]
	v_fma_mix_f32 v19, v41, v5, v19 op_sel:[0,1,0] op_sel_hi:[1,1,0]
	v_fma_mix_f32 v19, v42, v6, v19 op_sel_hi:[1,1,0]
	v_fma_mix_f32 v19, v12, v6, v19 op_sel:[0,1,0] op_sel_hi:[1,1,0]
	;; [unrolled: 2-line block ×4, first 2 shown]
	v_fma_mixlo_f16 v19, v19, v60, 0 op_sel_hi:[0,1,0]
	v_add_f16_e32 v63, v24, v19
	buffer_load_dword v24, off, s[28:31], 0 offset:24 ; 4-byte Folded Reload
	v_fma_mix_f32 v19, v47, v5, 0 op_sel_hi:[1,1,0]
	v_fma_mix_f32 v19, v48, v5, v19 op_sel:[0,1,0] op_sel_hi:[1,1,0]
	v_fma_mix_f32 v19, v50, v6, v19 op_sel_hi:[1,1,0]
	v_fma_mix_f32 v19, v13, v6, v19 op_sel:[0,1,0] op_sel_hi:[1,1,0]
	;; [unrolled: 2-line block ×4, first 2 shown]
	v_fma_mixlo_f16 v19, v19, v60, 0 op_sel:[0,1,0] op_sel_hi:[0,1,0]
	s_waitcnt vmcnt(0)
	v_add_f16_e32 v49, v24, v19
	buffer_load_dword v24, off, s[28:31], 0 offset:28 ; 4-byte Folded Reload
	v_fma_mix_f32 v19, v55, v5, 0 op_sel_hi:[1,1,0]
	v_fma_mix_f32 v19, v56, v5, v19 op_sel:[0,1,0] op_sel_hi:[1,1,0]
	v_fma_mix_f32 v19, v57, v6, v19 op_sel_hi:[1,1,0]
	v_fma_mix_f32 v19, v14, v6, v19 op_sel:[0,1,0] op_sel_hi:[1,1,0]
	v_fma_mix_f32 v19, v58, v7, v19 op_sel_hi:[1,1,0]
	v_fma_mix_f32 v19, v59, v7, v19 op_sel:[0,1,0] op_sel_hi:[1,1,0]
	v_fma_mix_f32 v19, v3, v8, v19 op_sel_hi:[1,1,0]
	v_fma_mix_f32 v19, v10, v8, v19 op_sel:[0,1,0] op_sel_hi:[1,1,0]
	v_fma_mixlo_f16 v19, v19, v61, 0 op_sel_hi:[0,1,0]
	s_waitcnt vmcnt(0)
	v_add_f16_e32 v17, v24, v19
	v_fma_mix_f32 v19, v16, v5, 0 op_sel_hi:[1,1,0]
	v_fma_mix_f32 v5, v2, v5, v19 op_sel:[0,1,0] op_sel_hi:[1,1,0]
	v_fma_mix_f32 v5, v1, v6, v5 op_sel_hi:[1,1,0]
	v_fma_mix_f32 v5, v15, v6, v5 op_sel:[0,1,0] op_sel_hi:[1,1,0]
	buffer_load_dword v6, off, s[28:31], 0 offset:32 ; 4-byte Folded Reload
	v_fma_mix_f32 v5, v0, v7, v5 op_sel_hi:[1,1,0]
	v_fma_mix_f32 v5, v23, v7, v5 op_sel:[0,1,0] op_sel_hi:[1,1,0]
	v_fma_mix_f32 v5, v18, v8, v5 op_sel_hi:[1,1,0]
	v_fma_mix_f32 v5, v25, v8, v5 op_sel:[0,1,0] op_sel_hi:[1,1,0]
	v_fma_mixlo_f16 v5, v5, v61, 0 op_sel:[0,1,0] op_sel_hi:[0,1,0]
	buffer_store_dword v17, off, s[28:31], 0 offset:88 ; 4-byte Folded Spill
	s_waitcnt vmcnt(1)
	v_add_f16_e32 v19, v6, v5
	ds_read_b128 v[5:8], v28 offset:544
	s_waitcnt lgkmcnt(0)
	v_fma_mix_f32 v24, v40, v5, 0 op_sel_hi:[1,1,0]
	v_fma_mix_f32 v24, v41, v5, v24 op_sel:[0,1,0] op_sel_hi:[1,1,0]
	v_fma_mix_f32 v24, v42, v6, v24 op_sel_hi:[1,1,0]
	v_fma_mix_f32 v24, v12, v6, v24 op_sel:[0,1,0] op_sel_hi:[1,1,0]
	;; [unrolled: 2-line block ×4, first 2 shown]
	v_fma_mixlo_f16 v24, v24, v60, 0 op_sel_hi:[0,1,0]
	v_add_f16_e32 v17, v26, v24
	buffer_load_dword v26, off, s[28:31], 0 offset:40 ; 4-byte Folded Reload
	v_fma_mix_f32 v24, v47, v5, 0 op_sel_hi:[1,1,0]
	buffer_store_dword v17, off, s[28:31], 0 offset:84 ; 4-byte Folded Spill
	buffer_load_dword v17, off, s[28:31], 0 offset:44 ; 4-byte Folded Reload
	v_fma_mix_f32 v24, v48, v5, v24 op_sel:[0,1,0] op_sel_hi:[1,1,0]
	v_fma_mix_f32 v24, v50, v6, v24 op_sel_hi:[1,1,0]
	v_fma_mix_f32 v24, v13, v6, v24 op_sel:[0,1,0] op_sel_hi:[1,1,0]
	v_fma_mix_f32 v24, v51, v7, v24 op_sel_hi:[1,1,0]
	;; [unrolled: 2-line block ×3, first 2 shown]
	v_fma_mix_f32 v24, v54, v8, v24 op_sel:[0,1,0] op_sel_hi:[1,1,0]
	v_fma_mixlo_f16 v24, v24, v60, 0 op_sel:[0,1,0] op_sel_hi:[0,1,0]
	s_waitcnt vmcnt(2)
	v_add_f16_e32 v24, v26, v24
	v_fma_mix_f32 v26, v55, v5, 0 op_sel_hi:[1,1,0]
	v_fma_mix_f32 v26, v56, v5, v26 op_sel:[0,1,0] op_sel_hi:[1,1,0]
	v_fma_mix_f32 v26, v57, v6, v26 op_sel_hi:[1,1,0]
	v_fma_mix_f32 v26, v14, v6, v26 op_sel:[0,1,0] op_sel_hi:[1,1,0]
	;; [unrolled: 2-line block ×4, first 2 shown]
	v_fma_mixlo_f16 v26, v26, v61, 0 op_sel_hi:[0,1,0]
	s_waitcnt vmcnt(0)
	v_add_f16_e32 v17, v17, v26
	v_fma_mix_f32 v26, v16, v5, 0 op_sel_hi:[1,1,0]
	v_fma_mix_f32 v5, v2, v5, v26 op_sel:[0,1,0] op_sel_hi:[1,1,0]
	v_fma_mix_f32 v5, v1, v6, v5 op_sel_hi:[1,1,0]
	v_fma_mix_f32 v5, v15, v6, v5 op_sel:[0,1,0] op_sel_hi:[1,1,0]
	buffer_load_dword v6, off, s[28:31], 0 offset:48 ; 4-byte Folded Reload
	v_fma_mix_f32 v5, v0, v7, v5 op_sel_hi:[1,1,0]
	buffer_store_dword v17, off, s[28:31], 0 offset:44 ; 4-byte Folded Spill
	buffer_load_dword v17, off, s[28:31], 0 offset:52 ; 4-byte Folded Reload
	v_fma_mix_f32 v5, v23, v7, v5 op_sel:[0,1,0] op_sel_hi:[1,1,0]
	v_fma_mix_f32 v5, v18, v8, v5 op_sel_hi:[1,1,0]
	v_fma_mix_f32 v5, v25, v8, v5 op_sel:[0,1,0] op_sel_hi:[1,1,0]
	v_fma_mixlo_f16 v5, v5, v61, 0 op_sel:[0,1,0] op_sel_hi:[0,1,0]
	s_waitcnt vmcnt(2)
	v_add_f16_e32 v5, v6, v5
	buffer_store_dword v5, off, s[28:31], 0 offset:48 ; 4-byte Folded Spill
	ds_read_b128 v[5:8], v28 offset:800
	s_waitcnt lgkmcnt(0)
	v_fma_mix_f32 v26, v40, v5, 0 op_sel_hi:[1,1,0]
	v_fma_mix_f32 v26, v41, v5, v26 op_sel:[0,1,0] op_sel_hi:[1,1,0]
	v_fma_mix_f32 v26, v42, v6, v26 op_sel_hi:[1,1,0]
	v_fma_mix_f32 v26, v12, v6, v26 op_sel:[0,1,0] op_sel_hi:[1,1,0]
	v_fma_mix_f32 v26, v43, v7, v26 op_sel_hi:[1,1,0]
	v_fma_mix_f32 v26, v44, v7, v26 op_sel:[0,1,0] op_sel_hi:[1,1,0]
	v_fma_mix_f32 v26, v45, v8, v26 op_sel_hi:[1,1,0]
	v_fma_mix_f32 v26, v46, v8, v26 op_sel:[0,1,0] op_sel_hi:[1,1,0]
	v_fma_mixlo_f16 v26, v26, v60, 0 op_sel_hi:[0,1,0]
	s_waitcnt vmcnt(1)
	v_add_f16_e32 v17, v17, v26
	buffer_store_dword v17, off, s[28:31], 0 offset:36 ; 4-byte Folded Spill
	buffer_load_dword v17, off, s[28:31], 0 offset:56 ; 4-byte Folded Reload
	v_fma_mix_f32 v26, v47, v5, 0 op_sel_hi:[1,1,0]
	v_fma_mix_f32 v26, v48, v5, v26 op_sel:[0,1,0] op_sel_hi:[1,1,0]
	v_fma_mix_f32 v26, v50, v6, v26 op_sel_hi:[1,1,0]
	v_fma_mix_f32 v26, v13, v6, v26 op_sel:[0,1,0] op_sel_hi:[1,1,0]
	;; [unrolled: 2-line block ×4, first 2 shown]
	v_fma_mixlo_f16 v26, v26, v60, 0 op_sel:[0,1,0] op_sel_hi:[0,1,0]
	s_waitcnt vmcnt(0)
	v_add_f16_e32 v17, v17, v26
	buffer_store_dword v17, off, s[28:31], 0 offset:40 ; 4-byte Folded Spill
	buffer_load_dword v17, off, s[28:31], 0 offset:60 ; 4-byte Folded Reload
	v_fma_mix_f32 v26, v55, v5, 0 op_sel_hi:[1,1,0]
	v_fma_mix_f32 v26, v56, v5, v26 op_sel:[0,1,0] op_sel_hi:[1,1,0]
	v_fma_mix_f32 v26, v57, v6, v26 op_sel_hi:[1,1,0]
	v_fma_mix_f32 v26, v14, v6, v26 op_sel:[0,1,0] op_sel_hi:[1,1,0]
	;; [unrolled: 2-line block ×4, first 2 shown]
	v_fma_mixlo_f16 v26, v26, v61, 0 op_sel_hi:[0,1,0]
	s_waitcnt vmcnt(0)
	v_add_f16_e32 v17, v17, v26
	v_fma_mix_f32 v26, v16, v5, 0 op_sel_hi:[1,1,0]
	v_fma_mix_f32 v5, v2, v5, v26 op_sel:[0,1,0] op_sel_hi:[1,1,0]
	v_fma_mix_f32 v5, v1, v6, v5 op_sel_hi:[1,1,0]
	v_fma_mix_f32 v5, v15, v6, v5 op_sel:[0,1,0] op_sel_hi:[1,1,0]
	buffer_load_dword v6, off, s[28:31], 0 offset:64 ; 4-byte Folded Reload
	v_fma_mix_f32 v5, v0, v7, v5 op_sel_hi:[1,1,0]
	buffer_store_dword v17, off, s[28:31], 0 offset:28 ; 4-byte Folded Spill
	buffer_load_dword v17, off, s[28:31], 0 offset:68 ; 4-byte Folded Reload
	v_fma_mix_f32 v5, v23, v7, v5 op_sel:[0,1,0] op_sel_hi:[1,1,0]
	v_fma_mix_f32 v5, v18, v8, v5 op_sel_hi:[1,1,0]
	v_fma_mix_f32 v5, v25, v8, v5 op_sel:[0,1,0] op_sel_hi:[1,1,0]
	v_fma_mixlo_f16 v5, v5, v61, 0 op_sel:[0,1,0] op_sel_hi:[0,1,0]
	s_waitcnt vmcnt(2)
	v_add_f16_e32 v5, v6, v5
	buffer_store_dword v5, off, s[28:31], 0 offset:32 ; 4-byte Folded Spill
	ds_read_b128 v[5:8], v28 offset:1056
	s_waitcnt lgkmcnt(0)
	v_fma_mix_f32 v26, v40, v5, 0 op_sel_hi:[1,1,0]
	v_fma_mix_f32 v26, v41, v5, v26 op_sel:[0,1,0] op_sel_hi:[1,1,0]
	v_fma_mix_f32 v26, v42, v6, v26 op_sel_hi:[1,1,0]
	v_fma_mix_f32 v26, v12, v6, v26 op_sel:[0,1,0] op_sel_hi:[1,1,0]
	v_fma_mix_f32 v26, v43, v7, v26 op_sel_hi:[1,1,0]
	v_fma_mix_f32 v26, v44, v7, v26 op_sel:[0,1,0] op_sel_hi:[1,1,0]
	v_fma_mix_f32 v26, v45, v8, v26 op_sel_hi:[1,1,0]
	v_fma_mix_f32 v26, v46, v8, v26 op_sel:[0,1,0] op_sel_hi:[1,1,0]
	v_fma_mixlo_f16 v26, v26, v60, 0 op_sel_hi:[0,1,0]
	s_waitcnt vmcnt(1)
	v_add_f16_e32 v17, v17, v26
	buffer_load_dword v26, off, s[28:31], 0 offset:72 ; 4-byte Folded Reload
	s_nop 0
	buffer_store_dword v17, off, s[28:31], 0 offset:20 ; 4-byte Folded Spill
	v_fma_mix_f32 v17, v47, v5, 0 op_sel_hi:[1,1,0]
	v_fma_mix_f32 v17, v48, v5, v17 op_sel:[0,1,0] op_sel_hi:[1,1,0]
	v_fma_mix_f32 v17, v50, v6, v17 op_sel_hi:[1,1,0]
	v_fma_mix_f32 v17, v13, v6, v17 op_sel:[0,1,0] op_sel_hi:[1,1,0]
	;; [unrolled: 2-line block ×4, first 2 shown]
	v_fma_mixlo_f16 v17, v17, v60, 0 op_sel:[0,1,0] op_sel_hi:[0,1,0]
	s_waitcnt vmcnt(1)
	v_add_f16_e32 v17, v26, v17
	buffer_load_dword v26, off, s[28:31], 0 offset:76 ; 4-byte Folded Reload
	s_nop 0
	buffer_store_dword v17, off, s[28:31], 0 offset:24 ; 4-byte Folded Spill
	v_fma_mix_f32 v17, v55, v5, 0 op_sel_hi:[1,1,0]
	v_fma_mix_f32 v17, v56, v5, v17 op_sel:[0,1,0] op_sel_hi:[1,1,0]
	v_fma_mix_f32 v17, v57, v6, v17 op_sel_hi:[1,1,0]
	v_fma_mix_f32 v17, v14, v6, v17 op_sel:[0,1,0] op_sel_hi:[1,1,0]
	;; [unrolled: 2-line block ×4, first 2 shown]
	v_fma_mixlo_f16 v17, v17, v61, 0 op_sel_hi:[0,1,0]
	s_waitcnt vmcnt(1)
	v_add_f16_e32 v17, v26, v17
	buffer_store_dword v17, off, s[28:31], 0 offset:12 ; 4-byte Folded Spill
	v_fma_mix_f32 v17, v16, v5, 0 op_sel_hi:[1,1,0]
	v_fma_mix_f32 v5, v2, v5, v17 op_sel:[0,1,0] op_sel_hi:[1,1,0]
	v_fma_mix_f32 v5, v1, v6, v5 op_sel_hi:[1,1,0]
	v_fma_mix_f32 v5, v15, v6, v5 op_sel:[0,1,0] op_sel_hi:[1,1,0]
	buffer_load_dword v6, off, s[28:31], 0 offset:80 ; 4-byte Folded Reload
	v_fma_mix_f32 v5, v0, v7, v5 op_sel_hi:[1,1,0]
	v_fma_mix_f32 v5, v23, v7, v5 op_sel:[0,1,0] op_sel_hi:[1,1,0]
	v_fma_mix_f32 v5, v18, v8, v5 op_sel_hi:[1,1,0]
	v_fma_mix_f32 v5, v25, v8, v5 op_sel:[0,1,0] op_sel_hi:[1,1,0]
	v_fma_mixlo_f16 v5, v5, v61, 0 op_sel:[0,1,0] op_sel_hi:[0,1,0]
	s_waitcnt vmcnt(0)
	v_add_f16_e32 v5, v6, v5
	buffer_store_dword v5, off, s[28:31], 0 offset:16 ; 4-byte Folded Spill
	ds_read_b128 v[5:8], v28 offset:1312
	s_waitcnt lgkmcnt(0)
	v_fma_mix_f32 v17, v40, v5, 0 op_sel_hi:[1,1,0]
	v_fma_mix_f32 v17, v41, v5, v17 op_sel:[0,1,0] op_sel_hi:[1,1,0]
	v_fma_mix_f32 v17, v42, v6, v17 op_sel_hi:[1,1,0]
	v_fma_mix_f32 v12, v12, v6, v17 op_sel:[0,1,0] op_sel_hi:[1,1,0]
	;; [unrolled: 2-line block ×4, first 2 shown]
	v_fma_mixlo_f16 v12, v12, v60, 0 op_sel_hi:[0,1,0]
	v_add_f16_e32 v12, v29, v12
	buffer_store_dword v12, off, s[28:31], 0 offset:8 ; 4-byte Folded Spill
	v_fma_mix_f32 v12, v47, v5, 0 op_sel_hi:[1,1,0]
	v_fma_mix_f32 v12, v48, v5, v12 op_sel:[0,1,0] op_sel_hi:[1,1,0]
	v_fma_mix_f32 v12, v50, v6, v12 op_sel_hi:[1,1,0]
	v_fma_mix_f32 v12, v13, v6, v12 op_sel:[0,1,0] op_sel_hi:[1,1,0]
	;; [unrolled: 2-line block ×4, first 2 shown]
	v_fma_mixlo_f16 v12, v12, v60, 0 op_sel:[0,1,0] op_sel_hi:[0,1,0]
	v_add_f16_e32 v12, v37, v12
	buffer_store_dword v12, off, s[28:31], 0 offset:4 ; 4-byte Folded Spill
	v_fma_mix_f32 v12, v55, v5, 0 op_sel_hi:[1,1,0]
	v_fma_mix_f32 v12, v56, v5, v12 op_sel:[0,1,0] op_sel_hi:[1,1,0]
	v_fma_mix_f32 v12, v57, v6, v12 op_sel_hi:[1,1,0]
	v_fma_mix_f32 v12, v14, v6, v12 op_sel:[0,1,0] op_sel_hi:[1,1,0]
	;; [unrolled: 2-line block ×4, first 2 shown]
	v_fma_mixlo_f16 v3, v3, v61, 0 op_sel_hi:[0,1,0]
	v_add_f16_e32 v3, v38, v3
	buffer_store_dword v3, off, s[28:31], 0 ; 4-byte Folded Spill
	v_fma_mix_f32 v3, v16, v5, 0 op_sel_hi:[1,1,0]
	v_fma_mix_f32 v2, v2, v5, v3 op_sel:[0,1,0] op_sel_hi:[1,1,0]
	v_fma_mix_f32 v1, v1, v6, v2 op_sel_hi:[1,1,0]
	v_fma_mix_f32 v1, v15, v6, v1 op_sel:[0,1,0] op_sel_hi:[1,1,0]
	;; [unrolled: 2-line block ×4, first 2 shown]
	v_add_co_u32_e32 v5, vcc, s0, v20
	v_fma_mixlo_f16 v0, v0, v61, 0 op_sel:[0,1,0] op_sel_hi:[0,1,0]
	v_addc_co_u32_e32 v6, vcc, v21, v27, vcc
	v_add_f16_e32 v23, v39, v0
	global_load_dwordx4 v[0:3], v[5:6], off
	v_add_co_u32_e32 v25, vcc, s0, v5
	v_addc_co_u32_e32 v26, vcc, v6, v27, vcc
	global_load_dwordx4 v[5:8], v[25:26], off
	s_waitcnt vmcnt(1)
	v_sub_u32_sdwa v12, v0, v32 dst_sel:DWORD dst_unused:UNUSED_PAD src0_sel:BYTE_1 src1_sel:DWORD
	v_cvt_f32_i32_e32 v12, v12
	v_sub_u32_sdwa v10, v0, v32 dst_sel:DWORD dst_unused:UNUSED_PAD src0_sel:BYTE_0 src1_sel:DWORD
	v_cvt_f32_i32_e32 v10, v10
	v_cvt_f16_f32_e32 v14, v12
	v_sub_u32_sdwa v12, v0, v32 dst_sel:DWORD dst_unused:UNUSED_PAD src0_sel:BYTE_2 src1_sel:DWORD
	v_sub_u32_sdwa v0, v0, v32 dst_sel:DWORD dst_unused:UNUSED_PAD src0_sel:BYTE_3 src1_sel:DWORD
	v_cvt_f32_i32_e32 v0, v0
	v_cvt_f32_i32_e32 v12, v12
	v_cvt_f16_f32_e32 v10, v10
	v_cvt_f16_f32_e32 v13, v0
	s_waitcnt vmcnt(0)
	v_sub_u32_sdwa v0, v5, v32 dst_sel:DWORD dst_unused:UNUSED_PAD src0_sel:BYTE_0 src1_sel:DWORD
	v_cvt_f32_i32_e32 v0, v0
	v_cvt_f16_f32_e32 v12, v12
	v_cvt_f16_f32_e32 v16, v0
	v_sub_u32_sdwa v0, v5, v32 dst_sel:DWORD dst_unused:UNUSED_PAD src0_sel:BYTE_1 src1_sel:DWORD
	v_cvt_f32_i32_e32 v0, v0
	v_cvt_f16_f32_e32 v17, v0
	v_sub_u32_sdwa v0, v5, v32 dst_sel:DWORD dst_unused:UNUSED_PAD src0_sel:BYTE_2 src1_sel:DWORD
	v_cvt_f32_i32_e32 v0, v0
	v_cvt_f16_f32_e32 v37, v0
	v_sub_u32_sdwa v0, v5, v32 dst_sel:DWORD dst_unused:UNUSED_PAD src0_sel:BYTE_3 src1_sel:DWORD
	v_cvt_f32_i32_e32 v0, v0
	v_cvt_f16_f32_e32 v38, v0
	v_sub_u32_sdwa v0, v1, v31 dst_sel:DWORD dst_unused:UNUSED_PAD src0_sel:BYTE_0 src1_sel:DWORD
	v_cvt_f32_i32_e32 v0, v0
	v_cvt_f16_f32_e32 v32, v0
	v_sub_u32_sdwa v0, v1, v31 dst_sel:DWORD dst_unused:UNUSED_PAD src0_sel:BYTE_1 src1_sel:DWORD
	v_cvt_f32_i32_e32 v0, v0
	v_cvt_f16_f32_e32 v39, v0
	v_sub_u32_sdwa v0, v1, v31 dst_sel:DWORD dst_unused:UNUSED_PAD src0_sel:BYTE_2 src1_sel:DWORD
	v_cvt_f32_i32_e32 v0, v0
	v_cvt_f16_f32_e32 v40, v0
	v_sub_u32_sdwa v0, v1, v31 dst_sel:DWORD dst_unused:UNUSED_PAD src0_sel:BYTE_3 src1_sel:DWORD
	v_cvt_f32_i32_e32 v0, v0
	v_fma_mix_f32 v1, v32, v33, 0 op_sel_hi:[1,1,0]
	v_fma_mix_f32 v1, v39, v33, v1 op_sel:[0,1,0] op_sel_hi:[1,1,0]
	v_fma_mix_f32 v1, v40, v34, v1 op_sel_hi:[1,1,0]
	v_cvt_f16_f32_e32 v41, v0
	v_sub_u32_sdwa v0, v6, v31 dst_sel:DWORD dst_unused:UNUSED_PAD src0_sel:BYTE_0 src1_sel:DWORD
	v_cvt_f32_i32_e32 v0, v0
	v_fma_mix_f32 v1, v41, v34, v1 op_sel:[0,1,0] op_sel_hi:[1,1,0]
	v_cvt_f16_f32_e32 v42, v0
	v_sub_u32_sdwa v0, v6, v31 dst_sel:DWORD dst_unused:UNUSED_PAD src0_sel:BYTE_1 src1_sel:DWORD
	v_cvt_f32_i32_e32 v0, v0
	v_fma_mix_f32 v1, v42, v35, v1 op_sel_hi:[1,1,0]
	v_cvt_f16_f32_e32 v43, v0
	v_sub_u32_sdwa v0, v6, v31 dst_sel:DWORD dst_unused:UNUSED_PAD src0_sel:BYTE_2 src1_sel:DWORD
	v_cvt_f32_i32_e32 v0, v0
	v_fma_mix_f32 v1, v43, v35, v1 op_sel:[0,1,0] op_sel_hi:[1,1,0]
	v_cvt_f16_f32_e32 v44, v0
	v_sub_u32_sdwa v0, v6, v31 dst_sel:DWORD dst_unused:UNUSED_PAD src0_sel:BYTE_3 src1_sel:DWORD
	v_cvt_f32_i32_e32 v0, v0
	v_fma_mix_f32 v1, v44, v36, v1 op_sel_hi:[1,1,0]
	v_cvt_f16_f32_e32 v46, v0
	v_sub_u32_sdwa v0, v2, v30 dst_sel:DWORD dst_unused:UNUSED_PAD src0_sel:BYTE_0 src1_sel:DWORD
	v_cvt_f32_i32_e32 v0, v0
	v_fma_mix_f32 v1, v46, v36, v1 op_sel:[0,1,0] op_sel_hi:[1,1,0]
	v_fma_mixlo_f16 v1, v1, v60, 0 op_sel:[0,1,0] op_sel_hi:[0,1,0]
	v_cvt_f16_f32_e32 v31, v0
	v_sub_u32_sdwa v0, v2, v30 dst_sel:DWORD dst_unused:UNUSED_PAD src0_sel:BYTE_1 src1_sel:DWORD
	v_cvt_f32_i32_e32 v0, v0
	v_add_f16_e32 v1, v11, v1
	v_cvt_f16_f32_e32 v45, v0
	v_sub_u32_sdwa v0, v2, v30 dst_sel:DWORD dst_unused:UNUSED_PAD src0_sel:BYTE_2 src1_sel:DWORD
	v_cvt_f32_i32_e32 v0, v0
	v_cvt_f16_f32_e32 v47, v0
	v_sub_u32_sdwa v0, v2, v30 dst_sel:DWORD dst_unused:UNUSED_PAD src0_sel:BYTE_3 src1_sel:DWORD
	v_cvt_f32_i32_e32 v0, v0
	v_cvt_f16_f32_e32 v48, v0
	v_sub_u32_sdwa v0, v7, v30 dst_sel:DWORD dst_unused:UNUSED_PAD src0_sel:BYTE_0 src1_sel:DWORD
	v_cvt_f32_i32_e32 v0, v0
	v_cvt_f16_f32_e32 v50, v0
	v_sub_u32_sdwa v0, v7, v30 dst_sel:DWORD dst_unused:UNUSED_PAD src0_sel:BYTE_1 src1_sel:DWORD
	v_cvt_f32_i32_e32 v0, v0
	v_cvt_f16_f32_e32 v51, v0
	v_sub_u32_sdwa v0, v7, v30 dst_sel:DWORD dst_unused:UNUSED_PAD src0_sel:BYTE_2 src1_sel:DWORD
	v_cvt_f32_i32_e32 v0, v0
	v_cvt_f16_f32_e32 v52, v0
	v_sub_u32_sdwa v0, v7, v30 dst_sel:DWORD dst_unused:UNUSED_PAD src0_sel:BYTE_3 src1_sel:DWORD
	v_cvt_f32_i32_e32 v0, v0
	v_cvt_f16_f32_e32 v53, v0
	v_sub_u32_sdwa v0, v3, v22 dst_sel:DWORD dst_unused:UNUSED_PAD src0_sel:BYTE_0 src1_sel:DWORD
	v_cvt_f32_i32_e32 v0, v0
	v_cvt_f16_f32_e32 v30, v0
	v_sub_u32_sdwa v0, v3, v22 dst_sel:DWORD dst_unused:UNUSED_PAD src0_sel:BYTE_1 src1_sel:DWORD
	v_cvt_f32_i32_e32 v0, v0
	;; [unrolled: 12-line block ×3, first 2 shown]
	v_cvt_f16_f32_e32 v58, v0
	v_sub_u32_sdwa v0, v8, v22 dst_sel:DWORD dst_unused:UNUSED_PAD src0_sel:BYTE_2 src1_sel:DWORD
	v_cvt_f32_i32_e32 v0, v0
	v_cvt_f16_f32_e32 v59, v0
	v_sub_u32_sdwa v0, v8, v22 dst_sel:DWORD dst_unused:UNUSED_PAD src0_sel:BYTE_3 src1_sel:DWORD
	v_cvt_f32_i32_e32 v0, v0
	v_cvt_f16_f32_e32 v15, v0
	v_fma_mix_f32 v0, v10, v33, 0 op_sel_hi:[1,1,0]
	v_fma_mix_f32 v0, v14, v33, v0 op_sel:[0,1,0] op_sel_hi:[1,1,0]
	v_fma_mix_f32 v0, v12, v34, v0 op_sel_hi:[1,1,0]
	v_fma_mix_f32 v0, v13, v34, v0 op_sel:[0,1,0] op_sel_hi:[1,1,0]
	;; [unrolled: 2-line block ×4, first 2 shown]
	v_fma_mixlo_f16 v0, v0, v60, 0 op_sel_hi:[0,1,0]
	v_add_f16_e32 v0, v9, v0
	v_pack_b32_f16 v21, v0, v1
	v_fma_mix_f32 v0, v31, v33, 0 op_sel_hi:[1,1,0]
	v_fma_mix_f32 v1, v30, v33, 0 op_sel_hi:[1,1,0]
	v_fma_mix_f32 v0, v45, v33, v0 op_sel:[0,1,0] op_sel_hi:[1,1,0]
	v_fma_mix_f32 v1, v54, v33, v1 op_sel:[0,1,0] op_sel_hi:[1,1,0]
	v_fma_mix_f32 v0, v47, v34, v0 op_sel_hi:[1,1,0]
	v_fma_mix_f32 v1, v55, v34, v1 op_sel_hi:[1,1,0]
	v_fma_mix_f32 v0, v48, v34, v0 op_sel:[0,1,0] op_sel_hi:[1,1,0]
	v_fma_mix_f32 v1, v56, v34, v1 op_sel:[0,1,0] op_sel_hi:[1,1,0]
	;; [unrolled: 4-line block ×4, first 2 shown]
	v_fma_mixlo_f16 v0, v0, v61, 0 op_sel_hi:[0,1,0]
	v_fma_mixlo_f16 v1, v1, v61, 0 op_sel:[0,1,0] op_sel_hi:[0,1,0]
	v_add_f16_e32 v0, v62, v0
	v_add_f16_e32 v1, v4, v1
	v_pack_b32_f16 v20, v0, v1
	ds_read_b128 v[0:3], v28 offset:304
	buffer_load_dword v9, off, s[28:31], 0 offset:40 ; 4-byte Folded Reload
	s_waitcnt lgkmcnt(0)
	v_fma_mix_f32 v4, v10, v0, 0 op_sel_hi:[1,1,0]
	v_fma_mix_f32 v5, v32, v0, 0 op_sel_hi:[1,1,0]
	v_fma_mix_f32 v4, v14, v0, v4 op_sel:[0,1,0] op_sel_hi:[1,1,0]
	v_fma_mix_f32 v5, v39, v0, v5 op_sel:[0,1,0] op_sel_hi:[1,1,0]
	v_fma_mix_f32 v4, v12, v1, v4 op_sel_hi:[1,1,0]
	v_fma_mix_f32 v5, v40, v1, v5 op_sel_hi:[1,1,0]
	v_fma_mix_f32 v4, v13, v1, v4 op_sel:[0,1,0] op_sel_hi:[1,1,0]
	v_fma_mix_f32 v5, v41, v1, v5 op_sel:[0,1,0] op_sel_hi:[1,1,0]
	;; [unrolled: 4-line block ×4, first 2 shown]
	v_fma_mixlo_f16 v4, v4, v60, 0 op_sel_hi:[0,1,0]
	v_fma_mixlo_f16 v5, v5, v60, 0 op_sel:[0,1,0] op_sel_hi:[0,1,0]
	v_add_f16_e32 v4, v63, v4
	v_add_f16_e32 v5, v49, v5
	v_pack_b32_f16 v7, v4, v5
	buffer_load_dword v5, off, s[28:31], 0 offset:88 ; 4-byte Folded Reload
	v_fma_mix_f32 v4, v31, v0, 0 op_sel_hi:[1,1,0]
	v_fma_mix_f32 v4, v45, v0, v4 op_sel:[0,1,0] op_sel_hi:[1,1,0]
	v_fma_mix_f32 v4, v47, v1, v4 op_sel_hi:[1,1,0]
	v_fma_mix_f32 v4, v48, v1, v4 op_sel:[0,1,0] op_sel_hi:[1,1,0]
	;; [unrolled: 2-line block ×4, first 2 shown]
	v_fma_mixlo_f16 v4, v4, v61, 0 op_sel_hi:[0,1,0]
	s_waitcnt vmcnt(0)
	v_add_f16_e32 v4, v5, v4
	v_fma_mix_f32 v5, v30, v0, 0 op_sel_hi:[1,1,0]
	v_fma_mix_f32 v0, v54, v0, v5 op_sel:[0,1,0] op_sel_hi:[1,1,0]
	buffer_load_dword v5, off, s[28:31], 0 offset:84 ; 4-byte Folded Reload
	v_fma_mix_f32 v0, v55, v1, v0 op_sel_hi:[1,1,0]
	v_fma_mix_f32 v0, v56, v1, v0 op_sel:[0,1,0] op_sel_hi:[1,1,0]
	v_fma_mix_f32 v0, v57, v2, v0 op_sel_hi:[1,1,0]
	v_fma_mix_f32 v0, v58, v2, v0 op_sel:[0,1,0] op_sel_hi:[1,1,0]
	;; [unrolled: 2-line block ×3, first 2 shown]
	v_fma_mixlo_f16 v0, v0, v61, 0 op_sel:[0,1,0] op_sel_hi:[0,1,0]
	v_add_f16_e32 v0, v19, v0
	v_pack_b32_f16 v6, v4, v0
	ds_read_b128 v[0:3], v28 offset:560
	s_waitcnt lgkmcnt(0)
	v_fma_mix_f32 v4, v10, v0, 0 op_sel_hi:[1,1,0]
	v_fma_mix_f32 v4, v14, v0, v4 op_sel:[0,1,0] op_sel_hi:[1,1,0]
	v_fma_mix_f32 v4, v12, v1, v4 op_sel_hi:[1,1,0]
	v_fma_mix_f32 v4, v13, v1, v4 op_sel:[0,1,0] op_sel_hi:[1,1,0]
	;; [unrolled: 2-line block ×4, first 2 shown]
	v_fma_mixlo_f16 v4, v4, v60, 0 op_sel_hi:[0,1,0]
	s_waitcnt vmcnt(0)
	v_add_f16_e32 v4, v5, v4
	v_fma_mix_f32 v5, v32, v0, 0 op_sel_hi:[1,1,0]
	v_fma_mix_f32 v5, v39, v0, v5 op_sel:[0,1,0] op_sel_hi:[1,1,0]
	v_fma_mix_f32 v5, v40, v1, v5 op_sel_hi:[1,1,0]
	v_fma_mix_f32 v5, v41, v1, v5 op_sel:[0,1,0] op_sel_hi:[1,1,0]
	;; [unrolled: 2-line block ×4, first 2 shown]
	v_fma_mixlo_f16 v5, v5, v60, 0 op_sel:[0,1,0] op_sel_hi:[0,1,0]
	v_add_f16_e32 v5, v24, v5
	v_pack_b32_f16 v29, v4, v5
	buffer_load_dword v5, off, s[28:31], 0 offset:44 ; 4-byte Folded Reload
	v_fma_mix_f32 v4, v31, v0, 0 op_sel_hi:[1,1,0]
	v_fma_mix_f32 v4, v45, v0, v4 op_sel:[0,1,0] op_sel_hi:[1,1,0]
	v_fma_mix_f32 v4, v47, v1, v4 op_sel_hi:[1,1,0]
	v_fma_mix_f32 v4, v48, v1, v4 op_sel:[0,1,0] op_sel_hi:[1,1,0]
	;; [unrolled: 2-line block ×4, first 2 shown]
	v_fma_mixlo_f16 v4, v4, v61, 0 op_sel_hi:[0,1,0]
	s_waitcnt vmcnt(0)
	v_add_f16_e32 v4, v5, v4
	v_fma_mix_f32 v5, v30, v0, 0 op_sel_hi:[1,1,0]
	v_fma_mix_f32 v0, v54, v0, v5 op_sel:[0,1,0] op_sel_hi:[1,1,0]
	v_fma_mix_f32 v0, v55, v1, v0 op_sel_hi:[1,1,0]
	v_fma_mix_f32 v0, v56, v1, v0 op_sel:[0,1,0] op_sel_hi:[1,1,0]
	buffer_load_dword v1, off, s[28:31], 0 offset:48 ; 4-byte Folded Reload
	buffer_load_dword v5, off, s[28:31], 0 offset:36 ; 4-byte Folded Reload
	v_fma_mix_f32 v0, v57, v2, v0 op_sel_hi:[1,1,0]
	v_fma_mix_f32 v0, v58, v2, v0 op_sel:[0,1,0] op_sel_hi:[1,1,0]
	v_fma_mix_f32 v0, v59, v3, v0 op_sel_hi:[1,1,0]
	v_fma_mix_f32 v0, v15, v3, v0 op_sel:[0,1,0] op_sel_hi:[1,1,0]
	v_fma_mixlo_f16 v0, v0, v61, 0 op_sel:[0,1,0] op_sel_hi:[0,1,0]
	s_waitcnt vmcnt(1)
	v_add_f16_e32 v0, v1, v0
	v_pack_b32_f16 v8, v4, v0
	ds_read_b128 v[0:3], v28 offset:816
	s_waitcnt lgkmcnt(0)
	v_fma_mix_f32 v4, v10, v0, 0 op_sel_hi:[1,1,0]
	v_fma_mix_f32 v4, v14, v0, v4 op_sel:[0,1,0] op_sel_hi:[1,1,0]
	v_fma_mix_f32 v4, v12, v1, v4 op_sel_hi:[1,1,0]
	v_fma_mix_f32 v4, v13, v1, v4 op_sel:[0,1,0] op_sel_hi:[1,1,0]
	;; [unrolled: 2-line block ×4, first 2 shown]
	v_fma_mixlo_f16 v4, v4, v60, 0 op_sel_hi:[0,1,0]
	s_waitcnt vmcnt(0)
	v_add_f16_e32 v4, v5, v4
	v_fma_mix_f32 v5, v32, v0, 0 op_sel_hi:[1,1,0]
	v_fma_mix_f32 v5, v39, v0, v5 op_sel:[0,1,0] op_sel_hi:[1,1,0]
	v_fma_mix_f32 v5, v40, v1, v5 op_sel_hi:[1,1,0]
	v_fma_mix_f32 v5, v41, v1, v5 op_sel:[0,1,0] op_sel_hi:[1,1,0]
	;; [unrolled: 2-line block ×4, first 2 shown]
	v_fma_mixlo_f16 v5, v5, v60, 0 op_sel:[0,1,0] op_sel_hi:[0,1,0]
	v_add_f16_e32 v5, v9, v5
	v_pack_b32_f16 v19, v4, v5
	buffer_load_dword v5, off, s[28:31], 0 offset:28 ; 4-byte Folded Reload
	v_fma_mix_f32 v4, v31, v0, 0 op_sel_hi:[1,1,0]
	v_fma_mix_f32 v4, v45, v0, v4 op_sel:[0,1,0] op_sel_hi:[1,1,0]
	v_fma_mix_f32 v4, v47, v1, v4 op_sel_hi:[1,1,0]
	v_fma_mix_f32 v4, v48, v1, v4 op_sel:[0,1,0] op_sel_hi:[1,1,0]
	;; [unrolled: 2-line block ×4, first 2 shown]
	v_fma_mixlo_f16 v4, v4, v61, 0 op_sel_hi:[0,1,0]
	buffer_load_dword v9, off, s[28:31], 0 offset:24 ; 4-byte Folded Reload
	s_waitcnt vmcnt(1)
	v_add_f16_e32 v4, v5, v4
	v_fma_mix_f32 v5, v30, v0, 0 op_sel_hi:[1,1,0]
	v_fma_mix_f32 v0, v54, v0, v5 op_sel:[0,1,0] op_sel_hi:[1,1,0]
	v_fma_mix_f32 v0, v55, v1, v0 op_sel_hi:[1,1,0]
	v_fma_mix_f32 v0, v56, v1, v0 op_sel:[0,1,0] op_sel_hi:[1,1,0]
	buffer_load_dword v1, off, s[28:31], 0 offset:32 ; 4-byte Folded Reload
	buffer_load_dword v5, off, s[28:31], 0 offset:20 ; 4-byte Folded Reload
	v_fma_mix_f32 v0, v57, v2, v0 op_sel_hi:[1,1,0]
	v_fma_mix_f32 v0, v58, v2, v0 op_sel:[0,1,0] op_sel_hi:[1,1,0]
	v_fma_mix_f32 v0, v59, v3, v0 op_sel_hi:[1,1,0]
	v_fma_mix_f32 v0, v15, v3, v0 op_sel:[0,1,0] op_sel_hi:[1,1,0]
	v_fma_mixlo_f16 v0, v0, v61, 0 op_sel:[0,1,0] op_sel_hi:[0,1,0]
	s_waitcnt vmcnt(1)
	v_add_f16_e32 v0, v1, v0
	v_pack_b32_f16 v11, v4, v0
	ds_read_b128 v[0:3], v28 offset:1072
	s_waitcnt lgkmcnt(0)
	v_fma_mix_f32 v4, v10, v0, 0 op_sel_hi:[1,1,0]
	v_fma_mix_f32 v4, v14, v0, v4 op_sel:[0,1,0] op_sel_hi:[1,1,0]
	v_fma_mix_f32 v4, v12, v1, v4 op_sel_hi:[1,1,0]
	v_fma_mix_f32 v4, v13, v1, v4 op_sel:[0,1,0] op_sel_hi:[1,1,0]
	;; [unrolled: 2-line block ×4, first 2 shown]
	v_fma_mixlo_f16 v4, v4, v60, 0 op_sel_hi:[0,1,0]
	s_waitcnt vmcnt(0)
	v_add_f16_e32 v4, v5, v4
	v_fma_mix_f32 v5, v32, v0, 0 op_sel_hi:[1,1,0]
	v_fma_mix_f32 v5, v39, v0, v5 op_sel:[0,1,0] op_sel_hi:[1,1,0]
	v_fma_mix_f32 v5, v40, v1, v5 op_sel_hi:[1,1,0]
	v_fma_mix_f32 v5, v41, v1, v5 op_sel:[0,1,0] op_sel_hi:[1,1,0]
	;; [unrolled: 2-line block ×4, first 2 shown]
	v_fma_mixlo_f16 v5, v5, v60, 0 op_sel:[0,1,0] op_sel_hi:[0,1,0]
	v_add_f16_e32 v5, v9, v5
	v_pack_b32_f16 v24, v4, v5
	buffer_load_dword v5, off, s[28:31], 0 offset:12 ; 4-byte Folded Reload
	v_fma_mix_f32 v4, v31, v0, 0 op_sel_hi:[1,1,0]
	v_fma_mix_f32 v4, v45, v0, v4 op_sel:[0,1,0] op_sel_hi:[1,1,0]
	v_fma_mix_f32 v4, v47, v1, v4 op_sel_hi:[1,1,0]
	v_fma_mix_f32 v4, v48, v1, v4 op_sel:[0,1,0] op_sel_hi:[1,1,0]
	;; [unrolled: 2-line block ×4, first 2 shown]
	v_fma_mixlo_f16 v4, v4, v61, 0 op_sel_hi:[0,1,0]
	buffer_load_dword v9, off, s[28:31], 0 offset:4 ; 4-byte Folded Reload
	s_waitcnt vmcnt(1)
	v_add_f16_e32 v4, v5, v4
	v_fma_mix_f32 v5, v30, v0, 0 op_sel_hi:[1,1,0]
	v_fma_mix_f32 v0, v54, v0, v5 op_sel:[0,1,0] op_sel_hi:[1,1,0]
	v_fma_mix_f32 v0, v55, v1, v0 op_sel_hi:[1,1,0]
	v_fma_mix_f32 v0, v56, v1, v0 op_sel:[0,1,0] op_sel_hi:[1,1,0]
	buffer_load_dword v1, off, s[28:31], 0 offset:16 ; 4-byte Folded Reload
	buffer_load_dword v5, off, s[28:31], 0 offset:8 ; 4-byte Folded Reload
	v_fma_mix_f32 v0, v57, v2, v0 op_sel_hi:[1,1,0]
	v_fma_mix_f32 v0, v58, v2, v0 op_sel:[0,1,0] op_sel_hi:[1,1,0]
	v_fma_mix_f32 v0, v59, v3, v0 op_sel_hi:[1,1,0]
	v_fma_mix_f32 v0, v15, v3, v0 op_sel:[0,1,0] op_sel_hi:[1,1,0]
	v_fma_mixlo_f16 v0, v0, v61, 0 op_sel:[0,1,0] op_sel_hi:[0,1,0]
	s_waitcnt vmcnt(1)
	v_add_f16_e32 v0, v1, v0
	v_pack_b32_f16 v22, v4, v0
	ds_read_b128 v[0:3], v28 offset:1328
	s_waitcnt lgkmcnt(0)
	v_fma_mix_f32 v4, v10, v0, 0 op_sel_hi:[1,1,0]
	v_fma_mix_f32 v4, v14, v0, v4 op_sel:[0,1,0] op_sel_hi:[1,1,0]
	v_fma_mix_f32 v4, v12, v1, v4 op_sel_hi:[1,1,0]
	v_fma_mix_f32 v4, v13, v1, v4 op_sel:[0,1,0] op_sel_hi:[1,1,0]
	;; [unrolled: 2-line block ×4, first 2 shown]
	v_fma_mixlo_f16 v4, v4, v60, 0 op_sel_hi:[0,1,0]
	s_waitcnt vmcnt(0)
	v_add_f16_e32 v4, v5, v4
	v_fma_mix_f32 v5, v32, v0, 0 op_sel_hi:[1,1,0]
	v_fma_mix_f32 v5, v39, v0, v5 op_sel:[0,1,0] op_sel_hi:[1,1,0]
	v_fma_mix_f32 v5, v40, v1, v5 op_sel_hi:[1,1,0]
	v_fma_mix_f32 v5, v41, v1, v5 op_sel:[0,1,0] op_sel_hi:[1,1,0]
	v_fma_mix_f32 v5, v42, v2, v5 op_sel_hi:[1,1,0]
	v_fma_mix_f32 v5, v43, v2, v5 op_sel:[0,1,0] op_sel_hi:[1,1,0]
	v_fma_mix_f32 v5, v44, v3, v5 op_sel_hi:[1,1,0]
	v_fma_mix_f32 v5, v46, v3, v5 op_sel:[0,1,0] op_sel_hi:[1,1,0]
	v_fma_mixlo_f16 v5, v5, v60, 0 op_sel:[0,1,0] op_sel_hi:[0,1,0]
	v_add_f16_e32 v5, v9, v5
	v_pack_b32_f16 v9, v4, v5
	buffer_load_dword v5, off, s[28:31], 0  ; 4-byte Folded Reload
	v_fma_mix_f32 v4, v31, v0, 0 op_sel_hi:[1,1,0]
	v_fma_mix_f32 v4, v45, v0, v4 op_sel:[0,1,0] op_sel_hi:[1,1,0]
	v_fma_mix_f32 v4, v47, v1, v4 op_sel_hi:[1,1,0]
	v_fma_mix_f32 v4, v48, v1, v4 op_sel:[0,1,0] op_sel_hi:[1,1,0]
	;; [unrolled: 2-line block ×4, first 2 shown]
	v_fma_mixlo_f16 v4, v4, v61, 0 op_sel_hi:[0,1,0]
	s_waitcnt vmcnt(0)
	v_add_f16_e32 v4, v5, v4
	v_fma_mix_f32 v5, v30, v0, 0 op_sel_hi:[1,1,0]
	v_fma_mix_f32 v0, v54, v0, v5 op_sel:[0,1,0] op_sel_hi:[1,1,0]
	v_fma_mix_f32 v0, v55, v1, v0 op_sel_hi:[1,1,0]
	v_fma_mix_f32 v0, v56, v1, v0 op_sel:[0,1,0] op_sel_hi:[1,1,0]
	;; [unrolled: 2-line block ×4, first 2 shown]
	v_fma_mixlo_f16 v0, v0, v61, 0 op_sel:[0,1,0] op_sel_hi:[0,1,0]
	v_add_f16_e32 v0, v23, v0
	v_pack_b32_f16 v5, v4, v0
	v_add_co_u32_e32 v0, vcc, s0, v25
	v_addc_co_u32_e32 v1, vcc, v26, v27, vcc
	s_cbranch_scc1 .LBB38_21
; %bb.20:                               ;   in Loop: Header=BB38_17 Depth=1
	buffer_store_dword v5, off, s[28:31], 0 offset:28 ; 4-byte Folded Spill
	buffer_store_dword v6, off, s[28:31], 0 ; 4-byte Folded Spill
	buffer_load_dword v3, off, s[28:31], 0 offset:100 ; 4-byte Folded Reload
	s_nop 0
	buffer_load_dword v5, off, s[28:31], 0 offset:104 ; 4-byte Folded Reload
	buffer_load_dword v6, off, s[28:31], 0 offset:108 ; 4-byte Folded Reload
	;; [unrolled: 1-line block ×3, first 2 shown]
	s_branch .LBB38_17
.LBB38_21:
	buffer_load_dword v0, off, s[28:31], 0 offset:120 ; 4-byte Folded Reload
	buffer_load_dword v1, off, s[28:31], 0 offset:124 ; 4-byte Folded Reload
	s_mul_i32 s7, s7, s16
	v_mov_b32_e32 v3, s15
	s_mov_b64 s[0:1], 0
	s_waitcnt vmcnt(1)
	v_add_u32_e32 v0, s7, v0
	s_waitcnt vmcnt(0)
	v_ashrrev_i32_e32 v1, 31, v0
	v_lshlrev_b64 v[1:2], 1, v[0:1]
	v_add_co_u32_e32 v1, vcc, s14, v1
	v_addc_co_u32_e32 v2, vcc, v3, v2, vcc
	global_load_dword v4, v[1:2], off
.LBB38_22:                              ; =>This Inner Loop Header: Depth=1
	s_waitcnt vmcnt(0)
	v_pk_add_f16 v3, v21, v4
	global_atomic_cmpswap v3, v[1:2], v[3:4], off glc
	s_waitcnt vmcnt(0)
	v_cmp_eq_u32_e32 vcc, v4, v3
	s_or_b64 s[0:1], vcc, s[0:1]
	v_mov_b32_e32 v4, v3
	s_andn2_b64 exec, exec, s[0:1]
	s_cbranch_execnz .LBB38_22
; %bb.23:
	s_or_b64 exec, exec, s[0:1]
	global_load_dword v4, v[1:2], off offset:4
	s_mov_b64 s[0:1], 0
.LBB38_24:                              ; =>This Inner Loop Header: Depth=1
	s_waitcnt vmcnt(0)
	v_pk_add_f16 v3, v20, v4
	global_atomic_cmpswap v3, v[1:2], v[3:4], off offset:4 glc
	s_waitcnt vmcnt(0)
	v_cmp_eq_u32_e32 vcc, v4, v3
	s_or_b64 s[0:1], vcc, s[0:1]
	v_mov_b32_e32 v4, v3
	s_andn2_b64 exec, exec, s[0:1]
	s_cbranch_execnz .LBB38_24
; %bb.25:
	s_or_b64 exec, exec, s[0:1]
	v_add_u32_e32 v0, s16, v0
	v_ashrrev_i32_e32 v1, 31, v0
	v_lshlrev_b64 v[1:2], 1, v[0:1]
	v_mov_b32_e32 v3, s15
	v_add_co_u32_e32 v1, vcc, s14, v1
	v_addc_co_u32_e32 v2, vcc, v3, v2, vcc
	global_load_dword v4, v[1:2], off
	s_mov_b64 s[0:1], 0
.LBB38_26:                              ; =>This Inner Loop Header: Depth=1
	s_waitcnt vmcnt(0)
	v_pk_add_f16 v3, v7, v4
	global_atomic_cmpswap v3, v[1:2], v[3:4], off glc
	s_waitcnt vmcnt(0)
	v_cmp_eq_u32_e32 vcc, v4, v3
	s_or_b64 s[0:1], vcc, s[0:1]
	v_mov_b32_e32 v4, v3
	s_andn2_b64 exec, exec, s[0:1]
	s_cbranch_execnz .LBB38_26
; %bb.27:
	s_or_b64 exec, exec, s[0:1]
	global_load_dword v4, v[1:2], off offset:4
	s_mov_b64 s[0:1], 0
.LBB38_28:                              ; =>This Inner Loop Header: Depth=1
	s_waitcnt vmcnt(0)
	v_pk_add_f16 v3, v6, v4
	global_atomic_cmpswap v3, v[1:2], v[3:4], off offset:4 glc
	s_waitcnt vmcnt(0)
	v_cmp_eq_u32_e32 vcc, v4, v3
	s_or_b64 s[0:1], vcc, s[0:1]
	v_mov_b32_e32 v4, v3
	s_andn2_b64 exec, exec, s[0:1]
	s_cbranch_execnz .LBB38_28
; %bb.29:
	s_or_b64 exec, exec, s[0:1]
	v_add_u32_e32 v0, s16, v0
	v_ashrrev_i32_e32 v1, 31, v0
	v_lshlrev_b64 v[1:2], 1, v[0:1]
	v_mov_b32_e32 v3, s15
	v_add_co_u32_e32 v1, vcc, s14, v1
	v_addc_co_u32_e32 v2, vcc, v3, v2, vcc
	global_load_dword v4, v[1:2], off
	s_mov_b64 s[0:1], 0
	;; [unrolled: 34-line block ×5, first 2 shown]
.LBB38_42:                              ; =>This Inner Loop Header: Depth=1
	s_waitcnt vmcnt(0)
	v_pk_add_f16 v2, v9, v3
	global_atomic_cmpswap v2, v[0:1], v[2:3], off glc
	s_waitcnt vmcnt(0)
	v_cmp_eq_u32_e32 vcc, v3, v2
	s_or_b64 s[0:1], vcc, s[0:1]
	v_mov_b32_e32 v3, v2
	s_andn2_b64 exec, exec, s[0:1]
	s_cbranch_execnz .LBB38_42
; %bb.43:
	s_or_b64 exec, exec, s[0:1]
	global_load_dword v3, v[0:1], off offset:4
	s_mov_b64 s[0:1], 0
.LBB38_44:                              ; =>This Inner Loop Header: Depth=1
	s_waitcnt vmcnt(0)
	v_pk_add_f16 v2, v5, v3
	global_atomic_cmpswap v2, v[0:1], v[2:3], off offset:4 glc
	s_waitcnt vmcnt(0)
	v_cmp_eq_u32_e32 vcc, v3, v2
	s_or_b64 s[0:1], vcc, s[0:1]
	v_mov_b32_e32 v3, v2
	s_andn2_b64 exec, exec, s[0:1]
	s_cbranch_execnz .LBB38_44
.LBB38_45:
	s_endpgm
	.section	.rodata,"a",@progbits
	.p2align	6, 0x0
	.amdhsa_kernel _ZN4vllm4gptq33gemm_half_q_half_gptq_8bit_kernelILb1ELi6EEEvPK6__halfPKjS6_S4_PS2_iiiibPKi
		.amdhsa_group_segment_fixed_size 1536
		.amdhsa_private_segment_fixed_size 136
		.amdhsa_kernarg_size 72
		.amdhsa_user_sgpr_count 6
		.amdhsa_user_sgpr_private_segment_buffer 1
		.amdhsa_user_sgpr_dispatch_ptr 0
		.amdhsa_user_sgpr_queue_ptr 0
		.amdhsa_user_sgpr_kernarg_segment_ptr 1
		.amdhsa_user_sgpr_dispatch_id 0
		.amdhsa_user_sgpr_flat_scratch_init 0
		.amdhsa_user_sgpr_private_segment_size 0
		.amdhsa_uses_dynamic_stack 0
		.amdhsa_system_sgpr_private_segment_wavefront_offset 1
		.amdhsa_system_sgpr_workgroup_id_x 1
		.amdhsa_system_sgpr_workgroup_id_y 1
		.amdhsa_system_sgpr_workgroup_id_z 1
		.amdhsa_system_sgpr_workgroup_info 0
		.amdhsa_system_vgpr_workitem_id 0
		.amdhsa_next_free_vgpr 64
		.amdhsa_next_free_sgpr 32
		.amdhsa_reserve_vcc 1
		.amdhsa_reserve_flat_scratch 0
		.amdhsa_float_round_mode_32 0
		.amdhsa_float_round_mode_16_64 0
		.amdhsa_float_denorm_mode_32 3
		.amdhsa_float_denorm_mode_16_64 3
		.amdhsa_dx10_clamp 1
		.amdhsa_ieee_mode 1
		.amdhsa_fp16_overflow 0
		.amdhsa_exception_fp_ieee_invalid_op 0
		.amdhsa_exception_fp_denorm_src 0
		.amdhsa_exception_fp_ieee_div_zero 0
		.amdhsa_exception_fp_ieee_overflow 0
		.amdhsa_exception_fp_ieee_underflow 0
		.amdhsa_exception_fp_ieee_inexact 0
		.amdhsa_exception_int_div_zero 0
	.end_amdhsa_kernel
	.section	.text._ZN4vllm4gptq33gemm_half_q_half_gptq_8bit_kernelILb1ELi6EEEvPK6__halfPKjS6_S4_PS2_iiiibPKi,"axG",@progbits,_ZN4vllm4gptq33gemm_half_q_half_gptq_8bit_kernelILb1ELi6EEEvPK6__halfPKjS6_S4_PS2_iiiibPKi,comdat
.Lfunc_end38:
	.size	_ZN4vllm4gptq33gemm_half_q_half_gptq_8bit_kernelILb1ELi6EEEvPK6__halfPKjS6_S4_PS2_iiiibPKi, .Lfunc_end38-_ZN4vllm4gptq33gemm_half_q_half_gptq_8bit_kernelILb1ELi6EEEvPK6__halfPKjS6_S4_PS2_iiiibPKi
                                        ; -- End function
	.set _ZN4vllm4gptq33gemm_half_q_half_gptq_8bit_kernelILb1ELi6EEEvPK6__halfPKjS6_S4_PS2_iiiibPKi.num_vgpr, 64
	.set _ZN4vllm4gptq33gemm_half_q_half_gptq_8bit_kernelILb1ELi6EEEvPK6__halfPKjS6_S4_PS2_iiiibPKi.num_agpr, 0
	.set _ZN4vllm4gptq33gemm_half_q_half_gptq_8bit_kernelILb1ELi6EEEvPK6__halfPKjS6_S4_PS2_iiiibPKi.numbered_sgpr, 32
	.set _ZN4vllm4gptq33gemm_half_q_half_gptq_8bit_kernelILb1ELi6EEEvPK6__halfPKjS6_S4_PS2_iiiibPKi.num_named_barrier, 0
	.set _ZN4vllm4gptq33gemm_half_q_half_gptq_8bit_kernelILb1ELi6EEEvPK6__halfPKjS6_S4_PS2_iiiibPKi.private_seg_size, 136
	.set _ZN4vllm4gptq33gemm_half_q_half_gptq_8bit_kernelILb1ELi6EEEvPK6__halfPKjS6_S4_PS2_iiiibPKi.uses_vcc, 1
	.set _ZN4vllm4gptq33gemm_half_q_half_gptq_8bit_kernelILb1ELi6EEEvPK6__halfPKjS6_S4_PS2_iiiibPKi.uses_flat_scratch, 0
	.set _ZN4vllm4gptq33gemm_half_q_half_gptq_8bit_kernelILb1ELi6EEEvPK6__halfPKjS6_S4_PS2_iiiibPKi.has_dyn_sized_stack, 0
	.set _ZN4vllm4gptq33gemm_half_q_half_gptq_8bit_kernelILb1ELi6EEEvPK6__halfPKjS6_S4_PS2_iiiibPKi.has_recursion, 0
	.set _ZN4vllm4gptq33gemm_half_q_half_gptq_8bit_kernelILb1ELi6EEEvPK6__halfPKjS6_S4_PS2_iiiibPKi.has_indirect_call, 0
	.section	.AMDGPU.csdata,"",@progbits
; Kernel info:
; codeLenInByte = 13816
; TotalNumSgprs: 36
; NumVgprs: 64
; ScratchSize: 136
; MemoryBound: 0
; FloatMode: 240
; IeeeMode: 1
; LDSByteSize: 1536 bytes/workgroup (compile time only)
; SGPRBlocks: 4
; VGPRBlocks: 15
; NumSGPRsForWavesPerEU: 36
; NumVGPRsForWavesPerEU: 64
; Occupancy: 4
; WaveLimiterHint : 0
; COMPUTE_PGM_RSRC2:SCRATCH_EN: 1
; COMPUTE_PGM_RSRC2:USER_SGPR: 6
; COMPUTE_PGM_RSRC2:TRAP_HANDLER: 0
; COMPUTE_PGM_RSRC2:TGID_X_EN: 1
; COMPUTE_PGM_RSRC2:TGID_Y_EN: 1
; COMPUTE_PGM_RSRC2:TGID_Z_EN: 1
; COMPUTE_PGM_RSRC2:TIDIG_COMP_CNT: 0
	.section	.text._ZN4vllm4gptq33gemm_half_q_half_gptq_2bit_kernelILb1ELi7EEEvPK6__halfPKjS6_S4_PS2_iiiibPKi,"axG",@progbits,_ZN4vllm4gptq33gemm_half_q_half_gptq_2bit_kernelILb1ELi7EEEvPK6__halfPKjS6_S4_PS2_iiiibPKi,comdat
	.protected	_ZN4vllm4gptq33gemm_half_q_half_gptq_2bit_kernelILb1ELi7EEEvPK6__halfPKjS6_S4_PS2_iiiibPKi ; -- Begin function _ZN4vllm4gptq33gemm_half_q_half_gptq_2bit_kernelILb1ELi7EEEvPK6__halfPKjS6_S4_PS2_iiiibPKi
	.globl	_ZN4vllm4gptq33gemm_half_q_half_gptq_2bit_kernelILb1ELi7EEEvPK6__halfPKjS6_S4_PS2_iiiibPKi
	.p2align	8
	.type	_ZN4vllm4gptq33gemm_half_q_half_gptq_2bit_kernelILb1ELi7EEEvPK6__halfPKjS6_S4_PS2_iiiibPKi,@function
_ZN4vllm4gptq33gemm_half_q_half_gptq_2bit_kernelILb1ELi7EEEvPK6__halfPKjS6_S4_PS2_iiiibPKi: ; @_ZN4vllm4gptq33gemm_half_q_half_gptq_2bit_kernelILb1ELi7EEEvPK6__halfPKjS6_S4_PS2_iiiibPKi
; %bb.0:
	s_mov_b64 s[30:31], s[2:3]
	s_load_dwordx4 s[16:19], s[4:5], 0x2c
	s_mov_b64 s[28:29], s[0:1]
	s_add_u32 s28, s28, s9
	s_addc_u32 s29, s29, 0
	s_lshl_b32 s24, s8, 7
	s_add_i32 s0, s24, 0x80
	v_cvt_f64_u32_e32 v[1:2], s0
	s_waitcnt lgkmcnt(0)
	v_cvt_f64_i32_e32 v[3:4], s17
	s_load_dwordx8 s[8:15], s[4:5], 0x8
	s_mul_i32 s7, s7, 7
	v_min_f64 v[1:2], v[1:2], v[3:4]
	v_cvt_i32_f64_e32 v2, v[1:2]
	v_add_u32_e32 v1, s24, v0
	v_readfirstlane_b32 s25, v2
	v_cmp_lt_u32_e32 vcc, v1, v2
	s_and_saveexec_b64 s[2:3], vcc
	s_cbranch_execz .LBB39_16
; %bb.1:
	s_load_dwordx2 s[0:1], s[4:5], 0x40
	s_load_dwordx2 s[20:21], s[4:5], 0x0
	v_mov_b32_e32 v2, 0
	v_lshlrev_b64 v[3:4], 2, v[1:2]
	s_waitcnt lgkmcnt(0)
	v_mov_b32_e32 v5, s1
	v_add_co_u32_e32 v3, vcc, s0, v3
	s_cmp_lg_u64 s[0:1], 0
	v_addc_co_u32_e32 v4, vcc, v5, v4, vcc
	v_mov_b32_e32 v6, v2
	s_cselect_b64 s[4:5], -1, 0
	s_cmp_eq_u64 s[0:1], 0
	v_mov_b32_e32 v5, v1
	s_cbranch_scc1 .LBB39_3
; %bb.2:
	global_load_dword v5, v[3:4], off
	s_waitcnt vmcnt(0)
	v_ashrrev_i32_e32 v6, 31, v5
.LBB39_3:
	s_mul_i32 s22, s7, s17
	s_ashr_i32 s23, s22, 31
	s_lshl_b64 s[0:1], s[22:23], 1
	s_add_u32 s0, s20, s0
	v_lshlrev_b64 v[5:6], 1, v[5:6]
	s_addc_u32 s1, s21, s1
	v_mov_b32_e32 v7, s1
	v_add_co_u32_e32 v5, vcc, s0, v5
	v_addc_co_u32_e32 v6, vcc, v7, v6, vcc
	global_load_ushort v5, v[5:6], off
	v_lshlrev_b32_e32 v7, 1, v0
	v_cndmask_b32_e64 v6, 0, 1, s[4:5]
	v_cmp_ne_u32_e64 s[0:1], 1, v6
	s_andn2_b64 vcc, exec, s[4:5]
	s_waitcnt vmcnt(0)
	ds_write_b16 v7, v5
	v_mov_b32_e32 v6, v2
	v_mov_b32_e32 v5, v1
	s_cbranch_vccnz .LBB39_5
; %bb.4:
	global_load_dword v5, v[3:4], off
	s_waitcnt vmcnt(0)
	v_ashrrev_i32_e32 v6, 31, v5
.LBB39_5:
	s_add_i32 s4, s22, s17
	s_ashr_i32 s5, s4, 31
	s_lshl_b64 s[22:23], s[4:5], 1
	s_add_u32 s5, s20, s22
	v_lshlrev_b64 v[5:6], 1, v[5:6]
	s_addc_u32 s22, s21, s23
	v_mov_b32_e32 v8, s22
	v_add_co_u32_e32 v5, vcc, s5, v5
	v_addc_co_u32_e32 v6, vcc, v8, v6, vcc
	global_load_ushort v5, v[5:6], off
	s_and_b64 vcc, exec, s[0:1]
	s_waitcnt vmcnt(0)
	ds_write_b16 v7, v5 offset:256
	v_mov_b32_e32 v6, v2
	v_mov_b32_e32 v5, v1
	s_cbranch_vccnz .LBB39_7
; %bb.6:
	global_load_dword v5, v[3:4], off
	s_waitcnt vmcnt(0)
	v_ashrrev_i32_e32 v6, 31, v5
.LBB39_7:
	s_add_i32 s4, s4, s17
	s_ashr_i32 s5, s4, 31
	s_lshl_b64 s[22:23], s[4:5], 1
	s_add_u32 s5, s20, s22
	v_lshlrev_b64 v[5:6], 1, v[5:6]
	s_addc_u32 s22, s21, s23
	v_mov_b32_e32 v8, s22
	v_add_co_u32_e32 v5, vcc, s5, v5
	v_addc_co_u32_e32 v6, vcc, v8, v6, vcc
	global_load_ushort v5, v[5:6], off
	s_and_b64 vcc, exec, s[0:1]
	s_waitcnt vmcnt(0)
	ds_write_b16 v7, v5 offset:512
	;; [unrolled: 21-line block ×5, first 2 shown]
	s_cbranch_vccnz .LBB39_15
; %bb.14:
	global_load_dword v1, v[3:4], off
	s_waitcnt vmcnt(0)
	v_ashrrev_i32_e32 v2, 31, v1
.LBB39_15:
	s_add_i32 s0, s4, s17
	s_ashr_i32 s1, s0, 31
	s_lshl_b64 s[0:1], s[0:1], 1
	s_add_u32 s0, s20, s0
	v_lshlrev_b64 v[1:2], 1, v[1:2]
	s_addc_u32 s1, s21, s1
	v_mov_b32_e32 v3, s1
	v_add_co_u32_e32 v1, vcc, s0, v1
	v_addc_co_u32_e32 v2, vcc, v3, v2, vcc
	global_load_ushort v1, v[1:2], off
	s_waitcnt vmcnt(0)
	ds_write_b16 v7, v1 offset:1536
.LBB39_16:
	s_or_b64 exec, exec, s[2:3]
	v_lshlrev_b32_e32 v1, 2, v0
	v_lshl_add_u32 v2, s6, 9, v1
	v_mov_b32_e32 v1, v2
	buffer_store_dword v1, off, s[28:31], 0 offset:76 ; 4-byte Folded Spill
	s_nop 0
	buffer_store_dword v2, off, s[28:31], 0 offset:80 ; 4-byte Folded Spill
	v_cmp_gt_i32_e32 vcc, s16, v2
	s_and_saveexec_b64 s[0:1], vcc
	s_cbranch_execz .LBB39_51
; %bb.17:
	s_abs_i32 s0, s18
	v_cvt_f32_u32_e32 v1, s0
	s_mov_b32 s2, 0
	v_mov_b32_e32 v29, 0
	v_mov_b32_e32 v28, 0
	v_rcp_iflag_f32_e32 v1, v1
	v_mov_b32_e32 v26, 0
	v_mov_b32_e32 v25, 0
	s_cmp_ge_i32 s24, s25
	v_mul_f32_e32 v1, 0x4f7ffffe, v1
	v_cvt_u32_f32_e32 v1, v1
	v_mov_b32_e32 v30, 0
	v_mov_b32_e32 v12, 0
	;; [unrolled: 1-line block ×3, first 2 shown]
	v_readfirstlane_b32 s1, v1
	v_mov_b32_e32 v11, 0
	v_mov_b32_e32 v19, 0
	;; [unrolled: 1-line block ×7, first 2 shown]
	s_waitcnt vmcnt(0) lgkmcnt(0)
	s_barrier
	s_cbranch_scc1 .LBB39_23
; %bb.18:
	buffer_load_dword v5, off, s[28:31], 0 offset:76 ; 4-byte Folded Reload
	buffer_load_dword v6, off, s[28:31], 0 offset:80 ; 4-byte Folded Reload
	s_sub_i32 s6, 0, s0
	s_mul_i32 s6, s6, s1
	s_mul_hi_u32 s6, s1, s6
	s_abs_i32 s5, s17
	s_add_i32 s1, s1, s6
	s_ashr_i32 s3, s17, 31
	s_ashr_i32 s4, s18, 31
	s_mul_hi_u32 s1, s5, s1
	s_xor_b32 s3, s3, s4
	s_mul_i32 s4, s1, s0
	s_sub_i32 s4, s5, s4
	s_add_i32 s5, s1, 1
	s_sub_i32 s6, s4, s0
	s_cmp_ge_u32 s4, s0
	s_cselect_b32 s1, s5, s1
	s_cselect_b32 s4, s6, s4
	s_add_i32 s5, s1, 1
	s_cmp_ge_u32 s4, s0
	s_cselect_b32 s0, s5, s1
	s_xor_b32 s0, s0, s3
	s_sub_i32 s3, s0, s3
	v_cvt_f32_u32_e32 v1, s3
	s_bitcmp1_b32 s19, 0
	s_cselect_b64 s[0:1], -1, 0
	s_sub_i32 s4, 0, s3
	v_rcp_iflag_f32_e32 v1, v1
	s_xor_b64 s[0:1], s[0:1], -1
	v_mov_b32_e32 v3, s11
	v_mov_b32_e32 v8, 0
	v_mul_f32_e32 v1, 0x4f7ffffe, v1
	v_cvt_u32_f32_e32 v1, v1
	s_movk_i32 s18, 0x2c00
	s_movk_i32 s19, 0x2400
	s_mov_b32 s20, 0x7060302
	v_readfirstlane_b32 s5, v1
	s_mul_i32 s4, s4, s5
	s_mul_hi_u32 s4, s5, s4
	s_add_i32 s5, s5, s4
	s_mul_hi_u32 s4, s24, s5
	s_mul_i32 s5, s4, s3
	s_sub_i32 s5, s24, s5
	s_add_i32 s6, s4, 1
	s_sub_i32 s17, s5, s3
	s_cmp_ge_u32 s5, s3
	s_cselect_b32 s4, s6, s4
	s_cselect_b32 s5, s17, s5
	s_add_i32 s6, s4, 1
	s_cmp_ge_u32 s5, s3
	s_cselect_b32 s4, s6, s4
	s_mul_i32 s5, s4, s16
	s_ashr_i32 s6, s5, 31
	s_lshr_b32 s6, s6, 28
	s_add_i32 s6, s5, s6
	s_ashr_i32 s6, s6, 4
	s_add_i32 s21, s3, s24
	s_ashr_i32 s17, s16, 31
	v_mov_b32_e32 v15, 0
	v_mov_b32_e32 v9, 0
	;; [unrolled: 1-line block ×13, first 2 shown]
	s_waitcnt vmcnt(0)
	v_ashrrev_i32_e32 v6, 31, v5
	v_lshrrev_b32_e32 v2, 28, v6
	v_add_u32_e32 v2, v5, v2
	v_ashrrev_i32_e32 v2, 4, v2
	v_add_u32_e32 v1, s6, v2
	buffer_store_dword v2, off, s[28:31], 0 offset:84 ; 4-byte Folded Spill
	v_ashrrev_i32_e32 v2, 31, v1
	v_lshlrev_b64 v[1:2], 2, v[1:2]
	s_movk_i32 s6, 0x3400
	v_add_co_u32_e32 v1, vcc, s10, v1
	v_addc_co_u32_e32 v2, vcc, v3, v2, vcc
	global_load_dword v7, v[1:2], off
	v_add_u32_e32 v1, s5, v5
	v_ashrrev_i32_e32 v2, 31, v1
	v_lshlrev_b64 v[1:2], 1, v[1:2]
	v_mov_b32_e32 v3, s13
	v_add_co_u32_e32 v1, vcc, s12, v1
	v_addc_co_u32_e32 v2, vcc, v3, v2, vcc
	global_load_dwordx2 v[3:4], v[1:2], off
	v_lshlrev_b32_e32 v2, 3, v0
	v_mov_b32_e32 v0, v5
	buffer_store_dword v0, off, s[28:31], 0 offset:76 ; 4-byte Folded Spill
	s_nop 0
	buffer_store_dword v1, off, s[28:31], 0 offset:80 ; 4-byte Folded Spill
	v_lshlrev_b64 v[0:1], 2, v[5:6]
	v_cndmask_b32_e64 v5, 0, 1, s[0:1]
	s_lshr_b32 s0, s24, 4
	s_mul_i32 s0, s16, s0
	s_ashr_i32 s1, s0, 31
	s_lshl_b64 s[0:1], s[0:1], 2
	s_add_u32 s8, s8, s0
	s_addc_u32 s9, s9, s1
	buffer_store_dword v5, off, s[28:31], 0 offset:72 ; 4-byte Folded Spill
	v_mov_b32_e32 v5, s9
	v_add_co_u32_e32 v0, vcc, s8, v0
	v_addc_co_u32_e32 v1, vcc, v5, v1, vcc
	v_and_b32_e32 v13, 24, v2
	v_add_co_u32_e32 v5, vcc, 8, v0
	v_addc_co_u32_e32 v6, vcc, 0, v1, vcc
	s_mov_b32 s5, 0x10001
	s_lshl_b64 s[0:1], s[16:17], 2
	buffer_store_dword v13, off, s[28:31], 0 offset:88 ; 4-byte Folded Spill
	s_waitcnt vmcnt(5)
	v_lshrrev_b32_e32 v0, v2, v7
	v_bfe_u32 v1, v7, v13, 2
	buffer_store_dword v1, off, s[28:31], 0 offset:56 ; 4-byte Folded Spill
	v_bfe_u32 v1, v0, 6, 2
	buffer_store_dword v1, off, s[28:31], 0 offset:60 ; 4-byte Folded Spill
	v_bfe_u32 v1, v0, 4, 2
	v_bfe_u32 v0, v0, 2, 2
	buffer_store_dword v1, off, s[28:31], 0 offset:64 ; 4-byte Folded Spill
	buffer_store_dword v0, off, s[28:31], 0 offset:68 ; 4-byte Folded Spill
	s_branch .LBB39_21
.LBB39_19:                              ;   in Loop: Header=BB39_21 Depth=1
	buffer_load_dword v0, off, s[28:31], 0 offset:84 ; 4-byte Folded Reload
	s_add_i32 s4, s4, 1
	s_mul_i32 s8, s4, s16
	s_ashr_i32 s9, s8, 31
	s_lshr_b32 s9, s9, 28
	s_add_i32 s9, s8, s9
	s_ashr_i32 s9, s9, 4
	v_mov_b32_e32 v2, s11
	s_waitcnt vmcnt(19)
	v_mov_b32_e32 v3, s13
	s_add_i32 s21, s21, s3
	s_waitcnt vmcnt(0)
	v_add_u32_e32 v0, s9, v0
	v_ashrrev_i32_e32 v1, 31, v0
	v_lshlrev_b64 v[0:1], 2, v[0:1]
	v_add_co_u32_e32 v0, vcc, s10, v0
	v_addc_co_u32_e32 v1, vcc, v2, v1, vcc
	global_load_dword v2, v[0:1], off
	s_nop 0
	buffer_load_dword v0, off, s[28:31], 0 offset:76 ; 4-byte Folded Reload
	buffer_load_dword v1, off, s[28:31], 0 offset:80 ; 4-byte Folded Reload
	s_waitcnt vmcnt(1)
	v_add_u32_e32 v0, s8, v0
	s_waitcnt vmcnt(0)
	v_ashrrev_i32_e32 v1, 31, v0
	v_lshlrev_b64 v[0:1], 1, v[0:1]
	v_add_co_u32_e32 v0, vcc, s12, v0
	v_addc_co_u32_e32 v1, vcc, v3, v1, vcc
	global_load_dwordx2 v[3:4], v[0:1], off
	s_nop 0
	buffer_load_dword v1, off, s[28:31], 0 offset:88 ; 4-byte Folded Reload
	s_waitcnt vmcnt(0)
	v_lshrrev_b32_e32 v0, v1, v2
	v_bfe_u32 v1, v2, v1, 2
	v_bfe_u32 v9, v0, 2, 2
	;; [unrolled: 1-line block ×4, first 2 shown]
.LBB39_20:                              ;   in Loop: Header=BB39_21 Depth=1
	buffer_load_dword v2, off, s[28:31], 0 offset:72 ; 4-byte Folded Reload
	global_load_dwordx4 v[19:22], v[5:6], off offset:-8
	v_mov_b32_e32 v15, 0xe400e400
	s_waitcnt vmcnt(5)
	buffer_store_dword v1, off, s[28:31], 0 offset:56 ; 4-byte Folded Spill
	s_waitcnt vmcnt(4)
	buffer_store_dword v7, off, s[28:31], 0 offset:64 ; 4-byte Folded Spill
	;; [unrolled: 2-line block ×3, first 2 shown]
	buffer_store_dword v8, off, s[28:31], 0 offset:60 ; 4-byte Folded Spill
	s_add_i32 s8, s2, 0x400
	s_add_i32 s24, s24, 16
	v_add_co_u32_e32 v5, vcc, s0, v5
	s_waitcnt vmcnt(5)
	v_add_u32_e32 v0, v1, v2
	v_add_u32_e32 v1, v9, v2
	v_cvt_f32_u32_e32 v27, v0
	v_add_u32_e32 v7, v7, v2
	v_mad_u32_u24 v14, v0, s5, v15
	v_cvt_f32_u32_e32 v0, v1
	v_add_u32_e32 v8, v8, v2
	s_waitcnt vmcnt(4)
	v_and_b32_e32 v35, 0x30003, v19
	v_and_b32_e32 v36, 0xc000c, v19
	v_and_b32_e32 v9, 0x300030, v19
	v_and_b32_e32 v10, 0xc000c0, v19
	v_lshrrev_b32_e32 v13, 8, v19
	v_and_b32_e32 v37, 0x30003, v20
	v_and_b32_e32 v38, 0xc000c, v20
	v_and_b32_e32 v17, 0x300030, v20
	v_and_b32_e32 v18, 0xc000c0, v20
	v_lshrrev_b32_e32 v12, 8, v20
	;; [unrolled: 5-line block ×4, first 2 shown]
	v_cvt_f32_u32_e32 v22, v7
	v_mad_u32_u24 v16, v7, s5, v15
	v_cvt_f32_u32_e32 v7, v8
	v_cvt_f16_f32_e32 v44, v27
	v_cvt_f16_f32_e32 v43, v0
	;; [unrolled: 1-line block ×4, first 2 shown]
	v_sub_f16_e32 v0, 0xdc00, v44
	v_mul_u32_u24_e32 v32, 0x10001, v0
	v_sub_f16_e32 v0, 0xdc00, v43
	v_mul_u32_u24_e32 v31, 0x10001, v0
	;; [unrolled: 2-line block ×4, first 2 shown]
	v_or_b32_e32 v0, 0x64006400, v35
	v_mad_u32_u24 v1, v1, s5, v15
	v_mad_u32_u24 v15, v8, s5, v15
	v_or_b32_e32 v22, 0x64006400, v37
	v_or_b32_e32 v35, 0x64006400, v38
	;; [unrolled: 1-line block ×3, first 2 shown]
	v_pk_add_f16 v7, v14, v0
	v_mov_b32_e32 v0, s2
	v_or_b32_e32 v8, 0x64006400, v36
	v_or_b32_e32 v36, 0x64006400, v39
	;; [unrolled: 1-line block ×3, first 2 shown]
	v_pk_add_f16 v39, v1, v22
	v_pk_fma_f16 v40, v35, s6, v31 op_sel_hi:[1,0,1]
	v_pk_add_f16 v35, v15, v21
	ds_read2_b32 v[21:22], v0 offset1:1
	v_or_b32_e32 v45, 0x64006400, v45
	v_pk_add_f16 v37, v16, v36
	v_pk_fma_f16 v8, v8, s6, v32 op_sel_hi:[1,0,1]
	v_pk_fma_f16 v38, v38, s6, v30 op_sel_hi:[1,0,1]
	;; [unrolled: 1-line block ×3, first 2 shown]
	s_waitcnt lgkmcnt(0)
	v_pk_fma_f16 v45, v7, v21, 0
	v_pk_fma_f16 v46, v39, v21, 0
	v_pk_fma_f16 v47, v37, v21, 0
	v_pk_fma_f16 v21, v35, v21, 0
	v_pk_fma_f16 v45, v8, v22, v45
	v_pk_fma_f16 v46, v40, v22, v46
	v_pk_fma_f16 v53, v38, v22, v47
	v_pk_fma_f16 v54, v36, v22, v21
	v_sub_f16_e32 v21, 0xd400, v44
	v_sub_f16_e32 v22, 0xcc00, v44
	;; [unrolled: 1-line block ×6, first 2 shown]
	v_mul_u32_u24_e32 v52, 0x10001, v44
	v_mul_u32_u24_e32 v51, 0x10001, v43
	v_or_b32_e32 v17, 0x64006400, v17
	v_or_b32_e32 v18, 0x64006400, v18
	v_sub_f16_e32 v48, 0xd400, v41
	v_sub_f16_e32 v41, 0xcc00, v41
	v_mul_u32_u24_e32 v44, 0x10001, v47
	v_mul_u32_u24_e32 v43, 0x10001, v42
	v_pk_fma_f16 v49, v17, s18, v52 op_sel_hi:[1,0,1]
	v_pk_fma_f16 v50, v18, s19, v51 op_sel_hi:[1,0,1]
	v_or_b32_e32 v17, 0x64006400, v19
	v_or_b32_e32 v18, 0x64006400, v20
	v_mul_u32_u24_e32 v56, 0x10001, v21
	v_mul_u32_u24_e32 v55, 0x10001, v22
	v_mul_u32_u24_e32 v22, 0x10001, v48
	v_mul_u32_u24_e32 v21, 0x10001, v41
	v_pk_fma_f16 v47, v17, s18, v44 op_sel_hi:[1,0,1]
	v_pk_fma_f16 v48, v18, s19, v43 op_sel_hi:[1,0,1]
	v_or_b32_e32 v17, 0x64006400, v33
	v_or_b32_e32 v18, 0x64006400, v34
	v_pk_fma_f16 v41, v17, s18, v22 op_sel_hi:[1,0,1]
	v_pk_fma_f16 v42, v18, s19, v21 op_sel_hi:[1,0,1]
	ds_read2_b32 v[17:18], v0 offset0:2 offset1:3
	v_or_b32_e32 v9, 0x64006400, v9
	v_pk_fma_f16 v9, v9, s18, v56 op_sel_hi:[1,0,1]
	v_or_b32_e32 v10, 0x64006400, v10
	v_pk_fma_f16 v10, v10, s19, v55 op_sel_hi:[1,0,1]
	s_waitcnt lgkmcnt(0)
	v_pk_fma_f16 v19, v9, v17, v45
	v_pk_fma_f16 v20, v49, v17, v46
	v_pk_fma_f16 v33, v47, v17, v53
	v_pk_fma_f16 v17, v41, v17, v54
	v_pk_fma_f16 v34, v42, v18, v17
	v_and_b32_e32 v17, 0x30003, v13
	v_or_b32_e32 v17, 0x64006400, v17
	v_pk_add_f16 v61, v14, v17
	v_and_b32_e32 v14, 0xc000c, v13
	v_or_b32_e32 v14, 0x64006400, v14
	v_pk_fma_f16 v62, v14, s6, v32 op_sel_hi:[1,0,1]
	v_and_b32_e32 v14, 0x30003, v12
	v_or_b32_e32 v14, 0x64006400, v14
	v_pk_add_f16 v58, v1, v14
	v_and_b32_e32 v1, 0xc000c, v12
	v_or_b32_e32 v1, 0x64006400, v1
	v_pk_fma_f16 v60, v1, s6, v31 op_sel_hi:[1,0,1]
	v_and_b32_e32 v1, 0x30003, v11
	v_or_b32_e32 v1, 0x64006400, v1
	v_pk_add_f16 v53, v16, v1
	v_and_b32_e32 v1, 0xc000c, v11
	v_pk_fma_f16 v19, v10, v18, v19
	v_pk_fma_f16 v20, v50, v18, v20
	;; [unrolled: 1-line block ×3, first 2 shown]
	v_or_b32_e32 v1, 0x64006400, v1
	ds_read2_b32 v[17:18], v0 offset0:4 offset1:5
	v_pk_fma_f16 v54, v1, s6, v30 op_sel_hi:[1,0,1]
	v_and_b32_e32 v1, 0x30003, v2
	v_or_b32_e32 v1, 0x64006400, v1
	v_pk_add_f16 v45, v15, v1
	v_and_b32_e32 v1, 0xc000c, v2
	v_or_b32_e32 v1, 0x64006400, v1
	v_pk_fma_f16 v46, v1, s6, v27 op_sel_hi:[1,0,1]
	s_waitcnt lgkmcnt(0)
	v_pk_fma_f16 v1, v61, v17, v19
	v_pk_fma_f16 v14, v62, v18, v1
	;; [unrolled: 1-line block ×8, first 2 shown]
	v_and_b32_e32 v1, 0x300030, v13
	v_and_b32_e32 v13, 0xc000c0, v13
	v_or_b32_e32 v13, 0x64006400, v13
	v_pk_fma_f16 v30, v13, s19, v55 op_sel_hi:[1,0,1]
	v_and_b32_e32 v13, 0x300030, v12
	v_and_b32_e32 v12, 0xc000c0, v12
	v_or_b32_e32 v12, 0x64006400, v12
	v_pk_fma_f16 v27, v12, s19, v51 op_sel_hi:[1,0,1]
	;; [unrolled: 4-line block ×3, first 2 shown]
	v_and_b32_e32 v11, 0x300030, v2
	v_or_b32_e32 v12, 0x64006400, v12
	v_or_b32_e32 v11, 0x64006400, v11
	v_pk_fma_f16 v57, v12, s18, v44 op_sel_hi:[1,0,1]
	v_pk_fma_f16 v43, v11, s18, v22 op_sel_hi:[1,0,1]
	ds_read2_b32 v[11:12], v0 offset0:6 offset1:7
	v_or_b32_e32 v1, 0x64006400, v1
	v_and_b32_e32 v2, 0xc000c0, v2
	v_pk_fma_f16 v1, v1, s18, v56 op_sel_hi:[1,0,1]
	v_or_b32_e32 v13, 0x64006400, v13
	v_or_b32_e32 v2, 0x64006400, v2
	v_pk_fma_f16 v63, v13, s18, v52 op_sel_hi:[1,0,1]
	v_pk_fma_f16 v44, v2, s19, v21 op_sel_hi:[1,0,1]
	s_waitcnt lgkmcnt(0)
	v_pk_fma_f16 v2, v1, v11, v14
	v_pk_fma_f16 v33, v30, v12, v2
	;; [unrolled: 1-line block ×6, first 2 shown]
	buffer_store_dword v2, off, s[28:31], 0 offset:40 ; 4-byte Folded Spill
	v_pk_fma_f16 v2, v43, v11, v17
	v_pk_fma_f16 v2, v44, v12, v2
	ds_read2_b32 v[11:12], v0 offset0:64 offset1:65
	buffer_store_dword v2, off, s[28:31], 0 offset:44 ; 4-byte Folded Spill
	s_waitcnt lgkmcnt(0)
	v_pk_fma_f16 v2, v7, v11, 0
	v_pk_fma_f16 v13, v39, v11, 0
	v_pk_fma_f16 v14, v37, v11, 0
	v_pk_fma_f16 v11, v35, v11, 0
	v_pk_fma_f16 v2, v8, v12, v2
	v_pk_fma_f16 v13, v40, v12, v13
	v_pk_fma_f16 v14, v38, v12, v14
	v_pk_fma_f16 v15, v36, v12, v11
	ds_read2_b32 v[11:12], v0 offset0:66 offset1:67
	s_waitcnt lgkmcnt(0)
	v_pk_fma_f16 v2, v9, v11, v2
	v_pk_fma_f16 v13, v49, v11, v13
	v_pk_fma_f16 v14, v47, v11, v14
	v_pk_fma_f16 v11, v41, v11, v15
	v_pk_fma_f16 v2, v10, v12, v2
	v_pk_fma_f16 v13, v50, v12, v13
	v_pk_fma_f16 v14, v48, v12, v14
	v_pk_fma_f16 v15, v42, v12, v11
	ds_read2_b32 v[11:12], v0 offset0:68 offset1:69
	;; [unrolled: 10-line block ×3, first 2 shown]
	s_waitcnt lgkmcnt(0)
	v_pk_fma_f16 v2, v1, v11, v2
	v_pk_fma_f16 v15, v30, v12, v2
	;; [unrolled: 1-line block ×6, first 2 shown]
	buffer_store_dword v2, off, s[28:31], 0 offset:48 ; 4-byte Folded Spill
	v_pk_fma_f16 v2, v43, v11, v16
	v_pk_fma_f16 v2, v44, v12, v2
	ds_read2_b32 v[11:12], v0 offset0:128 offset1:129
	buffer_store_dword v2, off, s[28:31], 0 offset:52 ; 4-byte Folded Spill
	s_waitcnt lgkmcnt(0)
	v_pk_fma_f16 v2, v7, v11, 0
	v_pk_fma_f16 v13, v39, v11, 0
	v_pk_fma_f16 v14, v37, v11, 0
	v_pk_fma_f16 v11, v35, v11, 0
	v_pk_fma_f16 v2, v8, v12, v2
	v_pk_fma_f16 v13, v40, v12, v13
	v_pk_fma_f16 v14, v38, v12, v14
	v_pk_fma_f16 v16, v36, v12, v11
	ds_read2_b32 v[11:12], v0 offset0:130 offset1:131
	s_waitcnt lgkmcnt(0)
	v_pk_fma_f16 v2, v9, v11, v2
	v_pk_fma_f16 v13, v49, v11, v13
	v_pk_fma_f16 v14, v47, v11, v14
	v_pk_fma_f16 v11, v41, v11, v16
	v_pk_fma_f16 v2, v10, v12, v2
	v_pk_fma_f16 v13, v50, v12, v13
	v_pk_fma_f16 v14, v48, v12, v14
	v_pk_fma_f16 v16, v42, v12, v11
	ds_read2_b32 v[11:12], v0 offset0:132 offset1:133
	s_waitcnt lgkmcnt(0)
	v_pk_fma_f16 v2, v61, v11, v2
	v_pk_fma_f16 v13, v58, v11, v13
	v_pk_fma_f16 v14, v53, v11, v14
	v_pk_fma_f16 v11, v45, v11, v16
	v_pk_fma_f16 v2, v62, v12, v2
	v_pk_fma_f16 v13, v60, v12, v13
	v_pk_fma_f16 v14, v54, v12, v14
	v_pk_fma_f16 v17, v46, v12, v11
	ds_read2_b32 v[11:12], v0 offset0:134 offset1:135
	s_waitcnt lgkmcnt(0)
	v_pk_fma_f16 v2, v1, v11, v2
	v_pk_fma_f16 v56, v30, v12, v2
	v_pk_fma_f16 v2, v63, v11, v13
	v_pk_fma_f16 v16, v27, v12, v2
	v_pk_fma_f16 v2, v57, v11, v14
	v_pk_fma_f16 v31, v59, v12, v2
	v_pk_fma_f16 v2, v43, v11, v17
	v_pk_fma_f16 v32, v44, v12, v2
	ds_read2_b32 v[11:12], v0 offset0:192 offset1:193
	s_waitcnt lgkmcnt(0)
	v_pk_fma_f16 v2, v7, v11, 0
	v_pk_fma_f16 v13, v39, v11, 0
	v_pk_fma_f16 v14, v37, v11, 0
	v_pk_fma_f16 v11, v35, v11, 0
	v_pk_fma_f16 v2, v8, v12, v2
	v_pk_fma_f16 v13, v40, v12, v13
	v_pk_fma_f16 v14, v38, v12, v14
	v_pk_fma_f16 v17, v36, v12, v11
	ds_read2_b32 v[11:12], v0 offset0:194 offset1:195
	s_waitcnt lgkmcnt(0)
	v_pk_fma_f16 v2, v9, v11, v2
	v_pk_fma_f16 v13, v49, v11, v13
	v_pk_fma_f16 v14, v47, v11, v14
	v_pk_fma_f16 v11, v41, v11, v17
	v_pk_fma_f16 v2, v10, v12, v2
	v_pk_fma_f16 v13, v50, v12, v13
	v_pk_fma_f16 v14, v48, v12, v14
	v_pk_fma_f16 v17, v42, v12, v11
	ds_read2_b32 v[11:12], v0 offset0:196 offset1:197
	s_waitcnt lgkmcnt(0)
	v_pk_fma_f16 v2, v61, v11, v2
	v_pk_fma_f16 v13, v58, v11, v13
	v_pk_fma_f16 v14, v53, v11, v14
	v_pk_fma_f16 v11, v45, v11, v17
	v_pk_fma_f16 v2, v62, v12, v2
	v_pk_fma_f16 v13, v60, v12, v13
	v_pk_fma_f16 v14, v54, v12, v14
	v_pk_fma_f16 v17, v46, v12, v11
	ds_read2_b32 v[11:12], v0 offset0:198 offset1:199
	s_waitcnt lgkmcnt(0)
	v_pk_fma_f16 v0, v1, v11, v2
	v_pk_fma_f16 v19, v30, v12, v0
	;; [unrolled: 1-line block ×6, first 2 shown]
	v_mov_b32_e32 v11, s8
	v_pk_fma_f16 v0, v59, v12, v0
	v_pk_fma_f16 v2, v44, v12, v2
	ds_read2_b32 v[11:12], v11 offset1:1
	s_add_i32 s8, s2, 0x408
	s_waitcnt lgkmcnt(0)
	v_pk_fma_f16 v13, v7, v11, 0
	v_pk_fma_f16 v14, v39, v11, 0
	v_pk_fma_f16 v17, v37, v11, 0
	v_pk_fma_f16 v11, v35, v11, 0
	v_pk_fma_f16 v18, v36, v12, v11
	v_mov_b32_e32 v11, s8
	v_pk_fma_f16 v13, v8, v12, v13
	v_pk_fma_f16 v14, v40, v12, v14
	v_pk_fma_f16 v17, v38, v12, v17
	ds_read2_b32 v[11:12], v11 offset1:1
	s_add_i32 s8, s2, 0x410
	s_waitcnt lgkmcnt(0)
	v_pk_fma_f16 v13, v9, v11, v13
	v_pk_fma_f16 v14, v49, v11, v14
	v_pk_fma_f16 v17, v47, v11, v17
	v_pk_fma_f16 v11, v41, v11, v18
	v_pk_fma_f16 v18, v42, v12, v11
	v_mov_b32_e32 v11, s8
	v_pk_fma_f16 v13, v10, v12, v13
	;; [unrolled: 12-line block ×3, first 2 shown]
	v_pk_fma_f16 v14, v60, v12, v14
	v_pk_fma_f16 v17, v54, v12, v17
	ds_read2_b32 v[11:12], v11 offset1:1
	s_add_i32 s8, s2, 0x500
	s_waitcnt lgkmcnt(0)
	v_pk_fma_f16 v13, v1, v11, v13
	v_pk_fma_f16 v21, v30, v12, v13
	;; [unrolled: 1-line block ×7, first 2 shown]
	v_mov_b32_e32 v11, s8
	v_pk_fma_f16 v52, v59, v12, v13
	ds_read2_b32 v[11:12], v11 offset1:1
	s_add_i32 s8, s2, 0x508
	s_waitcnt lgkmcnt(0)
	v_pk_fma_f16 v13, v7, v11, 0
	v_pk_fma_f16 v14, v39, v11, 0
	v_pk_fma_f16 v17, v37, v11, 0
	v_pk_fma_f16 v11, v35, v11, 0
	v_pk_fma_f16 v18, v36, v12, v11
	v_mov_b32_e32 v11, s8
	v_pk_fma_f16 v13, v8, v12, v13
	v_pk_fma_f16 v14, v40, v12, v14
	v_pk_fma_f16 v17, v38, v12, v17
	ds_read2_b32 v[11:12], v11 offset1:1
	s_add_i32 s8, s2, 0x510
	s_waitcnt lgkmcnt(0)
	v_pk_fma_f16 v13, v9, v11, v13
	v_pk_fma_f16 v14, v49, v11, v14
	v_pk_fma_f16 v17, v47, v11, v17
	v_pk_fma_f16 v11, v41, v11, v18
	v_pk_fma_f16 v18, v42, v12, v11
	v_mov_b32_e32 v11, s8
	v_pk_fma_f16 v13, v10, v12, v13
	v_pk_fma_f16 v14, v50, v12, v14
	;; [unrolled: 12-line block ×3, first 2 shown]
	v_pk_fma_f16 v17, v54, v12, v17
	ds_read2_b32 v[11:12], v11 offset1:1
	s_add_i32 s8, s2, 0x600
	s_waitcnt lgkmcnt(0)
	v_pk_fma_f16 v13, v1, v11, v13
	v_pk_fma_f16 v23, v30, v12, v13
	;; [unrolled: 1-line block ×7, first 2 shown]
	v_mov_b32_e32 v11, s8
	v_pk_fma_f16 v17, v59, v12, v13
	ds_read2_b32 v[13:14], v11 offset1:1
	s_add_i32 s8, s2, 0x608
	s_waitcnt lgkmcnt(0)
	v_pk_fma_f16 v7, v7, v13, 0
	v_pk_fma_f16 v7, v8, v14, v7
	v_mov_b32_e32 v8, s8
	ds_read2_b32 v[11:12], v8 offset1:1
	s_add_i32 s8, s2, 0x610
	v_mov_b32_e32 v8, s8
	s_add_i32 s8, s2, 0x618
	s_add_i32 s2, s2, 32
	s_waitcnt lgkmcnt(0)
	v_pk_fma_f16 v7, v9, v11, v7
	v_pk_fma_f16 v7, v10, v12, v7
	ds_read2_b32 v[9:10], v8 offset1:1
	s_cmp_ge_i32 s24, s25
	s_waitcnt lgkmcnt(0)
	v_pk_fma_f16 v7, v61, v9, v7
	v_pk_fma_f16 v61, v62, v10, v7
	v_mov_b32_e32 v7, s8
	ds_read2_b32 v[7:8], v7 offset1:1
	s_waitcnt lgkmcnt(0)
	v_pk_fma_f16 v1, v1, v7, v61
	v_pk_fma_f16 v1, v30, v8, v1
	;; [unrolled: 1-line block ×10, first 2 shown]
	v_pack_b32_f16 v30, v33, v34
	v_perm_b32 v33, v34, v33, s20
	v_pk_add_f16 v30, v30, v33
	v_pk_fma_f16 v29, v30, v3, v29
	v_pack_b32_f16 v30, v15, v51
	v_perm_b32 v15, v51, v15, s20
	v_pk_add_f16 v15, v30, v15
	buffer_load_dword v30, off, s[28:31], 0 offset:36 ; 4-byte Folded Reload
	v_pk_fma_f16 v26, v15, v3, v26
	v_pack_b32_f16 v15, v56, v16
	v_perm_b32 v16, v16, v56, s20
	v_pk_add_f16 v15, v15, v16
	v_perm_b32 v16, v20, v19, s20
	s_waitcnt vmcnt(0)
	v_pk_fma_f16 v30, v15, v3, v30
	v_pack_b32_f16 v15, v19, v20
	buffer_load_dword v20, off, s[28:31], 0 offset:28 ; 4-byte Folded Reload
	buffer_load_dword v19, off, s[28:31], 0 offset:20 ; 4-byte Folded Reload
	v_pk_add_f16 v15, v15, v16
	v_perm_b32 v16, v22, v21, s20
	s_waitcnt vmcnt(1)
	v_pk_fma_f16 v20, v15, v3, v20
	v_pack_b32_f16 v15, v21, v22
	v_pk_add_f16 v15, v15, v16
	s_waitcnt vmcnt(0)
	v_pk_fma_f16 v19, v15, v3, v19
	v_pack_b32_f16 v15, v23, v24
	v_perm_b32 v16, v24, v23, s20
	v_pk_add_f16 v15, v15, v16
	buffer_load_dword v16, off, s[28:31], 0 offset:12 ; 4-byte Folded Reload
	s_waitcnt vmcnt(0)
	v_pk_fma_f16 v16, v15, v3, v16
	v_pack_b32_f16 v15, v1, v27
	v_perm_b32 v1, v27, v1, s20
	v_pk_add_f16 v1, v15, v1
	buffer_load_dword v15, off, s[28:31], 0 offset:4 ; 4-byte Folded Reload
	s_waitcnt vmcnt(0)
	v_pk_fma_f16 v15, v1, v3, v15
	v_pk_fma_f16 v1, v37, v13, 0
	;; [unrolled: 1-line block ×15, first 2 shown]
	buffer_load_dword v9, off, s[28:31], 0 offset:40 ; 4-byte Folded Reload
	buffer_load_dword v10, off, s[28:31], 0 offset:44 ; 4-byte Folded Reload
	v_pk_fma_f16 v1, v59, v8, v1
	v_pk_fma_f16 v7, v44, v8, v7
	s_waitcnt vmcnt(0)
	v_pack_b32_f16 v8, v9, v10
	v_perm_b32 v9, v10, v9, s20
	v_pk_add_f16 v8, v8, v9
	buffer_load_dword v9, off, s[28:31], 0 offset:48 ; 4-byte Folded Reload
	buffer_load_dword v10, off, s[28:31], 0 offset:52 ; 4-byte Folded Reload
	;; [unrolled: 1-line block ×4, first 2 shown]
	v_pk_fma_f16 v28, v8, v4, v28
	s_waitcnt vmcnt(2)
	v_pack_b32_f16 v8, v9, v10
	v_perm_b32 v9, v10, v9, s20
	v_pk_add_f16 v8, v8, v9
	buffer_load_dword v10, off, s[28:31], 0 offset:16 ; 4-byte Folded Reload
	v_pk_fma_f16 v25, v8, v4, v25
	v_pack_b32_f16 v8, v31, v32
	v_perm_b32 v9, v32, v31, s20
	v_pk_add_f16 v8, v8, v9
	buffer_load_dword v9, off, s[28:31], 0 offset:8 ; 4-byte Folded Reload
	s_waitcnt vmcnt(3)
	v_pk_fma_f16 v12, v8, v4, v12
	v_pack_b32_f16 v8, v0, v2
	v_perm_b32 v0, v2, v0, s20
	v_pk_add_f16 v0, v8, v0
	buffer_load_dword v8, off, s[28:31], 0  ; 4-byte Folded Reload
	s_waitcnt vmcnt(3)
	v_pk_fma_f16 v11, v0, v4, v11
	v_pack_b32_f16 v0, v52, v55
	v_perm_b32 v2, v55, v52, s20
	v_pk_add_f16 v0, v0, v2
	v_perm_b32 v2, v18, v17, s20
	s_waitcnt vmcnt(2)
	v_pk_fma_f16 v10, v0, v4, v10
	v_pack_b32_f16 v0, v17, v18
	v_pk_add_f16 v0, v0, v2
	s_waitcnt vmcnt(1)
	v_pk_fma_f16 v9, v0, v4, v9
	v_pack_b32_f16 v0, v1, v7
	v_perm_b32 v1, v7, v1, s20
	v_pk_add_f16 v0, v0, v1
	s_waitcnt vmcnt(0)
	v_pk_fma_f16 v8, v0, v4, v8
	v_mov_b32_e32 v0, s1
	v_addc_co_u32_e32 v6, vcc, v6, v0, vcc
	s_cbranch_scc1 .LBB39_23
.LBB39_21:                              ; =>This Inner Loop Header: Depth=1
	s_cmp_lg_u32 s24, s21
	buffer_store_dword v8, off, s[28:31], 0 ; 4-byte Folded Spill
	buffer_store_dword v15, off, s[28:31], 0 offset:4 ; 4-byte Folded Spill
	buffer_store_dword v9, off, s[28:31], 0 offset:8 ; 4-byte Folded Spill
	;; [unrolled: 1-line block ×9, first 2 shown]
	s_cbranch_scc0 .LBB39_19
; %bb.22:                               ;   in Loop: Header=BB39_21 Depth=1
	buffer_load_dword v1, off, s[28:31], 0 offset:56 ; 4-byte Folded Reload
	buffer_load_dword v8, off, s[28:31], 0 offset:60 ; 4-byte Folded Reload
	;; [unrolled: 1-line block ×4, first 2 shown]
	s_branch .LBB39_20
.LBB39_23:
	buffer_load_dword v0, off, s[28:31], 0 offset:76 ; 4-byte Folded Reload
	buffer_load_dword v1, off, s[28:31], 0 offset:80 ; 4-byte Folded Reload
	s_mul_i32 s7, s7, s16
	v_mov_b32_e32 v3, s15
	s_mov_b64 s[0:1], 0
	s_waitcnt vmcnt(1)
	v_add_u32_e32 v0, s7, v0
	s_waitcnt vmcnt(0)
	v_ashrrev_i32_e32 v1, 31, v0
	v_lshlrev_b64 v[1:2], 1, v[0:1]
	v_add_co_u32_e32 v1, vcc, s14, v1
	v_addc_co_u32_e32 v2, vcc, v3, v2, vcc
	global_load_dword v4, v[1:2], off
.LBB39_24:                              ; =>This Inner Loop Header: Depth=1
	s_waitcnt vmcnt(0)
	v_pk_add_f16 v3, v29, v4
	global_atomic_cmpswap v3, v[1:2], v[3:4], off glc
	s_waitcnt vmcnt(0)
	v_cmp_eq_u32_e32 vcc, v4, v3
	s_or_b64 s[0:1], vcc, s[0:1]
	v_mov_b32_e32 v4, v3
	s_andn2_b64 exec, exec, s[0:1]
	s_cbranch_execnz .LBB39_24
; %bb.25:
	s_or_b64 exec, exec, s[0:1]
	global_load_dword v4, v[1:2], off offset:4
	s_mov_b64 s[0:1], 0
.LBB39_26:                              ; =>This Inner Loop Header: Depth=1
	s_waitcnt vmcnt(0)
	v_pk_add_f16 v3, v28, v4
	global_atomic_cmpswap v3, v[1:2], v[3:4], off offset:4 glc
	s_waitcnt vmcnt(0)
	v_cmp_eq_u32_e32 vcc, v4, v3
	s_or_b64 s[0:1], vcc, s[0:1]
	v_mov_b32_e32 v4, v3
	s_andn2_b64 exec, exec, s[0:1]
	s_cbranch_execnz .LBB39_26
; %bb.27:
	s_or_b64 exec, exec, s[0:1]
	v_add_u32_e32 v0, s16, v0
	v_ashrrev_i32_e32 v1, 31, v0
	v_lshlrev_b64 v[1:2], 1, v[0:1]
	v_mov_b32_e32 v3, s15
	v_add_co_u32_e32 v1, vcc, s14, v1
	v_addc_co_u32_e32 v2, vcc, v3, v2, vcc
	global_load_dword v4, v[1:2], off
	s_mov_b64 s[0:1], 0
.LBB39_28:                              ; =>This Inner Loop Header: Depth=1
	s_waitcnt vmcnt(0)
	v_pk_add_f16 v3, v26, v4
	global_atomic_cmpswap v3, v[1:2], v[3:4], off glc
	s_waitcnt vmcnt(0)
	v_cmp_eq_u32_e32 vcc, v4, v3
	s_or_b64 s[0:1], vcc, s[0:1]
	v_mov_b32_e32 v4, v3
	s_andn2_b64 exec, exec, s[0:1]
	s_cbranch_execnz .LBB39_28
; %bb.29:
	s_or_b64 exec, exec, s[0:1]
	global_load_dword v4, v[1:2], off offset:4
	s_mov_b64 s[0:1], 0
.LBB39_30:                              ; =>This Inner Loop Header: Depth=1
	s_waitcnt vmcnt(0)
	v_pk_add_f16 v3, v25, v4
	global_atomic_cmpswap v3, v[1:2], v[3:4], off offset:4 glc
	s_waitcnt vmcnt(0)
	v_cmp_eq_u32_e32 vcc, v4, v3
	s_or_b64 s[0:1], vcc, s[0:1]
	v_mov_b32_e32 v4, v3
	s_andn2_b64 exec, exec, s[0:1]
	s_cbranch_execnz .LBB39_30
; %bb.31:
	s_or_b64 exec, exec, s[0:1]
	v_add_u32_e32 v0, s16, v0
	v_ashrrev_i32_e32 v1, 31, v0
	v_lshlrev_b64 v[1:2], 1, v[0:1]
	v_mov_b32_e32 v3, s15
	v_add_co_u32_e32 v1, vcc, s14, v1
	v_addc_co_u32_e32 v2, vcc, v3, v2, vcc
	global_load_dword v4, v[1:2], off
	s_mov_b64 s[0:1], 0
	;; [unrolled: 34-line block ×6, first 2 shown]
.LBB39_48:                              ; =>This Inner Loop Header: Depth=1
	s_waitcnt vmcnt(0)
	v_pk_add_f16 v2, v15, v3
	global_atomic_cmpswap v2, v[0:1], v[2:3], off glc
	s_waitcnt vmcnt(0)
	v_cmp_eq_u32_e32 vcc, v3, v2
	s_or_b64 s[0:1], vcc, s[0:1]
	v_mov_b32_e32 v3, v2
	s_andn2_b64 exec, exec, s[0:1]
	s_cbranch_execnz .LBB39_48
; %bb.49:
	s_or_b64 exec, exec, s[0:1]
	global_load_dword v3, v[0:1], off offset:4
	s_mov_b64 s[0:1], 0
.LBB39_50:                              ; =>This Inner Loop Header: Depth=1
	s_waitcnt vmcnt(0)
	v_pk_add_f16 v2, v8, v3
	global_atomic_cmpswap v2, v[0:1], v[2:3], off offset:4 glc
	s_waitcnt vmcnt(0)
	v_cmp_eq_u32_e32 vcc, v3, v2
	s_or_b64 s[0:1], vcc, s[0:1]
	v_mov_b32_e32 v3, v2
	s_andn2_b64 exec, exec, s[0:1]
	s_cbranch_execnz .LBB39_50
.LBB39_51:
	s_endpgm
	.section	.rodata,"a",@progbits
	.p2align	6, 0x0
	.amdhsa_kernel _ZN4vllm4gptq33gemm_half_q_half_gptq_2bit_kernelILb1ELi7EEEvPK6__halfPKjS6_S4_PS2_iiiibPKi
		.amdhsa_group_segment_fixed_size 1792
		.amdhsa_private_segment_fixed_size 96
		.amdhsa_kernarg_size 72
		.amdhsa_user_sgpr_count 6
		.amdhsa_user_sgpr_private_segment_buffer 1
		.amdhsa_user_sgpr_dispatch_ptr 0
		.amdhsa_user_sgpr_queue_ptr 0
		.amdhsa_user_sgpr_kernarg_segment_ptr 1
		.amdhsa_user_sgpr_dispatch_id 0
		.amdhsa_user_sgpr_flat_scratch_init 0
		.amdhsa_user_sgpr_private_segment_size 0
		.amdhsa_uses_dynamic_stack 0
		.amdhsa_system_sgpr_private_segment_wavefront_offset 1
		.amdhsa_system_sgpr_workgroup_id_x 1
		.amdhsa_system_sgpr_workgroup_id_y 1
		.amdhsa_system_sgpr_workgroup_id_z 1
		.amdhsa_system_sgpr_workgroup_info 0
		.amdhsa_system_vgpr_workitem_id 0
		.amdhsa_next_free_vgpr 64
		.amdhsa_next_free_sgpr 61
		.amdhsa_reserve_vcc 1
		.amdhsa_reserve_flat_scratch 0
		.amdhsa_float_round_mode_32 0
		.amdhsa_float_round_mode_16_64 0
		.amdhsa_float_denorm_mode_32 3
		.amdhsa_float_denorm_mode_16_64 3
		.amdhsa_dx10_clamp 1
		.amdhsa_ieee_mode 1
		.amdhsa_fp16_overflow 0
		.amdhsa_exception_fp_ieee_invalid_op 0
		.amdhsa_exception_fp_denorm_src 0
		.amdhsa_exception_fp_ieee_div_zero 0
		.amdhsa_exception_fp_ieee_overflow 0
		.amdhsa_exception_fp_ieee_underflow 0
		.amdhsa_exception_fp_ieee_inexact 0
		.amdhsa_exception_int_div_zero 0
	.end_amdhsa_kernel
	.section	.text._ZN4vllm4gptq33gemm_half_q_half_gptq_2bit_kernelILb1ELi7EEEvPK6__halfPKjS6_S4_PS2_iiiibPKi,"axG",@progbits,_ZN4vllm4gptq33gemm_half_q_half_gptq_2bit_kernelILb1ELi7EEEvPK6__halfPKjS6_S4_PS2_iiiibPKi,comdat
.Lfunc_end39:
	.size	_ZN4vllm4gptq33gemm_half_q_half_gptq_2bit_kernelILb1ELi7EEEvPK6__halfPKjS6_S4_PS2_iiiibPKi, .Lfunc_end39-_ZN4vllm4gptq33gemm_half_q_half_gptq_2bit_kernelILb1ELi7EEEvPK6__halfPKjS6_S4_PS2_iiiibPKi
                                        ; -- End function
	.set _ZN4vllm4gptq33gemm_half_q_half_gptq_2bit_kernelILb1ELi7EEEvPK6__halfPKjS6_S4_PS2_iiiibPKi.num_vgpr, 64
	.set _ZN4vllm4gptq33gemm_half_q_half_gptq_2bit_kernelILb1ELi7EEEvPK6__halfPKjS6_S4_PS2_iiiibPKi.num_agpr, 0
	.set _ZN4vllm4gptq33gemm_half_q_half_gptq_2bit_kernelILb1ELi7EEEvPK6__halfPKjS6_S4_PS2_iiiibPKi.numbered_sgpr, 32
	.set _ZN4vllm4gptq33gemm_half_q_half_gptq_2bit_kernelILb1ELi7EEEvPK6__halfPKjS6_S4_PS2_iiiibPKi.num_named_barrier, 0
	.set _ZN4vllm4gptq33gemm_half_q_half_gptq_2bit_kernelILb1ELi7EEEvPK6__halfPKjS6_S4_PS2_iiiibPKi.private_seg_size, 96
	.set _ZN4vllm4gptq33gemm_half_q_half_gptq_2bit_kernelILb1ELi7EEEvPK6__halfPKjS6_S4_PS2_iiiibPKi.uses_vcc, 1
	.set _ZN4vllm4gptq33gemm_half_q_half_gptq_2bit_kernelILb1ELi7EEEvPK6__halfPKjS6_S4_PS2_iiiibPKi.uses_flat_scratch, 0
	.set _ZN4vllm4gptq33gemm_half_q_half_gptq_2bit_kernelILb1ELi7EEEvPK6__halfPKjS6_S4_PS2_iiiibPKi.has_dyn_sized_stack, 0
	.set _ZN4vllm4gptq33gemm_half_q_half_gptq_2bit_kernelILb1ELi7EEEvPK6__halfPKjS6_S4_PS2_iiiibPKi.has_recursion, 0
	.set _ZN4vllm4gptq33gemm_half_q_half_gptq_2bit_kernelILb1ELi7EEEvPK6__halfPKjS6_S4_PS2_iiiibPKi.has_indirect_call, 0
	.section	.AMDGPU.csdata,"",@progbits
; Kernel info:
; codeLenInByte = 7012
; TotalNumSgprs: 36
; NumVgprs: 64
; ScratchSize: 96
; MemoryBound: 0
; FloatMode: 240
; IeeeMode: 1
; LDSByteSize: 1792 bytes/workgroup (compile time only)
; SGPRBlocks: 8
; VGPRBlocks: 15
; NumSGPRsForWavesPerEU: 65
; NumVGPRsForWavesPerEU: 64
; Occupancy: 4
; WaveLimiterHint : 0
; COMPUTE_PGM_RSRC2:SCRATCH_EN: 1
; COMPUTE_PGM_RSRC2:USER_SGPR: 6
; COMPUTE_PGM_RSRC2:TRAP_HANDLER: 0
; COMPUTE_PGM_RSRC2:TGID_X_EN: 1
; COMPUTE_PGM_RSRC2:TGID_Y_EN: 1
; COMPUTE_PGM_RSRC2:TGID_Z_EN: 1
; COMPUTE_PGM_RSRC2:TIDIG_COMP_CNT: 0
	.section	.text._ZN4vllm4gptq33gemm_half_q_half_gptq_3bit_kernelILb1ELi7EEEvPK6__halfPKjS6_S4_PS2_iiiibPKi,"axG",@progbits,_ZN4vllm4gptq33gemm_half_q_half_gptq_3bit_kernelILb1ELi7EEEvPK6__halfPKjS6_S4_PS2_iiiibPKi,comdat
	.protected	_ZN4vllm4gptq33gemm_half_q_half_gptq_3bit_kernelILb1ELi7EEEvPK6__halfPKjS6_S4_PS2_iiiibPKi ; -- Begin function _ZN4vllm4gptq33gemm_half_q_half_gptq_3bit_kernelILb1ELi7EEEvPK6__halfPKjS6_S4_PS2_iiiibPKi
	.globl	_ZN4vllm4gptq33gemm_half_q_half_gptq_3bit_kernelILb1ELi7EEEvPK6__halfPKjS6_S4_PS2_iiiibPKi
	.p2align	8
	.type	_ZN4vllm4gptq33gemm_half_q_half_gptq_3bit_kernelILb1ELi7EEEvPK6__halfPKjS6_S4_PS2_iiiibPKi,@function
_ZN4vllm4gptq33gemm_half_q_half_gptq_3bit_kernelILb1ELi7EEEvPK6__halfPKjS6_S4_PS2_iiiibPKi: ; @_ZN4vllm4gptq33gemm_half_q_half_gptq_3bit_kernelILb1ELi7EEEvPK6__halfPKjS6_S4_PS2_iiiibPKi
; %bb.0:
	s_mov_b64 s[42:43], s[2:3]
	s_load_dwordx4 s[16:19], s[4:5], 0x2c
	s_mov_b64 s[40:41], s[0:1]
	s_add_u32 s40, s40, s9
	s_addc_u32 s41, s41, 0
	s_lshl_b32 s25, s8, 7
	s_add_i32 s0, s25, 0x80
	v_cvt_f64_u32_e32 v[1:2], s0
	s_waitcnt lgkmcnt(0)
	v_cvt_f64_i32_e32 v[3:4], s17
	s_load_dwordx8 s[8:15], s[4:5], 0x8
	s_mul_i32 s24, s7, 7
	v_min_f64 v[1:2], v[1:2], v[3:4]
	v_cvt_i32_f64_e32 v2, v[1:2]
	v_add_u32_e32 v1, s25, v0
	v_readfirstlane_b32 s26, v2
	v_cmp_lt_u32_e32 vcc, v1, v2
	s_and_saveexec_b64 s[2:3], vcc
	s_cbranch_execz .LBB40_16
; %bb.1:
	s_load_dwordx2 s[0:1], s[4:5], 0x40
	s_load_dwordx2 s[20:21], s[4:5], 0x0
	v_mov_b32_e32 v2, 0
	v_lshlrev_b64 v[3:4], 2, v[1:2]
	s_waitcnt lgkmcnt(0)
	v_mov_b32_e32 v5, s1
	v_add_co_u32_e32 v3, vcc, s0, v3
	s_cmp_lg_u64 s[0:1], 0
	v_addc_co_u32_e32 v4, vcc, v5, v4, vcc
	v_mov_b32_e32 v6, v2
	s_cselect_b64 s[4:5], -1, 0
	s_cmp_eq_u64 s[0:1], 0
	v_mov_b32_e32 v5, v1
	s_cbranch_scc1 .LBB40_3
; %bb.2:
	global_load_dword v5, v[3:4], off
	s_waitcnt vmcnt(0)
	v_ashrrev_i32_e32 v6, 31, v5
.LBB40_3:
	s_mul_i32 s22, s24, s17
	s_ashr_i32 s23, s22, 31
	s_lshl_b64 s[0:1], s[22:23], 1
	s_add_u32 s0, s20, s0
	v_lshlrev_b64 v[5:6], 1, v[5:6]
	s_addc_u32 s1, s21, s1
	v_mov_b32_e32 v7, s1
	v_add_co_u32_e32 v5, vcc, s0, v5
	v_addc_co_u32_e32 v6, vcc, v7, v6, vcc
	global_load_ushort v5, v[5:6], off
	v_lshlrev_b32_e32 v7, 1, v0
	v_cndmask_b32_e64 v6, 0, 1, s[4:5]
	v_cmp_ne_u32_e64 s[0:1], 1, v6
	s_andn2_b64 vcc, exec, s[4:5]
	s_waitcnt vmcnt(0)
	ds_write_b16 v7, v5
	v_mov_b32_e32 v6, v2
	v_mov_b32_e32 v5, v1
	s_cbranch_vccnz .LBB40_5
; %bb.4:
	global_load_dword v5, v[3:4], off
	s_waitcnt vmcnt(0)
	v_ashrrev_i32_e32 v6, 31, v5
.LBB40_5:
	s_add_i32 s4, s22, s17
	s_ashr_i32 s5, s4, 31
	s_lshl_b64 s[22:23], s[4:5], 1
	s_add_u32 s5, s20, s22
	v_lshlrev_b64 v[5:6], 1, v[5:6]
	s_addc_u32 s7, s21, s23
	v_mov_b32_e32 v8, s7
	v_add_co_u32_e32 v5, vcc, s5, v5
	v_addc_co_u32_e32 v6, vcc, v8, v6, vcc
	global_load_ushort v5, v[5:6], off
	s_and_b64 vcc, exec, s[0:1]
	s_waitcnt vmcnt(0)
	ds_write_b16 v7, v5 offset:256
	v_mov_b32_e32 v6, v2
	v_mov_b32_e32 v5, v1
	s_cbranch_vccnz .LBB40_7
; %bb.6:
	global_load_dword v5, v[3:4], off
	s_waitcnt vmcnt(0)
	v_ashrrev_i32_e32 v6, 31, v5
.LBB40_7:
	s_add_i32 s4, s4, s17
	s_ashr_i32 s5, s4, 31
	s_lshl_b64 s[22:23], s[4:5], 1
	s_add_u32 s5, s20, s22
	v_lshlrev_b64 v[5:6], 1, v[5:6]
	s_addc_u32 s7, s21, s23
	v_mov_b32_e32 v8, s7
	v_add_co_u32_e32 v5, vcc, s5, v5
	v_addc_co_u32_e32 v6, vcc, v8, v6, vcc
	global_load_ushort v5, v[5:6], off
	s_and_b64 vcc, exec, s[0:1]
	s_waitcnt vmcnt(0)
	ds_write_b16 v7, v5 offset:512
	;; [unrolled: 21-line block ×5, first 2 shown]
	s_cbranch_vccnz .LBB40_15
; %bb.14:
	global_load_dword v1, v[3:4], off
	s_waitcnt vmcnt(0)
	v_ashrrev_i32_e32 v2, 31, v1
.LBB40_15:
	s_add_i32 s0, s4, s17
	s_ashr_i32 s1, s0, 31
	s_lshl_b64 s[0:1], s[0:1], 1
	s_add_u32 s0, s20, s0
	v_lshlrev_b64 v[1:2], 1, v[1:2]
	s_addc_u32 s1, s21, s1
	v_mov_b32_e32 v3, s1
	v_add_co_u32_e32 v1, vcc, s0, v1
	v_addc_co_u32_e32 v2, vcc, v3, v2, vcc
	global_load_ushort v1, v[1:2], off
	s_waitcnt vmcnt(0)
	ds_write_b16 v7, v1 offset:1536
.LBB40_16:
	s_or_b64 exec, exec, s[2:3]
	v_lshlrev_b32_e32 v0, 2, v0
	v_lshl_add_u32 v2, s6, 9, v0
	v_mov_b32_e32 v1, v2
	buffer_store_dword v1, off, s[40:43], 0 offset:240 ; 4-byte Folded Spill
	s_nop 0
	buffer_store_dword v2, off, s[40:43], 0 offset:244 ; 4-byte Folded Spill
	v_cmp_gt_i32_e32 vcc, s16, v2
	s_and_saveexec_b64 s[0:1], vcc
	s_cbranch_execz .LBB40_82
; %bb.17:
	s_abs_i32 s0, s18
	v_cvt_f32_u32_e32 v1, s0
	s_sub_i32 s3, 0, s0
	s_abs_i32 s2, s17
	s_xor_b32 s1, s17, s18
	v_rcp_iflag_f32_e32 v1, v1
	s_ashr_i32 s1, s1, 31
	v_and_b32_e32 v0, 28, v0
	v_cmp_lt_u32_e32 vcc, 4, v0
	v_mul_f32_e32 v1, 0x4f7ffffe, v1
	v_cvt_u32_f32_e32 v1, v1
	s_waitcnt vmcnt(0) lgkmcnt(0)
	s_barrier
	v_readfirstlane_b32 s4, v1
	s_mul_i32 s3, s3, s4
	s_mul_hi_u32 s3, s4, s3
	s_add_i32 s4, s4, s3
	s_mul_hi_u32 s3, s2, s4
	s_mul_i32 s4, s3, s0
	s_sub_i32 s2, s2, s4
	s_add_i32 s5, s3, 1
	s_sub_i32 s4, s2, s0
	s_cmp_ge_u32 s2, s0
	s_cselect_b32 s3, s5, s3
	s_cselect_b32 s2, s4, s2
	s_add_i32 s4, s3, 1
	s_cmp_ge_u32 s2, s0
	s_cselect_b32 s0, s4, s3
	s_xor_b32 s0, s0, s1
	s_sub_i32 s27, s0, s1
	v_cvt_f32_u32_e32 v1, s27
	s_sub_i32 s0, 0, s27
                                        ; implicit-def: $vgpr3
	v_rcp_iflag_f32_e32 v1, v1
	v_mul_f32_e32 v1, 0x4f7ffffe, v1
	v_cvt_u32_f32_e32 v1, v1
	v_readfirstlane_b32 s1, v1
	s_mul_i32 s0, s0, s1
	s_mul_hi_u32 s0, s1, s0
	s_add_i32 s1, s1, s0
	s_mul_hi_u32 s0, s25, s1
	s_mul_i32 s1, s0, s27
	s_sub_i32 s1, s25, s1
	s_add_i32 s2, s0, 1
	s_sub_i32 s3, s1, s27
	s_cmp_ge_u32 s1, s27
	s_cselect_b32 s0, s2, s0
	s_cselect_b32 s1, s3, s1
	s_add_i32 s2, s0, 1
	s_cmp_ge_u32 s1, s27
	s_cselect_b32 s28, s2, s0
                                        ; implicit-def: $vgpr1
	s_and_saveexec_b64 s[0:1], vcc
	s_xor_b64 s[2:3], exec, s[0:1]
	s_cbranch_execz .LBB40_31
; %bb.18:
	v_cmp_ne_u32_e64 s[0:1], 8, v0
                                        ; implicit-def: $vgpr3
                                        ; implicit-def: $vgpr1
	s_and_saveexec_b64 s[4:5], s[0:1]
	s_xor_b64 s[4:5], exec, s[4:5]
	s_cbranch_execz .LBB40_28
; %bb.19:
	v_cmp_lt_u32_e64 s[0:1], 16, v0
                                        ; implicit-def: $vgpr3
                                        ; implicit-def: $vgpr1
	s_and_saveexec_b64 s[6:7], s[0:1]
	s_xor_b64 s[6:7], exec, s[6:7]
	s_cbranch_execz .LBB40_25
; %bb.20:
	buffer_load_dword v1, off, s[40:43], 0 offset:240 ; 4-byte Folded Reload
	buffer_load_dword v2, off, s[40:43], 0 offset:244 ; 4-byte Folded Reload
	s_mul_i32 s17, s28, s16
	s_ashr_i32 s0, s17, 31
	s_lshr_b32 s0, s0, 27
	s_add_i32 s0, s17, s0
	s_ashr_i32 s0, s0, 5
	v_mov_b32_e32 v3, s11
	s_waitcnt vmcnt(1)
	v_lshl_add_u32 v1, v1, 1, v1
	s_waitcnt vmcnt(0)
	v_ashrrev_i32_e32 v2, 31, v1
	v_lshrrev_b32_e32 v2, 27, v2
	v_add_u32_e32 v1, v1, v2
	v_ashrrev_i32_e32 v1, 5, v1
	v_mad_u64_u32 v[1:2], s[0:1], s0, 3, v[1:2]
	v_ashrrev_i32_e32 v2, 31, v1
	v_lshlrev_b64 v[1:2], 2, v[1:2]
	v_add_co_u32_e64 v1, s[0:1], s10, v1
	v_addc_co_u32_e64 v2, s[0:1], v3, v2, s[0:1]
	global_load_dword v4, v[1:2], off
	v_cmp_ne_u32_e64 s[0:1], 20, v0
                                        ; implicit-def: $vgpr3
	s_and_saveexec_b64 s[20:21], s[0:1]
	s_xor_b64 s[0:1], exec, s[20:21]
	s_cbranch_execz .LBB40_22
; %bb.21:
	v_not_b32_e32 v1, 63
	v_mad_u32_u24 v1, v0, 3, v1
	s_waitcnt vmcnt(0)
	v_lshrrev_b32_e32 v3, v1, v4
                                        ; implicit-def: $vgpr1_vgpr2
                                        ; implicit-def: $vgpr4
.LBB40_22:
	s_andn2_saveexec_b64 s[0:1], s[0:1]
	s_cbranch_execz .LBB40_24
; %bb.23:
	global_load_dword v1, v[1:2], off offset:4
	s_waitcnt vmcnt(0)
	v_alignbit_b32 v1, v1, v4, 28
	v_and_b32_e32 v3, 0xfff, v1
.LBB40_24:
	s_or_b64 exec, exec, s[0:1]
	v_mov_b32_e32 v1, s17
.LBB40_25:
	s_andn2_saveexec_b64 s[6:7], s[6:7]
	s_cbranch_execz .LBB40_27
; %bb.26:
	buffer_load_dword v1, off, s[40:43], 0 offset:240 ; 4-byte Folded Reload
	buffer_load_dword v2, off, s[40:43], 0 offset:244 ; 4-byte Folded Reload
	s_mul_i32 s17, s28, s16
	s_ashr_i32 s0, s17, 31
	s_lshr_b32 s0, s0, 27
	s_add_i32 s0, s17, s0
	s_ashr_i32 s0, s0, 5
	v_mov_b32_e32 v3, s11
	s_waitcnt vmcnt(1)
	v_lshl_add_u32 v1, v1, 1, v1
	s_waitcnt vmcnt(0)
	v_ashrrev_i32_e32 v2, 31, v1
	v_lshrrev_b32_e32 v2, 27, v2
	v_add_u32_e32 v1, v1, v2
	v_ashrrev_i32_e32 v1, 5, v1
	v_mad_u64_u32 v[1:2], s[0:1], s0, 3, v[1:2]
	v_ashrrev_i32_e32 v2, 31, v1
	v_lshlrev_b64 v[1:2], 2, v[1:2]
	v_add_co_u32_e64 v1, s[0:1], s10, v1
	v_addc_co_u32_e64 v2, s[0:1], v3, v2, s[0:1]
	global_load_dword v1, v[1:2], off
	v_not_b32_e32 v2, 31
	v_mad_u32_u24 v2, v0, 3, v2
	s_waitcnt vmcnt(0)
	v_lshrrev_b32_e32 v3, v2, v1
	v_mov_b32_e32 v1, s17
.LBB40_27:
	s_or_b64 exec, exec, s[6:7]
.LBB40_28:
	s_andn2_saveexec_b64 s[4:5], s[4:5]
	s_cbranch_execz .LBB40_30
; %bb.29:
	buffer_load_dword v1, off, s[40:43], 0 offset:240 ; 4-byte Folded Reload
	buffer_load_dword v2, off, s[40:43], 0 offset:244 ; 4-byte Folded Reload
	s_mul_i32 s6, s28, s16
	s_ashr_i32 s0, s6, 31
	s_lshr_b32 s0, s0, 27
	s_add_i32 s0, s6, s0
	s_ashr_i32 s0, s0, 5
	v_mov_b32_e32 v3, s11
	s_waitcnt vmcnt(1)
	v_lshl_add_u32 v1, v1, 1, v1
	s_waitcnt vmcnt(0)
	v_ashrrev_i32_e32 v2, 31, v1
	v_lshrrev_b32_e32 v2, 27, v2
	v_add_u32_e32 v1, v1, v2
	v_ashrrev_i32_e32 v1, 5, v1
	v_mad_u64_u32 v[1:2], s[0:1], s0, 3, v[1:2]
	v_ashrrev_i32_e32 v2, 31, v1
	v_lshlrev_b64 v[1:2], 2, v[1:2]
	v_add_co_u32_e64 v1, s[0:1], s10, v1
	v_addc_co_u32_e64 v2, s[0:1], v3, v2, s[0:1]
	global_load_dwordx2 v[1:2], v[1:2], off
	s_mov_b32 s0, 0x2010007
	s_waitcnt vmcnt(0)
	v_perm_b32 v1, v1, v2, s0
	v_and_b32_e32 v3, 0xfff, v1
	v_mov_b32_e32 v1, s6
.LBB40_30:
	s_or_b64 exec, exec, s[4:5]
.LBB40_31:
	s_or_saveexec_b64 s[2:3], s[2:3]
	buffer_load_dword v4, off, s[40:43], 0 offset:240 ; 4-byte Folded Reload
	buffer_load_dword v5, off, s[40:43], 0 offset:244 ; 4-byte Folded Reload
	s_waitcnt vmcnt(0)
	v_mul_u32_u24_e32 v5, 3, v0
	buffer_store_dword v5, off, s[40:43], 0 offset:256 ; 4-byte Folded Spill
	v_lshl_add_u32 v2, v4, 1, v4
	v_ashrrev_i32_e32 v4, 31, v2
	s_xor_b64 exec, exec, s[2:3]
	s_cbranch_execz .LBB40_33
; %bb.32:
	s_mul_i32 s4, s28, s16
	s_ashr_i32 s0, s4, 31
	s_lshr_b32 s0, s0, 27
	v_lshrrev_b32_e32 v1, 27, v4
	s_add_i32 s0, s4, s0
	v_add_u32_e32 v1, v2, v1
	s_ashr_i32 s0, s0, 5
	v_ashrrev_i32_e32 v1, 5, v1
	v_mad_u64_u32 v[5:6], s[0:1], s0, 3, v[1:2]
	v_mov_b32_e32 v1, s11
	v_mul_u32_u24_e32 v3, 3, v0
	v_ashrrev_i32_e32 v6, 31, v5
	v_lshlrev_b64 v[5:6], 2, v[5:6]
	v_add_co_u32_e64 v5, s[0:1], s10, v5
	v_addc_co_u32_e64 v6, s[0:1], v1, v6, s[0:1]
	global_load_dword v1, v[5:6], off
	s_waitcnt vmcnt(0)
	v_lshrrev_b32_e32 v3, v3, v1
	v_mov_b32_e32 v1, s4
.LBB40_33:
	s_or_b64 exec, exec, s[2:3]
	s_mov_b32 s29, 0
	v_mov_b32_e32 v28, 0
	s_cmp_ge_i32 s25, s26
	v_mov_b32_e32 v13, 0
	v_mov_b32_e32 v27, 0
	;; [unrolled: 1-line block ×13, first 2 shown]
	s_cbranch_scc1 .LBB40_54
; %bb.34:
	buffer_load_dword v5, off, s[40:43], 0 offset:240 ; 4-byte Folded Reload
	buffer_load_dword v6, off, s[40:43], 0 offset:244 ; 4-byte Folded Reload
	s_add_i32 s30, s27, s25
	v_cmp_lt_u32_e64 s[2:3], 16, v0
	v_cmp_ne_u32_e64 s[4:5], 20, v0
	s_mul_hi_i32 s31, s16, 12
	s_mul_i32 s33, s16, 12
	s_mov_b32 s34, 0x10001
	s_mov_b32 s35, 0x64006400
	s_movk_i32 s36, 0x3000
	s_movk_i32 s37, 0x2400
	s_mov_b32 s38, 0x7060302
	v_mov_b32_e32 v17, 0
	v_mov_b32_e32 v21, 0
	;; [unrolled: 1-line block ×12, first 2 shown]
	s_waitcnt vmcnt(1)
	v_mov_b32_e32 v7, v5
	v_add_u32_e32 v5, v1, v7
	s_waitcnt vmcnt(0)
	v_ashrrev_i32_e32 v6, 31, v5
	v_lshlrev_b64 v[5:6], 1, v[5:6]
	v_mov_b32_e32 v1, s13
	v_add_co_u32_e64 v5, s[0:1], s12, v5
	v_addc_co_u32_e64 v6, s[0:1], v1, v6, s[0:1]
	global_load_dwordx2 v[5:6], v[5:6], off
	s_lshr_b32 s0, s25, 5
	s_mul_i32 s0, s0, s16
	s_mul_i32 s6, s0, 3
	s_ashr_i32 s7, s6, 31
	s_bitcmp1_b32 s19, 0
	s_cselect_b64 s[0:1], -1, 0
	s_xor_b64 s[0:1], s[0:1], -1
	v_cndmask_b32_e64 v1, 0, 1, s[0:1]
	v_cmp_ne_u32_e64 s[0:1], 8, v0
	v_ashrrev_i32_e32 v8, 31, v7
	s_ashr_i32 s17, s16, 31
	s_lshl_b64 s[6:7], s[6:7], 2
	s_add_u32 s6, s8, s6
	s_addc_u32 s7, s9, s7
	s_lshl_b64 s[8:9], s[16:17], 2
	s_mov_b32 s17, 0x2010007
	s_waitcnt vmcnt(0)
	buffer_store_dword v5, off, s[40:43], 0 offset:212 ; 4-byte Folded Spill
	s_nop 0
	buffer_store_dword v6, off, s[40:43], 0 offset:216 ; 4-byte Folded Spill
	buffer_store_dword v1, off, s[40:43], 0 offset:236 ; 4-byte Folded Spill
	v_bfe_u32 v1, v3, 9, 3
	buffer_store_dword v1, off, s[40:43], 0 offset:220 ; 4-byte Folded Spill
	v_bfe_u32 v1, v3, 6, 3
	;; [unrolled: 2-line block ×3, first 2 shown]
	buffer_store_dword v1, off, s[40:43], 0 offset:228 ; 4-byte Folded Spill
	v_and_b32_e32 v1, 7, v3
	buffer_store_dword v1, off, s[40:43], 0 offset:232 ; 4-byte Folded Spill
	v_lshrrev_b32_e32 v1, 27, v4
	v_add_u32_e32 v1, v2, v1
	v_ashrrev_i32_e32 v1, 5, v1
	buffer_store_dword v1, off, s[40:43], 0 offset:248 ; 4-byte Folded Spill
	s_nop 0
	buffer_store_dword v2, off, s[40:43], 0 offset:252 ; 4-byte Folded Spill
	v_not_b32_e32 v1, 63
	v_mad_u32_u24 v1, v0, 3, v1
	buffer_store_dword v1, off, s[40:43], 0 offset:264 ; 4-byte Folded Spill
	v_not_b32_e32 v1, 31
	v_mad_u32_u24 v0, v0, 3, v1
	buffer_store_dword v0, off, s[40:43], 0 offset:260 ; 4-byte Folded Spill
	v_mov_b32_e32 v0, v7
	buffer_store_dword v0, off, s[40:43], 0 offset:240 ; 4-byte Folded Spill
	s_nop 0
	buffer_store_dword v1, off, s[40:43], 0 offset:244 ; 4-byte Folded Spill
	v_lshlrev_b64 v[0:1], 2, v[7:8]
	v_mov_b32_e32 v2, s7
	v_add_co_u32_e64 v14, s[6:7], s6, v0
	v_addc_co_u32_e64 v15, s[6:7], v2, v1, s[6:7]
	v_mov_b32_e32 v7, 0
	v_mov_b32_e32 v8, 0
	s_branch .LBB40_37
.LBB40_35:                              ;   in Loop: Header=BB40_37 Depth=1
	s_or_b64 exec, exec, s[6:7]
	buffer_load_dword v1, off, s[40:43], 0 offset:240 ; 4-byte Folded Reload
	buffer_load_dword v2, off, s[40:43], 0 offset:244 ; 4-byte Folded Reload
	v_mov_b32_e32 v3, s13
	s_add_i32 s30, s30, s27
	s_waitcnt vmcnt(1)
	v_add_u32_e32 v1, s39, v1
	s_waitcnt vmcnt(0)
	v_ashrrev_i32_e32 v2, 31, v1
	v_lshlrev_b64 v[1:2], 1, v[1:2]
	v_add_co_u32_e64 v1, s[6:7], s12, v1
	v_addc_co_u32_e64 v2, s[6:7], v3, v2, s[6:7]
	global_load_dwordx2 v[1:2], v[1:2], off
	s_waitcnt vmcnt(0)
	buffer_store_dword v1, off, s[40:43], 0 offset:212 ; 4-byte Folded Spill
	s_nop 0
	buffer_store_dword v2, off, s[40:43], 0 offset:216 ; 4-byte Folded Spill
	v_and_b32_e32 v1, 7, v0
	buffer_store_dword v1, off, s[40:43], 0 offset:232 ; 4-byte Folded Spill
	v_bfe_u32 v1, v0, 3, 3
	buffer_store_dword v1, off, s[40:43], 0 offset:228 ; 4-byte Folded Spill
	v_bfe_u32 v1, v0, 6, 3
	v_bfe_u32 v0, v0, 9, 3
	buffer_store_dword v1, off, s[40:43], 0 offset:224 ; 4-byte Folded Spill
	buffer_store_dword v0, off, s[40:43], 0 offset:220 ; 4-byte Folded Spill
.LBB40_36:                              ;   in Loop: Header=BB40_37 Depth=1
	buffer_store_dword v28, off, s[40:43], 0 offset:52 ; 4-byte Folded Spill
	buffer_store_dword v13, off, s[40:43], 0 offset:48 ; 4-byte Folded Spill
	;; [unrolled: 1-line block ×13, first 2 shown]
	buffer_store_dword v7, off, s[40:43], 0 ; 4-byte Folded Spill
	global_load_dwordx4 v[10:13], v[14:15], off
	v_add_co_u32_e64 v0, s[6:7], s8, v14
	v_mov_b32_e32 v2, s9
	v_addc_co_u32_e64 v1, s[6:7], v15, v2, s[6:7]
	buffer_store_dword v14, off, s[40:43], 0 offset:56 ; 4-byte Folded Spill
	s_nop 0
	buffer_store_dword v15, off, s[40:43], 0 offset:60 ; 4-byte Folded Spill
	global_load_dwordx4 v[14:17], v[0:1], off
	v_add_co_u32_e64 v7, s[6:7], s8, v0
	v_addc_co_u32_e64 v8, s[6:7], v1, v2, s[6:7]
	v_mov_b32_e32 v43, s29
	s_add_i32 s6, s29, 0x400
	s_add_i32 s25, s25, 32
	s_waitcnt vmcnt(3)
	v_lshrrev_b32_e32 v3, 15, v12
	buffer_store_dword v3, off, s[40:43], 0 offset:68 ; 4-byte Folded Spill
	v_lshrrev_b32_e32 v3, 15, v13
	buffer_store_dword v3, off, s[40:43], 0 offset:64 ; 4-byte Folded Spill
	;; [unrolled: 2-line block ×3, first 2 shown]
	v_lshrrev_b32_e32 v1, 15, v11
	s_waitcnt vmcnt(3)
	v_and_b32_e32 v3, 0x380038, v14
	buffer_store_dword v3, off, s[40:43], 0 offset:184 ; 4-byte Folded Spill
	v_lshrrev_b32_e32 v3, 6, v14
	buffer_store_dword v3, off, s[40:43], 0 offset:188 ; 4-byte Folded Spill
	v_lshrrev_b32_e32 v3, 14, v14
	buffer_store_dword v3, off, s[40:43], 0 offset:92 ; 4-byte Folded Spill
	v_and_b32_e32 v3, 0x70007, v15
	buffer_store_dword v3, off, s[40:43], 0 offset:200 ; 4-byte Folded Spill
	v_and_b32_e32 v3, 0x380038, v15
	buffer_store_dword v3, off, s[40:43], 0 offset:176 ; 4-byte Folded Spill
	v_lshrrev_b32_e32 v3, 6, v15
	buffer_store_dword v3, off, s[40:43], 0 offset:180 ; 4-byte Folded Spill
	v_lshrrev_b32_e32 v3, 14, v15
	buffer_store_dword v3, off, s[40:43], 0 offset:88 ; 4-byte Folded Spill
	v_and_b32_e32 v3, 0x70007, v16
	buffer_store_dword v3, off, s[40:43], 0 offset:196 ; 4-byte Folded Spill
	v_and_b32_e32 v3, 0x380038, v16
	buffer_store_dword v3, off, s[40:43], 0 offset:168 ; 4-byte Folded Spill
	v_lshrrev_b32_e32 v3, 6, v16
	v_and_b32_e32 v0, 0x70007, v10
	v_and_b32_e32 v2, 0x380038, v10
	v_lshrrev_b32_e32 v37, 6, v10
	v_and_b32_e32 v5, 0x70007, v11
	v_and_b32_e32 v6, 0x380038, v11
	v_lshrrev_b32_e32 v30, 6, v11
	buffer_store_dword v1, off, s[40:43], 0 offset:72 ; 4-byte Folded Spill
	v_and_b32_e32 v9, 0x70007, v12
	v_and_b32_e32 v10, 0x380038, v12
	v_lshrrev_b32_e32 v1, 6, v12
	v_and_b32_e32 v11, 0x70007, v13
	v_and_b32_e32 v12, 0x380038, v13
	v_lshrrev_b32_e32 v36, 6, v13
	v_and_b32_e32 v46, 0x70007, v14
	buffer_store_dword v3, off, s[40:43], 0 offset:172 ; 4-byte Folded Spill
	v_lshrrev_b32_e32 v3, 14, v16
	global_load_dwordx4 v[13:16], v[7:8], off
	v_or_b32_e32 v2, 0x64006400, v2
	buffer_store_dword v3, off, s[40:43], 0 offset:84 ; 4-byte Folded Spill
	v_and_b32_e32 v3, 0x70007, v17
	buffer_store_dword v3, off, s[40:43], 0 offset:192 ; 4-byte Folded Spill
	v_and_b32_e32 v3, 0x380038, v17
	buffer_store_dword v3, off, s[40:43], 0 offset:160 ; 4-byte Folded Spill
	v_lshrrev_b32_e32 v3, 6, v17
	buffer_store_dword v3, off, s[40:43], 0 offset:164 ; 4-byte Folded Spill
	v_lshrrev_b32_e32 v3, 14, v17
	buffer_store_dword v3, off, s[40:43], 0 offset:80 ; 4-byte Folded Spill
	v_or_b32_e32 v0, 0x64006400, v0
	s_waitcnt vmcnt(5)
	v_and_b32_e32 v3, 0x70007, v13
	buffer_store_dword v3, off, s[40:43], 0 offset:128 ; 4-byte Folded Spill
	v_and_b32_e32 v3, 0x380038, v13
	buffer_store_dword v3, off, s[40:43], 0 offset:132 ; 4-byte Folded Spill
	v_lshrrev_b32_e32 v3, 6, v13
	buffer_store_dword v3, off, s[40:43], 0 offset:112 ; 4-byte Folded Spill
	v_lshrrev_b32_e32 v3, 13, v13
	buffer_store_dword v3, off, s[40:43], 0 offset:104 ; 4-byte Folded Spill
	v_and_b32_e32 v3, 0x70007, v14
	buffer_store_dword v3, off, s[40:43], 0 offset:136 ; 4-byte Folded Spill
	v_and_b32_e32 v3, 0x380038, v14
	buffer_store_dword v3, off, s[40:43], 0 offset:140 ; 4-byte Folded Spill
	v_lshrrev_b32_e32 v3, 6, v14
	buffer_store_dword v3, off, s[40:43], 0 offset:116 ; 4-byte Folded Spill
	v_lshrrev_b32_e32 v3, 13, v14
	buffer_store_dword v3, off, s[40:43], 0 offset:100 ; 4-byte Folded Spill
	;; [unrolled: 8-line block ×4, first 2 shown]
	buffer_load_dword v13, off, s[40:43], 0 offset:236 ; 4-byte Folded Reload
	s_nop 0
	buffer_load_dword v3, off, s[40:43], 0 offset:232 ; 4-byte Folded Reload
	v_mov_b32_e32 v14, 0xe400e400
	s_waitcnt vmcnt(0)
	v_add_u32_e32 v3, v3, v13
	v_cvt_f32_u32_e32 v4, v3
	v_mad_u32_u24 v55, v3, s34, v14
	buffer_load_dword v3, off, s[40:43], 0 offset:228 ; 4-byte Folded Reload
	v_pk_add_f16 v0, v55, v0
	v_cvt_f16_f32_e32 v56, v4
	s_waitcnt vmcnt(0)
	v_add_u32_e32 v3, v3, v13
	v_cvt_f32_u32_e32 v7, v3
	v_mad_u32_u24 v54, v3, s34, v14
	buffer_load_dword v3, off, s[40:43], 0 offset:224 ; 4-byte Folded Reload
	v_cvt_f16_f32_e32 v51, v7
	s_waitcnt vmcnt(0)
	v_add_u32_e32 v3, v3, v13
	v_cvt_f32_u32_e32 v8, v3
	v_mad_u32_u24 v53, v3, s34, v14
	buffer_load_dword v3, off, s[40:43], 0 offset:220 ; 4-byte Folded Reload
	v_cvt_f16_f32_e32 v8, v8
	s_waitcnt vmcnt(0)
	v_add_u32_e32 v3, v3, v13
	v_cvt_f32_u32_e32 v13, v3
	v_mad_u32_u24 v52, v3, s34, v14
	v_sub_f16_e32 v3, 0xd800, v56
	v_mul_u32_u24_e32 v31, 0x10001, v3
	v_cvt_f16_f32_e32 v7, v13
	v_sub_f16_e32 v3, 0xd800, v51
	v_mul_u32_u24_e32 v62, 0x10001, v3
	v_sub_f16_e32 v3, 0xd800, v8
	v_mul_u32_u24_e32 v63, 0x10001, v3
	;; [unrolled: 2-line block ×3, first 2 shown]
	v_pk_fma_f16 v3, v2, s36, v31 op_sel_hi:[1,0,1]
	v_or_b32_e32 v2, 0x64006400, v5
	v_or_b32_e32 v5, 0x64006400, v6
	v_pk_fma_f16 v15, v5, s36, v62 op_sel_hi:[1,0,1]
	v_or_b32_e32 v5, 0x64006400, v10
	v_pk_fma_f16 v21, v5, s36, v63 op_sel_hi:[1,0,1]
	;; [unrolled: 2-line block ×3, first 2 shown]
	ds_read2_b32 v[5:6], v43 offset1:1
	v_pk_add_f16 v4, v54, v2
	v_or_b32_e32 v2, 0x64006400, v9
	v_pk_add_f16 v16, v53, v2
	v_or_b32_e32 v2, 0x64006400, v11
	v_pk_add_f16 v24, v52, v2
	s_waitcnt lgkmcnt(0)
	v_pk_fma_f16 v2, v0, v5, 0
	v_pk_fma_f16 v57, v3, v6, v2
	;; [unrolled: 1-line block ×8, first 2 shown]
	ds_read2_b32 v[5:6], v43 offset0:64 offset1:65
	v_mov_b32_e32 v27, v13
	buffer_store_dword v27, off, s[40:43], 0 offset:204 ; 4-byte Folded Spill
	s_waitcnt lgkmcnt(0)
	v_pk_fma_f16 v2, v0, v5, 0
	v_pk_fma_f16 v61, v3, v6, v2
	;; [unrolled: 1-line block ×8, first 2 shown]
	ds_read2_b32 v[5:6], v43 offset0:128 offset1:129
	s_waitcnt lgkmcnt(0)
	v_pk_fma_f16 v9, v0, v5, 0
	v_pk_fma_f16 v10, v4, v5, 0
	;; [unrolled: 1-line block ×8, first 2 shown]
	ds_read2_b32 v[5:6], v43 offset0:192 offset1:193
	s_waitcnt lgkmcnt(0)
	v_pk_fma_f16 v13, v0, v5, 0
	v_pk_fma_f16 v14, v4, v5, 0
	;; [unrolled: 1-line block ×5, first 2 shown]
	v_mov_b32_e32 v5, s6
	v_pk_fma_f16 v45, v21, v6, v17
	ds_read2_b32 v[17:18], v5 offset1:1
	s_add_i32 s6, s29, 0x500
	v_pk_fma_f16 v13, v3, v6, v13
	v_pk_fma_f16 v14, v15, v6, v14
	s_waitcnt lgkmcnt(0)
	v_pk_fma_f16 v5, v0, v17, 0
	v_pk_fma_f16 v48, v3, v18, v5
	;; [unrolled: 1-line block ×4, first 2 shown]
	buffer_store_dword v5, off, s[40:43], 0 offset:208 ; 4-byte Folded Spill
	v_pk_fma_f16 v5, v16, v17, 0
	v_pk_fma_f16 v6, v24, v17, 0
	v_mov_b32_e32 v17, s6
	ds_read2_b32 v[19:20], v17 offset1:1
	v_pk_fma_f16 v5, v21, v18, v5
	v_pk_fma_f16 v6, v25, v18, v6
	s_add_i32 s6, s29, 0x600
	s_waitcnt lgkmcnt(0)
	v_pk_fma_f16 v17, v0, v19, 0
	v_pk_fma_f16 v18, v4, v19, 0
	;; [unrolled: 1-line block ×5, first 2 shown]
	v_mov_b32_e32 v19, s6
	v_pk_fma_f16 v42, v21, v20, v22
	ds_read2_b32 v[22:23], v19 offset1:1
	v_pk_fma_f16 v17, v3, v20, v17
	v_pk_fma_f16 v18, v15, v20, v18
	s_add_i32 s6, s29, 0x408
	s_waitcnt lgkmcnt(0)
	v_pk_fma_f16 v0, v0, v22, 0
	v_pk_fma_f16 v19, v3, v23, v0
	v_and_b32_e32 v3, 0x380038, v37
	v_or_b32_e32 v3, 0x64006400, v3
	v_pk_fma_f16 v50, v3, s36, v31 op_sel_hi:[1,0,1]
	v_and_b32_e32 v3, 0x380038, v30
	v_pk_fma_f16 v0, v4, v22, 0
	v_or_b32_e32 v3, 0x64006400, v3
	v_pk_fma_f16 v20, v15, v23, v0
	v_pk_fma_f16 v0, v16, v22, 0
	v_pk_fma_f16 v16, v3, s36, v62 op_sel_hi:[1,0,1]
	v_and_b32_e32 v3, 0x70007, v1
	v_and_b32_e32 v4, 0x380038, v1
	v_or_b32_e32 v3, 0x64006400, v3
	v_or_b32_e32 v4, 0x64006400, v4
	v_pk_add_f16 v15, v53, v3
	v_pk_fma_f16 v26, v4, s36, v63 op_sel_hi:[1,0,1]
	v_and_b32_e32 v3, 0x70007, v36
	v_and_b32_e32 v4, 0x380038, v36
	v_or_b32_e32 v3, 0x64006400, v3
	v_or_b32_e32 v4, 0x64006400, v4
	v_pk_fma_f16 v39, v21, v23, v0
	v_pk_fma_f16 v0, v24, v22, 0
	v_pk_add_f16 v33, v52, v3
	v_pk_fma_f16 v34, v4, s36, v27 op_sel_hi:[1,0,1]
	ds_read2_b32 v[3:4], v43 offset0:2 offset1:3
	v_pk_fma_f16 v41, v25, v23, v0
	v_and_b32_e32 v0, 0x70007, v37
	v_or_b32_e32 v0, 0x64006400, v0
	v_pk_add_f16 v49, v55, v0
	v_and_b32_e32 v0, 0x70007, v30
	v_or_b32_e32 v0, 0x64006400, v0
	v_pk_add_f16 v0, v54, v0
	s_waitcnt lgkmcnt(0)
	v_pk_fma_f16 v21, v49, v3, v57
	v_pk_fma_f16 v22, v50, v4, v21
	;; [unrolled: 1-line block ×8, first 2 shown]
	ds_read2_b32 v[3:4], v43 offset0:66 offset1:67
	s_waitcnt lgkmcnt(0)
	v_pk_fma_f16 v2, v15, v3, v2
	v_pk_fma_f16 v21, v49, v3, v61
	v_pk_fma_f16 v29, v26, v4, v2
	v_pk_fma_f16 v2, v33, v3, v32
	v_pk_fma_f16 v27, v50, v4, v21
	v_pk_fma_f16 v21, v0, v3, v28
	v_pk_fma_f16 v35, v34, v4, v2
	ds_read2_b32 v[2:3], v43 offset0:130 offset1:131
	v_pk_fma_f16 v28, v16, v4, v21
	s_waitcnt lgkmcnt(0)
	v_pk_fma_f16 v4, v49, v2, v9
	v_pk_fma_f16 v38, v50, v3, v4
	;; [unrolled: 1-line block ×8, first 2 shown]
	ds_read2_b32 v[2:3], v43 offset0:194 offset1:195
	s_waitcnt lgkmcnt(0)
	v_pk_fma_f16 v4, v49, v2, v13
	v_pk_fma_f16 v13, v50, v3, v4
	;; [unrolled: 1-line block ×7, first 2 shown]
	v_mov_b32_e32 v2, s6
	v_pk_fma_f16 v45, v26, v3, v4
	ds_read2_b32 v[2:3], v2 offset1:1
	s_add_i32 s6, s29, 0x508
	s_waitcnt lgkmcnt(0)
	v_pk_fma_f16 v4, v49, v2, v48
	v_pk_fma_f16 v58, v50, v3, v4
	buffer_load_dword v4, off, s[40:43], 0 offset:208 ; 4-byte Folded Reload
	s_waitcnt vmcnt(0)
	v_pk_fma_f16 v4, v0, v2, v4
	v_pk_fma_f16 v59, v16, v3, v4
	;; [unrolled: 1-line block ×5, first 2 shown]
	v_mov_b32_e32 v2, s6
	v_pk_fma_f16 v5, v26, v3, v4
	ds_read2_b32 v[2:3], v2 offset1:1
	s_add_i32 s6, s29, 0x608
	s_waitcnt lgkmcnt(0)
	v_pk_fma_f16 v4, v49, v2, v17
	v_pk_fma_f16 v17, v50, v3, v4
	;; [unrolled: 1-line block ×7, first 2 shown]
	v_mov_b32_e32 v2, s6
	v_pk_fma_f16 v21, v26, v3, v4
	ds_read2_b32 v[2:3], v2 offset1:1
	s_add_i32 s6, s29, 0x410
	s_waitcnt lgkmcnt(0)
	v_pk_fma_f16 v0, v0, v2, v20
	v_pk_fma_f16 v16, v16, v3, v0
	;; [unrolled: 1-line block ×8, first 2 shown]
	v_or_b32_e32 v3, 0x64006400, v46
	v_pk_add_f16 v47, v55, v3
	buffer_load_dword v3, off, s[40:43], 0 offset:200 ; 4-byte Folded Reload
	v_sub_f16_e32 v0, 0xcc00, v56
	v_mul_u32_u24_e32 v10, 0x10001, v0
	v_sub_f16_e32 v0, 0xcc00, v51
	v_mul_u32_u24_e32 v9, 0x10001, v0
	;; [unrolled: 2-line block ×4, first 2 shown]
	v_and_b32_e32 v0, 0x1c001c0, v37
	v_or_b32_e32 v0, 0x64006400, v0
	v_pk_fma_f16 v46, v0, s37, v10 op_sel_hi:[1,0,1]
	v_and_b32_e32 v0, 0x1c001c0, v30
	v_or_b32_e32 v0, 0x64006400, v0
	buffer_load_dword v7, off, s[40:43], 0 offset:192 ; 4-byte Folded Reload
	ds_read2_b32 v[18:19], v43 offset0:4 offset1:5
	s_waitcnt vmcnt(1)
	v_or_b32_e32 v4, 0x64006400, v3
	v_pk_fma_f16 v3, v0, s37, v9 op_sel_hi:[1,0,1]
	v_and_b32_e32 v0, 0x1c001c0, v1
	buffer_load_dword v1, off, s[40:43], 0 offset:196 ; 4-byte Folded Reload
	v_or_b32_e32 v0, 0x64006400, v0
	v_pk_add_f16 v4, v54, v4
	s_waitcnt vmcnt(1)
	v_or_b32_e32 v8, 0x64006400, v7
	v_pk_add_f16 v8, v52, v8
	s_waitcnt vmcnt(0)
	v_or_b32_e32 v6, 0x64006400, v1
	v_pk_fma_f16 v1, v0, s37, v2 op_sel_hi:[1,0,1]
	v_pk_add_f16 v0, v53, v6
	v_and_b32_e32 v6, 0x1c001c0, v36
	v_or_b32_e32 v6, 0x64006400, v6
	v_pk_fma_f16 v7, v6, s37, v32 op_sel_hi:[1,0,1]
	s_waitcnt lgkmcnt(0)
	v_pk_fma_f16 v6, v46, v18, v22
	v_pk_fma_f16 v30, v47, v19, v6
	;; [unrolled: 1-line block ×3, first 2 shown]
	ds_read2_b32 v[22:23], v43 offset0:68 offset1:69
	v_pk_fma_f16 v50, v4, v19, v6
	v_pk_fma_f16 v6, v1, v18, v24
	;; [unrolled: 1-line block ×5, first 2 shown]
	s_waitcnt lgkmcnt(0)
	v_pk_fma_f16 v6, v46, v22, v27
	v_pk_fma_f16 v18, v47, v23, v6
	;; [unrolled: 1-line block ×8, first 2 shown]
	ds_read2_b32 v[22:23], v43 offset0:132 offset1:133
	s_waitcnt lgkmcnt(0)
	v_pk_fma_f16 v6, v46, v22, v38
	v_pk_fma_f16 v39, v47, v23, v6
	v_pk_fma_f16 v6, v3, v22, v40
	v_pk_fma_f16 v40, v4, v23, v6
	v_pk_fma_f16 v6, v1, v22, v11
	v_pk_fma_f16 v41, v0, v23, v6
	v_pk_fma_f16 v6, v7, v22, v12
	v_pk_fma_f16 v42, v8, v23, v6
	ds_read2_b32 v[22:23], v43 offset0:196 offset1:197
	s_waitcnt lgkmcnt(0)
	v_pk_fma_f16 v12, v1, v22, v45
	v_pk_fma_f16 v36, v0, v23, v12
	;; [unrolled: 1-line block ×6, first 2 shown]
	v_mov_b32_e32 v12, s6
	v_pk_fma_f16 v6, v47, v23, v6
	v_pk_fma_f16 v11, v4, v23, v11
	ds_read2_b32 v[22:23], v12 offset1:1
	s_add_i32 s6, s29, 0x510
	s_waitcnt lgkmcnt(0)
	v_pk_fma_f16 v5, v1, v22, v5
	v_pk_fma_f16 v14, v0, v23, v5
	;; [unrolled: 1-line block ×6, first 2 shown]
	v_mov_b32_e32 v5, s6
	v_pk_fma_f16 v12, v47, v23, v12
	v_pk_fma_f16 v13, v4, v23, v13
	ds_read2_b32 v[22:23], v5 offset1:1
	s_add_i32 s6, s29, 0x610
	buffer_load_dword v60, off, s[40:43], 0 offset:188 ; 4-byte Folded Reload
	s_waitcnt lgkmcnt(0)
	v_pk_fma_f16 v5, v46, v22, v17
	v_pk_fma_f16 v45, v47, v23, v5
	;; [unrolled: 1-line block ×8, first 2 shown]
	v_mov_b32_e32 v5, s6
	ds_read2_b32 v[22:23], v5 offset1:1
	buffer_load_dword v61, off, s[40:43], 0 offset:204 ; 4-byte Folded Reload
	buffer_load_dword v59, off, s[40:43], 0 offset:180 ; 4-byte Folded Reload
	s_add_i32 s6, s29, 0x418
	s_waitcnt lgkmcnt(0)
	v_pk_fma_f16 v1, v1, v22, v15
	v_pk_fma_f16 v21, v0, v23, v1
	;; [unrolled: 1-line block ×4, first 2 shown]
	buffer_load_dword v0, off, s[40:43], 0 offset:184 ; 4-byte Folded Reload
	v_pk_fma_f16 v5, v46, v22, v49
	v_pk_fma_f16 v3, v3, v22, v16
	;; [unrolled: 1-line block ×3, first 2 shown]
	buffer_load_dword v47, off, s[40:43], 0 offset:172 ; 4-byte Folded Reload
	buffer_load_dword v46, off, s[40:43], 0 offset:164 ; 4-byte Folded Reload
	v_pk_fma_f16 v17, v4, v23, v3
	s_waitcnt vmcnt(2)
	v_or_b32_e32 v0, 0x64006400, v0
	v_pk_fma_f16 v22, v0, s36, v31 op_sel_hi:[1,0,1]
	buffer_load_dword v0, off, s[40:43], 0 offset:176 ; 4-byte Folded Reload
	v_and_b32_e32 v3, 0x70007, v60
	v_or_b32_e32 v3, 0x64006400, v3
	v_pk_add_f16 v23, v55, v3
	s_waitcnt vmcnt(0)
	v_or_b32_e32 v0, 0x64006400, v0
	v_pk_fma_f16 v24, v0, s36, v62 op_sel_hi:[1,0,1]
	buffer_load_dword v0, off, s[40:43], 0 offset:168 ; 4-byte Folded Reload
	v_and_b32_e32 v3, 0x70007, v59
	v_or_b32_e32 v3, 0x64006400, v3
	v_pk_add_f16 v25, v54, v3
	v_and_b32_e32 v3, 0x70007, v47
	v_or_b32_e32 v3, 0x64006400, v3
	v_pk_add_f16 v27, v53, v3
	v_and_b32_e32 v3, 0x70007, v46
	v_or_b32_e32 v3, 0x64006400, v3
	v_pk_add_f16 v16, v52, v3
	ds_read2_b32 v[3:4], v43 offset0:6 offset1:7
	s_waitcnt vmcnt(0)
	v_or_b32_e32 v0, 0x64006400, v0
	v_pk_fma_f16 v26, v0, s36, v63 op_sel_hi:[1,0,1]
	buffer_load_dword v0, off, s[40:43], 0 offset:160 ; 4-byte Folded Reload
	s_waitcnt vmcnt(0)
	v_or_b32_e32 v0, 0x64006400, v0
	v_pk_fma_f16 v15, v0, s36, v61 op_sel_hi:[1,0,1]
	s_waitcnt lgkmcnt(0)
	v_pk_fma_f16 v0, v22, v3, v30
	v_pk_fma_f16 v28, v23, v4, v0
	v_pk_fma_f16 v0, v24, v3, v50
	v_pk_fma_f16 v29, v25, v4, v0
	v_pk_fma_f16 v0, v26, v3, v51
	v_pk_fma_f16 v30, v27, v4, v0
	v_pk_fma_f16 v0, v15, v3, v56
	v_pk_fma_f16 v38, v16, v4, v0
	ds_read2_b32 v[3:4], v43 offset0:70 offset1:71
	s_waitcnt lgkmcnt(0)
	v_pk_fma_f16 v0, v22, v3, v18
	v_pk_fma_f16 v48, v23, v4, v0
	v_pk_fma_f16 v0, v24, v3, v19
	v_pk_fma_f16 v18, v25, v4, v0
	v_pk_fma_f16 v0, v26, v3, v20
	v_pk_fma_f16 v19, v27, v4, v0
	v_pk_fma_f16 v0, v15, v3, v44
	v_pk_fma_f16 v20, v16, v4, v0
	ds_read2_b32 v[3:4], v43 offset0:134 offset1:135
	;; [unrolled: 10-line block ×3, first 2 shown]
	s_waitcnt lgkmcnt(0)
	v_pk_fma_f16 v0, v22, v3, v6
	v_pk_fma_f16 v42, v23, v4, v0
	;; [unrolled: 1-line block ×8, first 2 shown]
	v_mov_b32_e32 v0, s6
	ds_read2_b32 v[3:4], v0 offset1:1
	s_add_i32 s6, s29, 0x518
	s_waitcnt lgkmcnt(0)
	v_pk_fma_f16 v0, v22, v3, v12
	v_pk_fma_f16 v37, v23, v4, v0
	v_pk_fma_f16 v0, v24, v3, v13
	v_pk_fma_f16 v13, v25, v4, v0
	v_pk_fma_f16 v0, v26, v3, v14
	v_pk_fma_f16 v14, v27, v4, v0
	v_pk_fma_f16 v0, v15, v3, v35
	v_pk_fma_f16 v12, v16, v4, v0
	v_mov_b32_e32 v0, s6
	ds_read2_b32 v[3:4], v0 offset1:1
	s_add_i32 s6, s29, 0x618
	s_waitcnt lgkmcnt(0)
	v_pk_fma_f16 v0, v22, v3, v45
	v_pk_fma_f16 v0, v23, v4, v0
	buffer_store_dword v0, off, s[40:43], 0 offset:160 ; 4-byte Folded Spill
	v_pk_fma_f16 v0, v24, v3, v58
	v_pk_fma_f16 v0, v25, v4, v0
	buffer_store_dword v0, off, s[40:43], 0 offset:168 ; 4-byte Folded Spill
	;; [unrolled: 3-line block ×4, first 2 shown]
	v_mov_b32_e32 v0, s6
	ds_read2_b32 v[7:8], v0 offset1:1
	s_add_i32 s6, s29, 0x420
	buffer_load_dword v33, off, s[40:43], 0 offset:124 ; 4-byte Folded Reload
	s_waitcnt lgkmcnt(0)
	v_pk_fma_f16 v0, v22, v7, v5
	v_pk_fma_f16 v49, v23, v8, v0
	;; [unrolled: 1-line block ×6, first 2 shown]
	buffer_store_dword v0, off, s[40:43], 0 offset:196 ; 4-byte Folded Spill
	v_pk_fma_f16 v0, v15, v7, v1
	v_pk_fma_f16 v0, v16, v8, v0
	v_mov_b32_e32 v1, v60
	buffer_store_dword v0, off, s[40:43], 0 offset:192 ; 4-byte Folded Spill
	v_and_b32_e32 v0, 0x380038, v1
	v_and_b32_e32 v1, 0x1c001c0, v1
	v_or_b32_e32 v1, 0x64006400, v1
	v_or_b32_e32 v0, 0x64006400, v0
	v_pk_fma_f16 v8, v1, s37, v10 op_sel_hi:[1,0,1]
	v_mov_b32_e32 v1, v59
	v_pk_fma_f16 v7, v0, s36, v31 op_sel_hi:[1,0,1]
	v_and_b32_e32 v0, 0x380038, v1
	v_and_b32_e32 v1, 0x1c001c0, v1
	v_or_b32_e32 v1, 0x64006400, v1
	v_or_b32_e32 v0, 0x64006400, v0
	v_pk_fma_f16 v17, v1, s37, v9 op_sel_hi:[1,0,1]
	v_mov_b32_e32 v1, v47
	v_pk_fma_f16 v35, v0, s36, v62 op_sel_hi:[1,0,1]
	v_and_b32_e32 v0, 0x380038, v1
	v_and_b32_e32 v1, 0x1c001c0, v1
	v_or_b32_e32 v1, 0x64006400, v1
	v_or_b32_e32 v0, 0x64006400, v0
	v_pk_fma_f16 v59, v1, s37, v2 op_sel_hi:[1,0,1]
	v_mov_b32_e32 v1, v46
	v_pk_fma_f16 v58, v0, s36, v63 op_sel_hi:[1,0,1]
	v_and_b32_e32 v0, 0x380038, v1
	v_and_b32_e32 v1, 0x1c001c0, v1
	v_or_b32_e32 v0, 0x64006400, v0
	v_or_b32_e32 v1, 0x64006400, v1
	v_mov_b32_e32 v16, v61
	v_pk_fma_f16 v34, v0, s36, v16 op_sel_hi:[1,0,1]
	v_pk_fma_f16 v36, v1, s37, v32 op_sel_hi:[1,0,1]
	ds_read2_b32 v[0:1], v43 offset0:8 offset1:9
	buffer_load_dword v27, off, s[40:43], 0 offset:112 ; 4-byte Folded Reload
	s_waitcnt lgkmcnt(0)
	v_pk_fma_f16 v3, v7, v0, v28
	v_pk_fma_f16 v4, v35, v0, v29
	;; [unrolled: 1-line block ×8, first 2 shown]
	buffer_load_dword v0, off, s[40:43], 0 offset:128 ; 4-byte Folded Reload
	buffer_load_dword v1, off, s[40:43], 0 offset:132 ; 4-byte Folded Reload
	v_mov_b32_e32 v29, v16
	s_waitcnt vmcnt(5)
	v_mov_b32_e32 v46, v33
	s_waitcnt vmcnt(1)
	v_or_b32_e32 v0, 0x64006400, v0
	s_waitcnt vmcnt(0)
	v_or_b32_e32 v1, 0x64006400, v1
	v_pk_add_f16 v23, v55, v0
	v_pk_fma_f16 v24, v1, s36, v31 op_sel_hi:[1,0,1]
	buffer_load_dword v0, off, s[40:43], 0 offset:136 ; 4-byte Folded Reload
	buffer_load_dword v1, off, s[40:43], 0 offset:140 ; 4-byte Folded Reload
	s_waitcnt vmcnt(1)
	v_or_b32_e32 v0, 0x64006400, v0
	s_waitcnt vmcnt(0)
	v_or_b32_e32 v1, 0x64006400, v1
	v_pk_add_f16 v21, v54, v0
	v_pk_fma_f16 v22, v1, s36, v62 op_sel_hi:[1,0,1]
	buffer_load_dword v0, off, s[40:43], 0 offset:144 ; 4-byte Folded Reload
	buffer_load_dword v1, off, s[40:43], 0 offset:148 ; 4-byte Folded Reload
	;; [unrolled: 8-line block ×3, first 2 shown]
	s_waitcnt vmcnt(1)
	v_or_b32_e32 v0, 0x64006400, v0
	s_waitcnt vmcnt(0)
	v_or_b32_e32 v1, 0x64006400, v1
	v_pk_add_f16 v26, v52, v0
	v_pk_fma_f16 v30, v1, s36, v16 op_sel_hi:[1,0,1]
	ds_read2_b32 v[0:1], v43 offset0:10 offset1:11
	buffer_load_dword v16, off, s[40:43], 0 offset:116 ; 4-byte Folded Reload
	s_waitcnt lgkmcnt(0)
	v_pk_fma_f16 v3, v23, v0, v3
	v_pk_fma_f16 v4, v21, v0, v4
	;; [unrolled: 1-line block ×8, first 2 shown]
	buffer_load_dword v1, off, s[40:43], 0 offset:120 ; 4-byte Folded Reload
	v_and_b32_e32 v0, 0x380038, v27
	v_or_b32_e32 v0, 0x64006400, v0
	v_pk_fma_f16 v28, v0, s36, v31 op_sel_hi:[1,0,1]
	v_mov_b32_e32 v31, v27
	s_waitcnt vmcnt(1)
	v_and_b32_e32 v0, 0x380038, v16
	v_or_b32_e32 v0, 0x64006400, v0
	v_pk_fma_f16 v25, v0, s36, v62 op_sel_hi:[1,0,1]
	v_mov_b32_e32 v45, v16
	s_waitcnt vmcnt(0)
	v_and_b32_e32 v0, 0x380038, v1
	v_or_b32_e32 v0, 0x64006400, v0
	v_pk_fma_f16 v63, v0, s36, v63 op_sel_hi:[1,0,1]
	v_and_b32_e32 v0, 0x380038, v33
	v_or_b32_e32 v0, 0x64006400, v0
	v_pk_fma_f16 v15, v0, s36, v29 op_sel_hi:[1,0,1]
	v_and_b32_e32 v0, 0x70007, v27
	v_or_b32_e32 v0, 0x64006400, v0
	v_pk_add_f16 v29, v55, v0
	v_and_b32_e32 v0, 0x70007, v16
	v_or_b32_e32 v0, 0x64006400, v0
	v_pk_add_f16 v27, v54, v0
	;; [unrolled: 3-line block ×3, first 2 shown]
	v_and_b32_e32 v0, 0x70007, v33
	v_or_b32_e32 v0, 0x64006400, v0
	v_mov_b32_e32 v39, v1
	v_pk_add_f16 v16, v52, v0
	ds_read2_b32 v[0:1], v43 offset0:12 offset1:13
	s_waitcnt lgkmcnt(0)
	v_pk_fma_f16 v3, v29, v0, v3
	v_pk_fma_f16 v4, v27, v0, v4
	;; [unrolled: 1-line block ×5, first 2 shown]
	buffer_load_dword v0, off, s[40:43], 0 offset:92 ; 4-byte Folded Reload
	v_pk_fma_f16 v3, v28, v1, v3
	v_pk_fma_f16 v4, v25, v1, v4
	;; [unrolled: 1-line block ×3, first 2 shown]
	buffer_load_dword v1, off, s[40:43], 0 offset:76 ; 4-byte Folded Reload
	s_waitcnt vmcnt(1)
	v_and_b32_e32 v0, 0x20002, v0
	s_waitcnt vmcnt(0)
	v_and_or_b32 v0, v1, s34, v0
	buffer_load_dword v1, off, s[40:43], 0 offset:104 ; 4-byte Folded Reload
	s_waitcnt vmcnt(0)
	v_and_b32_e32 v1, 0x40004, v1
	v_or3_b32 v0, v0, v1, s35
	v_and_b32_e32 v1, 0x1c001c0, v31
	v_or_b32_e32 v1, 0x64006400, v1
	v_pk_add_f16 v55, v55, v0
	buffer_load_dword v0, off, s[40:43], 0 offset:88 ; 4-byte Folded Reload
	v_pk_fma_f16 v31, v1, s37, v10 op_sel_hi:[1,0,1]
	buffer_load_dword v1, off, s[40:43], 0 offset:72 ; 4-byte Folded Reload
	s_waitcnt vmcnt(1)
	v_and_b32_e32 v0, 0x20002, v0
	s_waitcnt vmcnt(0)
	v_and_or_b32 v0, v1, s34, v0
	buffer_load_dword v1, off, s[40:43], 0 offset:100 ; 4-byte Folded Reload
	s_waitcnt vmcnt(0)
	v_and_b32_e32 v1, 0x40004, v1
	v_or3_b32 v0, v0, v1, s35
	v_and_b32_e32 v1, 0x1c001c0, v45
	v_or_b32_e32 v1, 0x64006400, v1
	v_pk_add_f16 v38, v54, v0
	buffer_load_dword v0, off, s[40:43], 0 offset:84 ; 4-byte Folded Reload
	v_pk_fma_f16 v5, v1, s37, v9 op_sel_hi:[1,0,1]
	buffer_load_dword v1, off, s[40:43], 0 offset:68 ; 4-byte Folded Reload
	ds_read2_b32 v[9:10], v43 offset0:14 offset1:15
	s_waitcnt vmcnt(1)
	v_and_b32_e32 v0, 0x20002, v0
	s_waitcnt vmcnt(0)
	v_and_or_b32 v0, v1, s34, v0
	buffer_load_dword v1, off, s[40:43], 0 offset:96 ; 4-byte Folded Reload
	s_waitcnt vmcnt(0)
	v_and_b32_e32 v1, 0x40004, v1
	v_or3_b32 v0, v0, v1, s35
	v_and_b32_e32 v1, 0x1c001c0, v39
	v_or_b32_e32 v1, 0x64006400, v1
	v_pk_add_f16 v53, v53, v0
	buffer_load_dword v0, off, s[40:43], 0 offset:80 ; 4-byte Folded Reload
	v_pk_fma_f16 v54, v1, s37, v2 op_sel_hi:[1,0,1]
	buffer_load_dword v1, off, s[40:43], 0 offset:64 ; 4-byte Folded Reload
	s_waitcnt lgkmcnt(0)
	v_pk_fma_f16 v2, v31, v9, v3
	v_pk_fma_f16 v3, v5, v9, v4
	;; [unrolled: 1-line block ×6, first 2 shown]
	s_waitcnt vmcnt(1)
	v_and_b32_e32 v0, 0x20002, v0
	s_waitcnt vmcnt(0)
	v_and_or_b32 v0, v1, s34, v0
	buffer_load_dword v1, off, s[40:43], 0 offset:108 ; 4-byte Folded Reload
	s_waitcnt vmcnt(0)
	v_and_b32_e32 v1, 0x40004, v1
	v_or3_b32 v1, v0, v1, s35
	v_and_b32_e32 v0, 0x1c001c0, v46
	v_or_b32_e32 v0, 0x64006400, v0
	v_pk_fma_f16 v0, v0, s37, v32 op_sel_hi:[1,0,1]
	v_pk_add_f16 v1, v52, v1
	v_pk_fma_f16 v3, v0, v9, v40
	v_pk_fma_f16 v52, v1, v10, v3
	ds_read2_b32 v[3:4], v43 offset0:72 offset1:73
	s_waitcnt lgkmcnt(0)
	v_pk_fma_f16 v9, v7, v3, v48
	v_pk_fma_f16 v10, v35, v3, v18
	v_pk_fma_f16 v18, v58, v3, v19
	v_pk_fma_f16 v3, v34, v3, v20
	v_pk_fma_f16 v9, v8, v4, v9
	v_pk_fma_f16 v10, v17, v4, v10
	v_pk_fma_f16 v18, v59, v4, v18
	v_pk_fma_f16 v19, v36, v4, v3
	ds_read2_b32 v[3:4], v43 offset0:74 offset1:75
	s_waitcnt lgkmcnt(0)
	v_pk_fma_f16 v9, v23, v3, v9
	v_pk_fma_f16 v10, v21, v3, v10
	v_pk_fma_f16 v18, v60, v3, v18
	v_pk_fma_f16 v3, v26, v3, v19
	v_pk_fma_f16 v9, v24, v4, v9
	v_pk_fma_f16 v10, v22, v4, v10
	;; [unrolled: 10-line block ×12, first 2 shown]
	v_pk_fma_f16 v42, v1, v4, v3
	v_mov_b32_e32 v3, s6
	v_pk_fma_f16 v20, v53, v4, v9
	ds_read2_b32 v[3:4], v3 offset1:1
	s_add_i32 s6, s29, 0x428
	s_waitcnt lgkmcnt(0)
	v_pk_fma_f16 v6, v7, v3, v37
	v_pk_fma_f16 v9, v35, v3, v13
	;; [unrolled: 1-line block ×5, first 2 shown]
	v_mov_b32_e32 v3, s6
	v_pk_fma_f16 v6, v8, v4, v6
	v_pk_fma_f16 v9, v17, v4, v9
	;; [unrolled: 1-line block ×3, first 2 shown]
	ds_read2_b32 v[3:4], v3 offset1:1
	s_add_i32 s6, s29, 0x430
	buffer_load_dword v14, off, s[40:43], 0 offset:184 ; 4-byte Folded Reload
	s_waitcnt lgkmcnt(0)
	v_pk_fma_f16 v6, v23, v3, v6
	v_pk_fma_f16 v9, v21, v3, v9
	;; [unrolled: 1-line block ×5, first 2 shown]
	v_mov_b32_e32 v3, s6
	v_pk_fma_f16 v6, v24, v4, v6
	v_pk_fma_f16 v9, v22, v4, v9
	;; [unrolled: 1-line block ×3, first 2 shown]
	ds_read2_b32 v[3:4], v3 offset1:1
	s_add_i32 s6, s29, 0x438
	s_waitcnt lgkmcnt(0)
	v_pk_fma_f16 v9, v27, v3, v9
	v_pk_fma_f16 v6, v29, v3, v6
	;; [unrolled: 1-line block ×6, first 2 shown]
	v_mov_b32_e32 v3, s6
	v_pk_fma_f16 v13, v63, v4, v9
	ds_read2_b32 v[9:10], v3 offset1:1
	v_pk_fma_f16 v6, v28, v4, v6
	s_add_i32 s6, s29, 0x520
	s_waitcnt lgkmcnt(0)
	v_pk_fma_f16 v3, v31, v9, v6
	v_pk_fma_f16 v4, v5, v9, v12
	;; [unrolled: 1-line block ×4, first 2 shown]
	buffer_load_dword v11, off, s[40:43], 0 offset:160 ; 4-byte Folded Reload
	buffer_load_dword v12, off, s[40:43], 0 offset:168 ; 4-byte Folded Reload
	;; [unrolled: 1-line block ×3, first 2 shown]
	v_pk_fma_f16 v37, v1, v10, v9
	v_mov_b32_e32 v9, s6
	v_pk_fma_f16 v3, v55, v10, v3
	v_pk_fma_f16 v4, v38, v10, v4
	;; [unrolled: 1-line block ×3, first 2 shown]
	ds_read2_b32 v[9:10], v9 offset1:1
	s_add_i32 s6, s29, 0x528
	s_waitcnt vmcnt(2) lgkmcnt(0)
	v_pk_fma_f16 v11, v7, v9, v11
	s_waitcnt vmcnt(1)
	v_pk_fma_f16 v12, v35, v9, v12
	s_waitcnt vmcnt(0)
	v_pk_fma_f16 v13, v58, v9, v13
	v_pk_fma_f16 v9, v34, v9, v14
	v_pk_fma_f16 v14, v36, v10, v9
	v_mov_b32_e32 v9, s6
	v_pk_fma_f16 v11, v8, v10, v11
	v_pk_fma_f16 v12, v17, v10, v12
	v_pk_fma_f16 v13, v59, v10, v13
	ds_read2_b32 v[9:10], v9 offset1:1
	s_add_i32 s6, s29, 0x530
	s_waitcnt lgkmcnt(0)
	v_pk_fma_f16 v11, v23, v9, v11
	v_pk_fma_f16 v12, v21, v9, v12
	v_pk_fma_f16 v13, v60, v9, v13
	v_pk_fma_f16 v9, v26, v9, v14
	v_pk_fma_f16 v14, v30, v10, v9
	v_mov_b32_e32 v9, s6
	v_pk_fma_f16 v11, v24, v10, v11
	v_pk_fma_f16 v12, v22, v10, v12
	v_pk_fma_f16 v13, v61, v10, v13
	ds_read2_b32 v[9:10], v9 offset1:1
	s_add_i32 s6, s29, 0x538
	s_waitcnt lgkmcnt(0)
	v_pk_fma_f16 v11, v29, v9, v11
	v_pk_fma_f16 v12, v27, v9, v12
	;; [unrolled: 12-line block ×3, first 2 shown]
	v_pk_fma_f16 v11, v5, v9, v12
	v_pk_fma_f16 v47, v38, v10, v11
	;; [unrolled: 1-line block ×5, first 2 shown]
	v_mov_b32_e32 v9, s6
	ds_read2_b32 v[13:14], v9 offset1:1
	s_add_i32 s6, s29, 0x628
	v_pk_fma_f16 v43, v53, v10, v11
	s_waitcnt lgkmcnt(0)
	v_pk_fma_f16 v7, v7, v13, v49
	v_pk_fma_f16 v7, v8, v14, v7
	v_mov_b32_e32 v8, s6
	ds_read2_b32 v[11:12], v8 offset1:1
	s_add_i32 s6, s29, 0x630
	v_mov_b32_e32 v8, s6
	ds_read2_b32 v[9:10], v8 offset1:1
	s_add_i32 s6, s29, 0x638
	s_waitcnt lgkmcnt(1)
	v_pk_fma_f16 v7, v23, v11, v7
	v_pk_fma_f16 v7, v24, v12, v7
	;; [unrolled: 1-line block ×3, first 2 shown]
	s_waitcnt lgkmcnt(0)
	v_pk_fma_f16 v7, v29, v9, v7
	v_pk_fma_f16 v23, v28, v10, v7
	v_mov_b32_e32 v7, s6
	ds_read2_b32 v[7:8], v7 offset1:1
	v_pk_fma_f16 v17, v17, v14, v24
	v_pk_fma_f16 v17, v21, v11, v17
	v_pk_fma_f16 v17, v22, v12, v17
	v_pk_fma_f16 v17, v27, v9, v17
	v_pk_fma_f16 v17, v25, v10, v17
	s_waitcnt lgkmcnt(0)
	v_pk_fma_f16 v5, v5, v7, v17
	v_pk_fma_f16 v5, v38, v8, v5
	v_pack_b32_f16 v17, v2, v39
	v_perm_b32 v2, v39, v2, s38
	buffer_load_dword v28, off, s[40:43], 0 offset:52 ; 4-byte Folded Reload
	buffer_load_dword v38, off, s[40:43], 0 offset:212 ; 4-byte Folded Reload
	;; [unrolled: 1-line block ×8, first 2 shown]
	v_pk_add_f16 v2, v17, v2
	v_perm_b32 v17, v45, v40, s38
	v_pk_fma_f16 v23, v31, v7, v23
	v_pk_fma_f16 v23, v55, v8, v23
	s_add_i32 s29, s29, 64
	s_cmp_ge_i32 s25, s26
	s_waitcnt vmcnt(6)
	v_pk_fma_f16 v28, v2, v38, v28
	v_pack_b32_f16 v2, v40, v45
	v_pk_add_f16 v2, v2, v17
	s_waitcnt vmcnt(4)
	v_pk_fma_f16 v27, v2, v38, v27
	v_pack_b32_f16 v2, v50, v51
	v_perm_b32 v17, v51, v50, s38
	v_pk_add_f16 v2, v2, v17
	s_waitcnt vmcnt(3)
	v_pk_fma_f16 v25, v2, v38, v25
	v_pack_b32_f16 v2, v56, v57
	v_perm_b32 v17, v57, v56, s38
	v_pk_add_f16 v2, v2, v17
	buffer_load_dword v17, off, s[40:43], 0 offset:4 ; 4-byte Folded Reload
	s_waitcnt vmcnt(3)
	v_pk_fma_f16 v24, v2, v38, v24
	v_pack_b32_f16 v2, v3, v4
	v_perm_b32 v3, v4, v3, s38
	v_pk_add_f16 v2, v2, v3
	s_waitcnt vmcnt(2)
	v_pk_fma_f16 v22, v2, v38, v22
	v_pack_b32_f16 v2, v46, v47
	v_perm_b32 v3, v47, v46, s38
	v_pk_add_f16 v2, v2, v3
	;; [unrolled: 5-line block ×3, first 2 shown]
	buffer_load_dword v3, off, s[40:43], 0 offset:192 ; 4-byte Folded Reload
	s_waitcnt vmcnt(1)
	v_pk_fma_f16 v17, v2, v38, v17
	buffer_load_dword v2, off, s[40:43], 0 offset:196 ; 4-byte Folded Reload
	s_waitcnt vmcnt(1)
	v_pk_fma_f16 v3, v34, v13, v3
	v_pk_fma_f16 v3, v36, v14, v3
	v_pk_fma_f16 v3, v26, v11, v3
	v_pk_fma_f16 v3, v30, v12, v3
	v_pk_fma_f16 v3, v16, v9, v3
	v_pk_fma_f16 v3, v15, v10, v3
	v_pk_fma_f16 v0, v0, v7, v3
	v_pk_fma_f16 v0, v1, v8, v0
	v_pack_b32_f16 v1, v33, v52
	v_perm_b32 v3, v52, v33, s38
	v_pk_add_f16 v1, v1, v3
	v_perm_b32 v3, v48, v32, s38
	s_waitcnt vmcnt(0)
	v_pk_fma_f16 v2, v58, v13, v2
	v_pk_fma_f16 v2, v59, v14, v2
	buffer_load_dword v14, off, s[40:43], 0 offset:56 ; 4-byte Folded Reload
	buffer_load_dword v15, off, s[40:43], 0 offset:60 ; 4-byte Folded Reload
	;; [unrolled: 1-line block ×3, first 2 shown]
	v_pk_fma_f16 v2, v60, v11, v2
	v_pk_fma_f16 v2, v61, v12, v2
	buffer_load_dword v12, off, s[40:43], 0 offset:40 ; 4-byte Folded Reload
	buffer_load_dword v11, off, s[40:43], 0 offset:32 ; 4-byte Folded Reload
	v_pk_fma_f16 v2, v62, v9, v2
	v_pk_fma_f16 v2, v63, v10, v2
	buffer_load_dword v10, off, s[40:43], 0 offset:24 ; 4-byte Folded Reload
	buffer_load_dword v9, off, s[40:43], 0 offset:16 ; 4-byte Folded Reload
	v_pk_fma_f16 v2, v54, v7, v2
	v_pk_fma_f16 v2, v53, v8, v2
	buffer_load_dword v8, off, s[40:43], 0 offset:8 ; 4-byte Folded Reload
	buffer_load_dword v7, off, s[40:43], 0  ; 4-byte Folded Reload
	s_waitcnt vmcnt(8)
	v_add_co_u32_e64 v14, s[6:7], s33, v14
	s_waitcnt vmcnt(6)
	v_pk_fma_f16 v13, v1, v39, v13
	v_pack_b32_f16 v1, v32, v48
	v_pk_add_f16 v1, v1, v3
	s_waitcnt vmcnt(5)
	v_pk_fma_f16 v12, v1, v39, v12
	v_pack_b32_f16 v1, v18, v19
	v_perm_b32 v3, v19, v18, s38
	v_pk_add_f16 v1, v1, v3
	s_waitcnt vmcnt(4)
	v_pk_fma_f16 v11, v1, v39, v11
	v_pack_b32_f16 v1, v20, v42
	v_perm_b32 v3, v42, v20, s38
	;; [unrolled: 5-line block ×5, first 2 shown]
	v_pk_add_f16 v0, v1, v0
	s_waitcnt vmcnt(0)
	v_pk_fma_f16 v7, v0, v39, v7
	v_mov_b32_e32 v0, s31
	v_addc_co_u32_e64 v15, s[6:7], v15, v0, s[6:7]
	s_cbranch_scc1 .LBB40_54
.LBB40_37:                              ; =>This Inner Loop Header: Depth=1
	s_cmp_lg_u32 s25, s30
	s_cbranch_scc1 .LBB40_36
; %bb.38:                               ;   in Loop: Header=BB40_37 Depth=1
	buffer_load_dword v0, off, s[40:43], 0 offset:248 ; 4-byte Folded Reload
	buffer_load_dword v1, off, s[40:43], 0 offset:252 ; 4-byte Folded Reload
	s_add_i32 s28, s28, 1
	s_mul_i32 s39, s28, s16
	s_ashr_i32 s6, s39, 31
	s_lshr_b32 s6, s6, 27
	s_add_i32 s6, s39, s6
	s_ashr_i32 s6, s6, 5
	v_mov_b32_e32 v2, s11
	s_waitcnt vmcnt(0)
	v_mad_u64_u32 v[0:1], s[6:7], s6, 3, v[0:1]
	v_ashrrev_i32_e32 v1, 31, v0
	v_lshlrev_b64 v[0:1], 2, v[0:1]
	v_add_co_u32_e64 v5, s[6:7], s10, v0
	v_addc_co_u32_e64 v6, s[6:7], v2, v1, s[6:7]
	global_load_dword v1, v[5:6], off
                                        ; implicit-def: $vgpr0
	s_and_saveexec_b64 s[6:7], vcc
	s_xor_b64 s[6:7], exec, s[6:7]
	s_cbranch_execz .LBB40_52
; %bb.39:                               ;   in Loop: Header=BB40_37 Depth=1
                                        ; implicit-def: $vgpr0
	s_and_saveexec_b64 s[18:19], s[0:1]
	s_xor_b64 s[18:19], exec, s[18:19]
	s_cbranch_execz .LBB40_49
; %bb.40:                               ;   in Loop: Header=BB40_37 Depth=1
                                        ; implicit-def: $vgpr0
	s_and_saveexec_b64 s[20:21], s[2:3]
	;; [unrolled: 5-line block ×3, first 2 shown]
	s_xor_b64 s[22:23], exec, s[22:23]
	s_cbranch_execz .LBB40_43
; %bb.42:                               ;   in Loop: Header=BB40_37 Depth=1
	buffer_load_dword v0, off, s[40:43], 0 offset:264 ; 4-byte Folded Reload
                                        ; implicit-def: $vgpr5_vgpr6
	s_waitcnt vmcnt(0)
	v_lshrrev_b32_e32 v0, v0, v1
                                        ; implicit-def: $vgpr1
.LBB40_43:                              ;   in Loop: Header=BB40_37 Depth=1
	s_andn2_saveexec_b64 s[22:23], s[22:23]
	s_cbranch_execz .LBB40_45
; %bb.44:                               ;   in Loop: Header=BB40_37 Depth=1
	global_load_dword v0, v[5:6], off offset:4
	s_waitcnt vmcnt(0)
	v_alignbit_b32 v0, v0, v1, 28
	v_and_b32_e32 v0, 0xfff, v0
.LBB40_45:                              ;   in Loop: Header=BB40_37 Depth=1
	s_or_b64 exec, exec, s[22:23]
                                        ; implicit-def: $vgpr1
.LBB40_46:                              ;   in Loop: Header=BB40_37 Depth=1
	s_andn2_saveexec_b64 s[20:21], s[20:21]
	s_cbranch_execz .LBB40_48
; %bb.47:                               ;   in Loop: Header=BB40_37 Depth=1
	buffer_load_dword v0, off, s[40:43], 0 offset:260 ; 4-byte Folded Reload
	s_waitcnt vmcnt(0)
	v_lshrrev_b32_e32 v0, v0, v1
.LBB40_48:                              ;   in Loop: Header=BB40_37 Depth=1
	s_or_b64 exec, exec, s[20:21]
                                        ; implicit-def: $vgpr5_vgpr6
                                        ; implicit-def: $vgpr1
.LBB40_49:                              ;   in Loop: Header=BB40_37 Depth=1
	s_andn2_saveexec_b64 s[18:19], s[18:19]
	s_cbranch_execz .LBB40_51
; %bb.50:                               ;   in Loop: Header=BB40_37 Depth=1
	global_load_dword v0, v[5:6], off offset:4
	s_waitcnt vmcnt(0)
	v_perm_b32 v0, v1, v0, s17
	v_and_b32_e32 v0, 0xfff, v0
.LBB40_51:                              ;   in Loop: Header=BB40_37 Depth=1
	s_or_b64 exec, exec, s[18:19]
                                        ; implicit-def: $vgpr1
.LBB40_52:                              ;   in Loop: Header=BB40_37 Depth=1
	s_andn2_saveexec_b64 s[6:7], s[6:7]
	s_cbranch_execz .LBB40_35
; %bb.53:                               ;   in Loop: Header=BB40_37 Depth=1
	buffer_load_dword v0, off, s[40:43], 0 offset:256 ; 4-byte Folded Reload
	s_waitcnt vmcnt(0)
	v_lshrrev_b32_e32 v0, v0, v1
	s_branch .LBB40_35
.LBB40_54:
	buffer_load_dword v0, off, s[40:43], 0 offset:240 ; 4-byte Folded Reload
	buffer_load_dword v1, off, s[40:43], 0 offset:244 ; 4-byte Folded Reload
	s_mul_i32 s24, s24, s16
	v_mov_b32_e32 v3, s15
	s_mov_b64 s[0:1], 0
	s_waitcnt vmcnt(1)
	v_add_u32_e32 v0, s24, v0
	s_waitcnt vmcnt(0)
	v_ashrrev_i32_e32 v1, 31, v0
	v_lshlrev_b64 v[1:2], 1, v[0:1]
	v_add_co_u32_e32 v1, vcc, s14, v1
	v_addc_co_u32_e32 v2, vcc, v3, v2, vcc
	global_load_dword v4, v[1:2], off
.LBB40_55:                              ; =>This Inner Loop Header: Depth=1
	s_waitcnt vmcnt(0)
	v_pk_add_f16 v3, v28, v4
	global_atomic_cmpswap v3, v[1:2], v[3:4], off glc
	s_waitcnt vmcnt(0)
	v_cmp_eq_u32_e32 vcc, v4, v3
	s_or_b64 s[0:1], vcc, s[0:1]
	v_mov_b32_e32 v4, v3
	s_andn2_b64 exec, exec, s[0:1]
	s_cbranch_execnz .LBB40_55
; %bb.56:
	s_or_b64 exec, exec, s[0:1]
	global_load_dword v4, v[1:2], off offset:4
	s_mov_b64 s[0:1], 0
.LBB40_57:                              ; =>This Inner Loop Header: Depth=1
	s_waitcnt vmcnt(0)
	v_pk_add_f16 v3, v13, v4
	global_atomic_cmpswap v3, v[1:2], v[3:4], off offset:4 glc
	s_waitcnt vmcnt(0)
	v_cmp_eq_u32_e32 vcc, v4, v3
	s_or_b64 s[0:1], vcc, s[0:1]
	v_mov_b32_e32 v4, v3
	s_andn2_b64 exec, exec, s[0:1]
	s_cbranch_execnz .LBB40_57
; %bb.58:
	s_or_b64 exec, exec, s[0:1]
	v_add_u32_e32 v0, s16, v0
	v_ashrrev_i32_e32 v1, 31, v0
	v_lshlrev_b64 v[1:2], 1, v[0:1]
	v_mov_b32_e32 v3, s15
	v_add_co_u32_e32 v1, vcc, s14, v1
	v_addc_co_u32_e32 v2, vcc, v3, v2, vcc
	global_load_dword v4, v[1:2], off
	s_mov_b64 s[0:1], 0
.LBB40_59:                              ; =>This Inner Loop Header: Depth=1
	s_waitcnt vmcnt(0)
	v_pk_add_f16 v3, v27, v4
	global_atomic_cmpswap v3, v[1:2], v[3:4], off glc
	s_waitcnt vmcnt(0)
	v_cmp_eq_u32_e32 vcc, v4, v3
	s_or_b64 s[0:1], vcc, s[0:1]
	v_mov_b32_e32 v4, v3
	s_andn2_b64 exec, exec, s[0:1]
	s_cbranch_execnz .LBB40_59
; %bb.60:
	s_or_b64 exec, exec, s[0:1]
	global_load_dword v4, v[1:2], off offset:4
	s_mov_b64 s[0:1], 0
.LBB40_61:                              ; =>This Inner Loop Header: Depth=1
	s_waitcnt vmcnt(0)
	v_pk_add_f16 v3, v12, v4
	global_atomic_cmpswap v3, v[1:2], v[3:4], off offset:4 glc
	s_waitcnt vmcnt(0)
	v_cmp_eq_u32_e32 vcc, v4, v3
	s_or_b64 s[0:1], vcc, s[0:1]
	v_mov_b32_e32 v4, v3
	s_andn2_b64 exec, exec, s[0:1]
	s_cbranch_execnz .LBB40_61
; %bb.62:
	s_or_b64 exec, exec, s[0:1]
	v_add_u32_e32 v0, s16, v0
	v_ashrrev_i32_e32 v1, 31, v0
	v_lshlrev_b64 v[1:2], 1, v[0:1]
	v_mov_b32_e32 v3, s15
	v_add_co_u32_e32 v1, vcc, s14, v1
	v_addc_co_u32_e32 v2, vcc, v3, v2, vcc
	global_load_dword v4, v[1:2], off
	s_mov_b64 s[0:1], 0
	;; [unrolled: 34-line block ×6, first 2 shown]
.LBB40_79:                              ; =>This Inner Loop Header: Depth=1
	s_waitcnt vmcnt(0)
	v_pk_add_f16 v2, v17, v3
	global_atomic_cmpswap v2, v[0:1], v[2:3], off glc
	s_waitcnt vmcnt(0)
	v_cmp_eq_u32_e32 vcc, v3, v2
	s_or_b64 s[0:1], vcc, s[0:1]
	v_mov_b32_e32 v3, v2
	s_andn2_b64 exec, exec, s[0:1]
	s_cbranch_execnz .LBB40_79
; %bb.80:
	s_or_b64 exec, exec, s[0:1]
	global_load_dword v3, v[0:1], off offset:4
	s_mov_b64 s[0:1], 0
.LBB40_81:                              ; =>This Inner Loop Header: Depth=1
	s_waitcnt vmcnt(0)
	v_pk_add_f16 v2, v7, v3
	global_atomic_cmpswap v2, v[0:1], v[2:3], off offset:4 glc
	s_waitcnt vmcnt(0)
	v_cmp_eq_u32_e32 vcc, v3, v2
	s_or_b64 s[0:1], vcc, s[0:1]
	v_mov_b32_e32 v3, v2
	s_andn2_b64 exec, exec, s[0:1]
	s_cbranch_execnz .LBB40_81
.LBB40_82:
	s_endpgm
	.section	.rodata,"a",@progbits
	.p2align	6, 0x0
	.amdhsa_kernel _ZN4vllm4gptq33gemm_half_q_half_gptq_3bit_kernelILb1ELi7EEEvPK6__halfPKjS6_S4_PS2_iiiibPKi
		.amdhsa_group_segment_fixed_size 1792
		.amdhsa_private_segment_fixed_size 272
		.amdhsa_kernarg_size 72
		.amdhsa_user_sgpr_count 6
		.amdhsa_user_sgpr_private_segment_buffer 1
		.amdhsa_user_sgpr_dispatch_ptr 0
		.amdhsa_user_sgpr_queue_ptr 0
		.amdhsa_user_sgpr_kernarg_segment_ptr 1
		.amdhsa_user_sgpr_dispatch_id 0
		.amdhsa_user_sgpr_flat_scratch_init 0
		.amdhsa_user_sgpr_private_segment_size 0
		.amdhsa_uses_dynamic_stack 0
		.amdhsa_system_sgpr_private_segment_wavefront_offset 1
		.amdhsa_system_sgpr_workgroup_id_x 1
		.amdhsa_system_sgpr_workgroup_id_y 1
		.amdhsa_system_sgpr_workgroup_id_z 1
		.amdhsa_system_sgpr_workgroup_info 0
		.amdhsa_system_vgpr_workitem_id 0
		.amdhsa_next_free_vgpr 64
		.amdhsa_next_free_sgpr 61
		.amdhsa_reserve_vcc 1
		.amdhsa_reserve_flat_scratch 0
		.amdhsa_float_round_mode_32 0
		.amdhsa_float_round_mode_16_64 0
		.amdhsa_float_denorm_mode_32 3
		.amdhsa_float_denorm_mode_16_64 3
		.amdhsa_dx10_clamp 1
		.amdhsa_ieee_mode 1
		.amdhsa_fp16_overflow 0
		.amdhsa_exception_fp_ieee_invalid_op 0
		.amdhsa_exception_fp_denorm_src 0
		.amdhsa_exception_fp_ieee_div_zero 0
		.amdhsa_exception_fp_ieee_overflow 0
		.amdhsa_exception_fp_ieee_underflow 0
		.amdhsa_exception_fp_ieee_inexact 0
		.amdhsa_exception_int_div_zero 0
	.end_amdhsa_kernel
	.section	.text._ZN4vllm4gptq33gemm_half_q_half_gptq_3bit_kernelILb1ELi7EEEvPK6__halfPKjS6_S4_PS2_iiiibPKi,"axG",@progbits,_ZN4vllm4gptq33gemm_half_q_half_gptq_3bit_kernelILb1ELi7EEEvPK6__halfPKjS6_S4_PS2_iiiibPKi,comdat
.Lfunc_end40:
	.size	_ZN4vllm4gptq33gemm_half_q_half_gptq_3bit_kernelILb1ELi7EEEvPK6__halfPKjS6_S4_PS2_iiiibPKi, .Lfunc_end40-_ZN4vllm4gptq33gemm_half_q_half_gptq_3bit_kernelILb1ELi7EEEvPK6__halfPKjS6_S4_PS2_iiiibPKi
                                        ; -- End function
	.set _ZN4vllm4gptq33gemm_half_q_half_gptq_3bit_kernelILb1ELi7EEEvPK6__halfPKjS6_S4_PS2_iiiibPKi.num_vgpr, 64
	.set _ZN4vllm4gptq33gemm_half_q_half_gptq_3bit_kernelILb1ELi7EEEvPK6__halfPKjS6_S4_PS2_iiiibPKi.num_agpr, 0
	.set _ZN4vllm4gptq33gemm_half_q_half_gptq_3bit_kernelILb1ELi7EEEvPK6__halfPKjS6_S4_PS2_iiiibPKi.numbered_sgpr, 44
	.set _ZN4vllm4gptq33gemm_half_q_half_gptq_3bit_kernelILb1ELi7EEEvPK6__halfPKjS6_S4_PS2_iiiibPKi.num_named_barrier, 0
	.set _ZN4vllm4gptq33gemm_half_q_half_gptq_3bit_kernelILb1ELi7EEEvPK6__halfPKjS6_S4_PS2_iiiibPKi.private_seg_size, 272
	.set _ZN4vllm4gptq33gemm_half_q_half_gptq_3bit_kernelILb1ELi7EEEvPK6__halfPKjS6_S4_PS2_iiiibPKi.uses_vcc, 1
	.set _ZN4vllm4gptq33gemm_half_q_half_gptq_3bit_kernelILb1ELi7EEEvPK6__halfPKjS6_S4_PS2_iiiibPKi.uses_flat_scratch, 0
	.set _ZN4vllm4gptq33gemm_half_q_half_gptq_3bit_kernelILb1ELi7EEEvPK6__halfPKjS6_S4_PS2_iiiibPKi.has_dyn_sized_stack, 0
	.set _ZN4vllm4gptq33gemm_half_q_half_gptq_3bit_kernelILb1ELi7EEEvPK6__halfPKjS6_S4_PS2_iiiibPKi.has_recursion, 0
	.set _ZN4vllm4gptq33gemm_half_q_half_gptq_3bit_kernelILb1ELi7EEEvPK6__halfPKjS6_S4_PS2_iiiibPKi.has_indirect_call, 0
	.section	.AMDGPU.csdata,"",@progbits
; Kernel info:
; codeLenInByte = 12140
; TotalNumSgprs: 48
; NumVgprs: 64
; ScratchSize: 272
; MemoryBound: 0
; FloatMode: 240
; IeeeMode: 1
; LDSByteSize: 1792 bytes/workgroup (compile time only)
; SGPRBlocks: 8
; VGPRBlocks: 15
; NumSGPRsForWavesPerEU: 65
; NumVGPRsForWavesPerEU: 64
; Occupancy: 4
; WaveLimiterHint : 0
; COMPUTE_PGM_RSRC2:SCRATCH_EN: 1
; COMPUTE_PGM_RSRC2:USER_SGPR: 6
; COMPUTE_PGM_RSRC2:TRAP_HANDLER: 0
; COMPUTE_PGM_RSRC2:TGID_X_EN: 1
; COMPUTE_PGM_RSRC2:TGID_Y_EN: 1
; COMPUTE_PGM_RSRC2:TGID_Z_EN: 1
; COMPUTE_PGM_RSRC2:TIDIG_COMP_CNT: 0
	.section	.text._ZN4vllm4gptq33gemm_half_q_half_gptq_4bit_kernelILb1ELi7EEEvPK6__halfPKjS6_S4_PS2_iiiibPKi,"axG",@progbits,_ZN4vllm4gptq33gemm_half_q_half_gptq_4bit_kernelILb1ELi7EEEvPK6__halfPKjS6_S4_PS2_iiiibPKi,comdat
	.protected	_ZN4vllm4gptq33gemm_half_q_half_gptq_4bit_kernelILb1ELi7EEEvPK6__halfPKjS6_S4_PS2_iiiibPKi ; -- Begin function _ZN4vllm4gptq33gemm_half_q_half_gptq_4bit_kernelILb1ELi7EEEvPK6__halfPKjS6_S4_PS2_iiiibPKi
	.globl	_ZN4vllm4gptq33gemm_half_q_half_gptq_4bit_kernelILb1ELi7EEEvPK6__halfPKjS6_S4_PS2_iiiibPKi
	.p2align	8
	.type	_ZN4vllm4gptq33gemm_half_q_half_gptq_4bit_kernelILb1ELi7EEEvPK6__halfPKjS6_S4_PS2_iiiibPKi,@function
_ZN4vllm4gptq33gemm_half_q_half_gptq_4bit_kernelILb1ELi7EEEvPK6__halfPKjS6_S4_PS2_iiiibPKi: ; @_ZN4vllm4gptq33gemm_half_q_half_gptq_4bit_kernelILb1ELi7EEEvPK6__halfPKjS6_S4_PS2_iiiibPKi
; %bb.0:
	s_mov_b64 s[30:31], s[2:3]
	s_load_dwordx4 s[16:19], s[4:5], 0x2c
	s_mov_b64 s[28:29], s[0:1]
	s_add_u32 s28, s28, s9
	s_addc_u32 s29, s29, 0
	s_lshl_b32 s24, s8, 7
	s_add_i32 s0, s24, 0x80
	v_cvt_f64_u32_e32 v[1:2], s0
	s_waitcnt lgkmcnt(0)
	v_cvt_f64_i32_e32 v[3:4], s17
	s_load_dwordx8 s[8:15], s[4:5], 0x8
	s_mul_i32 s7, s7, 7
	v_min_f64 v[1:2], v[1:2], v[3:4]
	v_cvt_i32_f64_e32 v2, v[1:2]
	v_add_u32_e32 v1, s24, v0
	v_readfirstlane_b32 s25, v2
	v_cmp_lt_u32_e32 vcc, v1, v2
	s_and_saveexec_b64 s[2:3], vcc
	s_cbranch_execz .LBB41_16
; %bb.1:
	s_load_dwordx2 s[0:1], s[4:5], 0x40
	s_load_dwordx2 s[20:21], s[4:5], 0x0
	v_mov_b32_e32 v2, 0
	v_lshlrev_b64 v[3:4], 2, v[1:2]
	s_waitcnt lgkmcnt(0)
	v_mov_b32_e32 v5, s1
	v_add_co_u32_e32 v3, vcc, s0, v3
	s_cmp_lg_u64 s[0:1], 0
	v_addc_co_u32_e32 v4, vcc, v5, v4, vcc
	v_mov_b32_e32 v6, v2
	s_cselect_b64 s[4:5], -1, 0
	s_cmp_eq_u64 s[0:1], 0
	v_mov_b32_e32 v5, v1
	s_cbranch_scc1 .LBB41_3
; %bb.2:
	global_load_dword v5, v[3:4], off
	s_waitcnt vmcnt(0)
	v_ashrrev_i32_e32 v6, 31, v5
.LBB41_3:
	s_mul_i32 s22, s7, s17
	s_ashr_i32 s23, s22, 31
	s_lshl_b64 s[0:1], s[22:23], 1
	s_add_u32 s0, s20, s0
	v_lshlrev_b64 v[5:6], 1, v[5:6]
	s_addc_u32 s1, s21, s1
	v_mov_b32_e32 v7, s1
	v_add_co_u32_e32 v5, vcc, s0, v5
	v_addc_co_u32_e32 v6, vcc, v7, v6, vcc
	global_load_ushort v5, v[5:6], off
	v_lshlrev_b32_e32 v7, 1, v0
	v_cndmask_b32_e64 v6, 0, 1, s[4:5]
	v_cmp_ne_u32_e64 s[0:1], 1, v6
	s_andn2_b64 vcc, exec, s[4:5]
	s_waitcnt vmcnt(0)
	ds_write_b16 v7, v5
	v_mov_b32_e32 v6, v2
	v_mov_b32_e32 v5, v1
	s_cbranch_vccnz .LBB41_5
; %bb.4:
	global_load_dword v5, v[3:4], off
	s_waitcnt vmcnt(0)
	v_ashrrev_i32_e32 v6, 31, v5
.LBB41_5:
	s_add_i32 s4, s22, s17
	s_ashr_i32 s5, s4, 31
	s_lshl_b64 s[22:23], s[4:5], 1
	s_add_u32 s5, s20, s22
	v_lshlrev_b64 v[5:6], 1, v[5:6]
	s_addc_u32 s22, s21, s23
	v_mov_b32_e32 v8, s22
	v_add_co_u32_e32 v5, vcc, s5, v5
	v_addc_co_u32_e32 v6, vcc, v8, v6, vcc
	global_load_ushort v5, v[5:6], off
	s_and_b64 vcc, exec, s[0:1]
	s_waitcnt vmcnt(0)
	ds_write_b16 v7, v5 offset:256
	v_mov_b32_e32 v6, v2
	v_mov_b32_e32 v5, v1
	s_cbranch_vccnz .LBB41_7
; %bb.6:
	global_load_dword v5, v[3:4], off
	s_waitcnt vmcnt(0)
	v_ashrrev_i32_e32 v6, 31, v5
.LBB41_7:
	s_add_i32 s4, s4, s17
	s_ashr_i32 s5, s4, 31
	s_lshl_b64 s[22:23], s[4:5], 1
	s_add_u32 s5, s20, s22
	v_lshlrev_b64 v[5:6], 1, v[5:6]
	s_addc_u32 s22, s21, s23
	v_mov_b32_e32 v8, s22
	v_add_co_u32_e32 v5, vcc, s5, v5
	v_addc_co_u32_e32 v6, vcc, v8, v6, vcc
	global_load_ushort v5, v[5:6], off
	s_and_b64 vcc, exec, s[0:1]
	s_waitcnt vmcnt(0)
	ds_write_b16 v7, v5 offset:512
	;; [unrolled: 21-line block ×5, first 2 shown]
	s_cbranch_vccnz .LBB41_15
; %bb.14:
	global_load_dword v1, v[3:4], off
	s_waitcnt vmcnt(0)
	v_ashrrev_i32_e32 v2, 31, v1
.LBB41_15:
	s_add_i32 s0, s4, s17
	s_ashr_i32 s1, s0, 31
	s_lshl_b64 s[0:1], s[0:1], 1
	s_add_u32 s0, s20, s0
	v_lshlrev_b64 v[1:2], 1, v[1:2]
	s_addc_u32 s1, s21, s1
	v_mov_b32_e32 v3, s1
	v_add_co_u32_e32 v1, vcc, s0, v1
	v_addc_co_u32_e32 v2, vcc, v3, v2, vcc
	global_load_ushort v1, v[1:2], off
	s_waitcnt vmcnt(0)
	ds_write_b16 v7, v1 offset:1536
.LBB41_16:
	s_or_b64 exec, exec, s[2:3]
	v_lshlrev_b32_e32 v1, 2, v0
	v_lshl_add_u32 v2, s6, 9, v1
	v_mov_b32_e32 v1, v2
	buffer_store_dword v1, off, s[28:31], 0 offset:20 ; 4-byte Folded Spill
	s_nop 0
	buffer_store_dword v2, off, s[28:31], 0 offset:24 ; 4-byte Folded Spill
	v_cmp_gt_i32_e32 vcc, s16, v2
	s_and_saveexec_b64 s[0:1], vcc
	s_cbranch_execz .LBB41_51
; %bb.17:
	s_abs_i32 s0, s18
	v_cvt_f32_u32_e32 v1, s0
	v_mov_b32_e32 v5, 0
	v_mov_b32_e32 v6, 0
	;; [unrolled: 1-line block ×3, first 2 shown]
	v_rcp_iflag_f32_e32 v1, v1
	v_mov_b32_e32 v8, 0
	v_mov_b32_e32 v9, 0
	s_cmp_ge_i32 s24, s25
	v_mul_f32_e32 v1, 0x4f7ffffe, v1
	v_cvt_u32_f32_e32 v1, v1
	v_mov_b32_e32 v10, 0
	v_mov_b32_e32 v11, 0
	;; [unrolled: 1-line block ×3, first 2 shown]
	v_readfirstlane_b32 s1, v1
	v_mov_b32_e32 v13, 0
	v_mov_b32_e32 v14, 0
	;; [unrolled: 1-line block ×20, first 2 shown]
	s_waitcnt vmcnt(0) lgkmcnt(0)
	s_barrier
	s_cbranch_scc1 .LBB41_23
; %bb.18:
	buffer_load_dword v6, off, s[28:31], 0 offset:20 ; 4-byte Folded Reload
	buffer_load_dword v7, off, s[28:31], 0 offset:24 ; 4-byte Folded Reload
	s_sub_i32 s5, 0, s0
	s_mul_i32 s5, s5, s1
	s_mul_hi_u32 s5, s1, s5
	s_abs_i32 s4, s17
	s_add_i32 s1, s1, s5
	s_ashr_i32 s2, s17, 31
	s_ashr_i32 s3, s18, 31
	s_mul_hi_u32 s1, s4, s1
	s_xor_b32 s2, s2, s3
	s_mul_i32 s3, s1, s0
	s_sub_i32 s3, s4, s3
	s_add_i32 s4, s1, 1
	s_sub_i32 s5, s3, s0
	s_cmp_ge_u32 s3, s0
	s_cselect_b32 s1, s4, s1
	s_cselect_b32 s3, s5, s3
	s_add_i32 s4, s1, 1
	s_cmp_ge_u32 s3, s0
	s_cselect_b32 s0, s4, s1
	s_xor_b32 s0, s0, s2
	s_sub_i32 s4, s0, s2
	v_cvt_f32_u32_e32 v1, s4
	s_bitcmp1_b32 s19, 0
	s_cselect_b64 s[0:1], -1, 0
	s_sub_i32 s2, 0, s4
	v_rcp_iflag_f32_e32 v1, v1
	s_xor_b64 s[0:1], s[0:1], -1
	v_mov_b32_e32 v3, s13
	v_mov_b32_e32 v5, s11
	v_mul_f32_e32 v1, 0x4f7ffffe, v1
	v_cvt_u32_f32_e32 v1, v1
	v_lshlrev_b32_e32 v0, 4, v0
	v_and_b32_e32 v9, 16, v0
	s_mov_b32 s18, 0x10001
	v_readfirstlane_b32 s3, v1
	s_mul_i32 s2, s2, s3
	s_mul_hi_u32 s2, s3, s2
	s_add_i32 s3, s3, s2
	s_mul_hi_u32 s2, s24, s3
	s_mul_i32 s3, s2, s4
	s_sub_i32 s3, s24, s3
	s_add_i32 s5, s2, 1
	s_sub_i32 s6, s3, s4
	s_cmp_ge_u32 s3, s4
	s_cselect_b32 s2, s5, s2
	s_cselect_b32 s3, s6, s3
	s_add_i32 s5, s2, 1
	s_cmp_ge_u32 s3, s4
	s_cselect_b32 s5, s5, s2
	s_mul_i32 s2, s5, s16
	s_ashr_i32 s3, s2, 31
	s_lshr_b32 s3, s3, 29
	v_mov_b32_e32 v8, 0xe400e400
	s_mov_b32 s6, 0
	v_mov_b32_e32 v11, 0
	s_movk_i32 s19, 0x2c00
	v_mov_b32_e32 v12, 0
	v_mov_b32_e32 v13, 0
	;; [unrolled: 1-line block ×22, first 2 shown]
	s_waitcnt vmcnt(0)
	v_ashrrev_i32_e32 v7, 31, v6
	v_lshrrev_b32_e32 v2, 29, v7
	v_add_u32_e32 v2, v6, v2
	v_add_u32_e32 v1, s2, v6
	v_ashrrev_i32_e32 v4, 3, v2
	v_ashrrev_i32_e32 v2, 31, v1
	v_lshlrev_b64 v[1:2], 1, v[1:2]
	s_add_i32 s2, s2, s3
	v_add_co_u32_e32 v1, vcc, s12, v1
	s_ashr_i32 s2, s2, 3
	v_addc_co_u32_e32 v2, vcc, v3, v2, vcc
	v_add_u32_e32 v3, s2, v4
	buffer_store_dword v4, off, s[28:31], 0 offset:28 ; 4-byte Folded Spill
	v_ashrrev_i32_e32 v4, 31, v3
	v_lshlrev_b64 v[3:4], 2, v[3:4]
	global_load_dwordx2 v[1:2], v[1:2], off
	v_add_co_u32_e32 v3, vcc, s10, v3
	v_addc_co_u32_e32 v4, vcc, v5, v4, vcc
	global_load_dword v3, v[3:4], off
	v_mov_b32_e32 v4, v6
	buffer_store_dword v4, off, s[28:31], 0 offset:20 ; 4-byte Folded Spill
	s_nop 0
	buffer_store_dword v5, off, s[28:31], 0 offset:24 ; 4-byte Folded Spill
	v_lshlrev_b64 v[5:6], 2, v[6:7]
	v_cndmask_b32_e64 v7, 0, 1, s[0:1]
	s_lshr_b32 s0, s24, 3
	s_mul_i32 s0, s16, s0
	s_ashr_i32 s1, s0, 31
	s_lshl_b64 s[0:1], s[0:1], 2
	s_add_u32 s20, s8, s0
	s_addc_u32 s0, s9, s1
	v_mov_b32_e32 v4, s0
	v_add_co_u32_e32 v5, vcc, s20, v5
	v_addc_co_u32_e32 v6, vcc, v4, v6, vcc
	s_ashr_i32 s17, s16, 31
	s_add_i32 s8, s4, s24
	s_lshl_b64 s[0:1], s[16:17], 4
	s_lshl_b64 s[2:3], s[16:17], 2
	v_mov_b32_e32 v36, 0
	v_mov_b32_e32 v37, 0
	;; [unrolled: 1-line block ×5, first 2 shown]
	buffer_store_dword v9, off, s[28:31], 0 offset:32 ; 4-byte Folded Spill
	buffer_store_dword v7, off, s[28:31], 0 offset:36 ; 4-byte Folded Spill
	s_waitcnt vmcnt(5)
	v_cvt_f32_f16_sdwa v41, v2 dst_sel:DWORD dst_unused:UNUSED_PAD src0_sel:WORD_1
	v_cvt_f32_f16_e32 v42, v2
	v_cvt_f32_f16_sdwa v43, v1 dst_sel:DWORD dst_unused:UNUSED_PAD src0_sel:WORD_1
	v_cvt_f32_f16_e32 v44, v1
	s_waitcnt vmcnt(4)
	v_lshrrev_b32_e32 v0, v0, v3
	v_bfe_u32 v1, v3, v9, 4
	v_bfe_u32 v2, v0, 12, 4
	;; [unrolled: 1-line block ×4, first 2 shown]
	v_add_u32_e32 v1, v1, v7
	v_add_u32_e32 v2, v2, v7
	v_add_u32_e32 v3, v3, v7
	v_add_u32_e32 v0, v0, v7
	v_cvt_f32_ubyte0_e32 v4, v1
	v_mad_u32_u24 v46, v1, s18, v8
	v_cvt_f32_ubyte0_e32 v1, v2
	v_mad_u32_u24 v50, v2, s18, v8
	;; [unrolled: 2-line block ×4, first 2 shown]
	v_cvt_f16_f32_e32 v0, v4
	v_cvt_f16_f32_e32 v1, v1
	;; [unrolled: 1-line block ×4, first 2 shown]
	v_sub_f16_e32 v0, 0xd400, v0
	v_sub_f16_e32 v1, 0xd400, v1
	;; [unrolled: 1-line block ×4, first 2 shown]
	v_mul_u32_u24_e32 v49, 0x10001, v0
	v_mul_u32_u24_e32 v51, 0x10001, v1
	;; [unrolled: 1-line block ×4, first 2 shown]
	s_cmp_lg_u32 s24, s8
	s_cbranch_scc1 .LBB41_20
.LBB41_19:
	buffer_load_dword v0, off, s[28:31], 0 offset:28 ; 4-byte Folded Reload
	buffer_load_dword v2, off, s[28:31], 0 offset:20 ; 4-byte Folded Reload
	;; [unrolled: 1-line block ×3, first 2 shown]
	s_add_i32 s5, s5, 1
	s_mul_i32 s9, s5, s16
	v_mov_b32_e32 v7, s13
	s_ashr_i32 s17, s9, 31
	s_lshr_b32 s17, s17, 29
	s_add_i32 s17, s9, s17
	s_ashr_i32 s17, s17, 3
	v_mov_b32_e32 v4, s11
	s_add_i32 s8, s8, s4
	buffer_load_dword v8, off, s[28:31], 0 offset:36 ; 4-byte Folded Reload
	s_waitcnt vmcnt(2)
	v_add_u32_e32 v2, s9, v2
	s_waitcnt vmcnt(1)
	v_ashrrev_i32_e32 v3, 31, v2
	v_lshlrev_b64 v[2:3], 1, v[2:3]
	v_add_u32_e32 v0, s17, v0
	v_add_co_u32_e32 v2, vcc, s12, v2
	v_addc_co_u32_e32 v3, vcc, v7, v3, vcc
	global_load_dwordx2 v[2:3], v[2:3], off
	v_ashrrev_i32_e32 v1, 31, v0
	v_lshlrev_b64 v[0:1], 2, v[0:1]
	v_mov_b32_e32 v7, 0xe400e400
	v_add_co_u32_e32 v0, vcc, s10, v0
	v_addc_co_u32_e32 v1, vcc, v4, v1, vcc
	global_load_dword v0, v[0:1], off
	s_waitcnt vmcnt(1)
	v_cvt_f32_f16_e32 v44, v2
	v_cvt_f32_f16_sdwa v43, v2 dst_sel:DWORD dst_unused:UNUSED_PAD src0_sel:WORD_1
	buffer_load_dword v2, off, s[28:31], 0 offset:32 ; 4-byte Folded Reload
	v_cvt_f32_f16_e32 v42, v3
	v_cvt_f32_f16_sdwa v41, v3 dst_sel:DWORD dst_unused:UNUSED_PAD src0_sel:WORD_1
	s_waitcnt vmcnt(0)
	v_lshrrev_b32_e32 v1, v2, v0
	v_bfe_u32 v0, v0, v2, 4
	v_bfe_u32 v2, v1, 4, 4
	;; [unrolled: 1-line block ×4, first 2 shown]
	v_add_u32_e32 v0, v0, v8
	v_cvt_f32_ubyte0_e32 v4, v0
	v_mad_u32_u24 v46, v0, s18, v7
	v_add_u32_e32 v0, v2, v8
	v_add_u32_e32 v2, v3, v8
	;; [unrolled: 1-line block ×3, first 2 shown]
	v_cvt_f16_f32_e32 v3, v4
	v_cvt_f32_ubyte0_e32 v4, v0
	v_mad_u32_u24 v48, v0, s18, v7
	v_cvt_f32_ubyte0_e32 v0, v2
	v_mad_u32_u24 v47, v2, s18, v7
	;; [unrolled: 2-line block ×3, first 2 shown]
	v_cvt_f16_f32_e32 v1, v4
	v_cvt_f16_f32_e32 v0, v0
	;; [unrolled: 1-line block ×3, first 2 shown]
	v_sub_f16_e32 v3, 0xd400, v3
	v_sub_f16_e32 v1, 0xd400, v1
	;; [unrolled: 1-line block ×4, first 2 shown]
	v_mul_u32_u24_e32 v49, 0x10001, v3
	v_mul_u32_u24_e32 v25, 0x10001, v1
	;; [unrolled: 1-line block ×4, first 2 shown]
.LBB41_20:                              ; =>This Inner Loop Header: Depth=1
	buffer_store_dword v46, off, s[28:31], 0 offset:4 ; 4-byte Folded Spill
	buffer_store_dword v49, off, s[28:31], 0 ; 4-byte Folded Spill
	global_load_dwordx4 v[53:56], v[5:6], off
	s_nop 0
	buffer_store_dword v5, off, s[28:31], 0 offset:8 ; 4-byte Folded Spill
	s_nop 0
	buffer_store_dword v6, off, s[28:31], 0 offset:12 ; 4-byte Folded Spill
	s_waitcnt vmcnt(5)
	v_mov_b32_e32 v6, v25
	s_add_i32 s9, s6, 0x400
	v_mov_b32_e32 v5, v51
	s_add_i32 s24, s24, 32
	s_waitcnt vmcnt(2)
	v_lshrrev_b32_e32 v2, 8, v53
	v_and_b32_e32 v1, 0xf000f0, v53
	v_and_b32_e32 v3, 0xf000f, v2
	;; [unrolled: 1-line block ×4, first 2 shown]
	v_or_b32_e32 v1, 0x64006400, v1
	v_or_b32_e32 v7, 0x64006400, v2
	v_lshrrev_b32_e32 v8, 8, v54
	v_or_b32_e32 v0, 0x64006400, v0
	v_or_b32_e32 v4, 0x64006400, v3
	v_pk_fma_f16 v2, v1, s19, v49 op_sel_hi:[1,0,1]
	v_pk_fma_f16 v1, v7, s19, v49 op_sel_hi:[1,0,1]
	v_and_b32_e32 v7, 0xf000f0, v54
	v_and_b32_e32 v9, 0xf000f, v8
	;; [unrolled: 1-line block ×3, first 2 shown]
	v_lshrrev_b32_e32 v26, 8, v55
	v_pk_add_f16 v3, v46, v0
	v_pk_add_f16 v0, v46, v4
	v_and_b32_e32 v4, 0xf000f, v54
	v_or_b32_e32 v7, 0x64006400, v7
	v_or_b32_e32 v9, 0x64006400, v9
	;; [unrolled: 1-line block ×3, first 2 shown]
	v_and_b32_e32 v45, 0xf000f, v26
	v_and_b32_e32 v26, 0xf000f0, v26
	;; [unrolled: 1-line block ×3, first 2 shown]
	v_lshrrev_b32_e32 v54, 8, v56
	v_pk_fma_f16 v7, v7, s19, v25 op_sel_hi:[1,0,1]
	v_pk_add_f16 v8, v48, v9
	v_pk_fma_f16 v9, v10, s19, v25 op_sel_hi:[1,0,1]
	v_and_b32_e32 v10, 0xf000f, v55
	v_and_b32_e32 v25, 0xf000f0, v55
	v_or_b32_e32 v45, 0x64006400, v45
	v_or_b32_e32 v46, 0x64006400, v26
	;; [unrolled: 1-line block ×3, first 2 shown]
	v_and_b32_e32 v55, 0xf000f, v54
	v_and_b32_e32 v54, 0xf000f0, v54
	v_pk_add_f16 v26, v47, v45
	v_pk_fma_f16 v45, v46, s19, v52 op_sel_hi:[1,0,1]
	v_and_b32_e32 v46, 0xf000f, v56
	v_or_b32_e32 v56, 0x64006400, v54
	v_pk_fma_f16 v54, v53, s19, v51 op_sel_hi:[1,0,1]
	v_mov_b32_e32 v53, s6
	ds_read2_b32 v[57:58], v53 offset1:1
	v_or_b32_e32 v4, 0x64006400, v4
	v_pk_add_f16 v4, v48, v4
	v_or_b32_e32 v10, 0x64006400, v10
	v_or_b32_e32 v46, 0x64006400, v46
	s_waitcnt lgkmcnt(0)
	v_pk_fma_f16 v59, v3, v57, 0
	v_pk_fma_f16 v61, v2, v58, v59
	ds_read2_b32 v[59:60], v53 offset0:2 offset1:3
	v_pk_add_f16 v10, v47, v10
	v_pk_add_f16 v46, v50, v46
	v_or_b32_e32 v55, 0x64006400, v55
	v_pk_add_f16 v55, v50, v55
	s_waitcnt lgkmcnt(0)
	v_pk_fma_f16 v61, v0, v59, v61
	v_pk_fma_f16 v61, v1, v60, v61
	v_cvt_f32_f16_e32 v62, v61
	v_cvt_f32_f16_sdwa v61, v61 dst_sel:DWORD dst_unused:UNUSED_PAD src0_sel:WORD_1
	v_or_b32_e32 v25, 0x64006400, v25
	v_pk_fma_f16 v56, v56, s19, v51 op_sel_hi:[1,0,1]
	v_pk_fma_f16 v25, v25, s19, v52 op_sel_hi:[1,0,1]
	v_add_f32_e32 v61, v62, v61
	v_fmac_f32_e32 v11, v61, v44
	v_pk_fma_f16 v61, v4, v57, 0
	v_pk_fma_f16 v61, v7, v58, v61
	;; [unrolled: 1-line block ×4, first 2 shown]
	v_cvt_f32_f16_e32 v62, v61
	v_cvt_f32_f16_sdwa v61, v61 dst_sel:DWORD dst_unused:UNUSED_PAD src0_sel:WORD_1
	v_mov_b32_e32 v49, v52
	v_add_f32_e32 v61, v62, v61
	v_fmac_f32_e32 v12, v61, v43
	v_pk_fma_f16 v61, v10, v57, 0
	v_pk_fma_f16 v57, v46, v57, 0
	v_pk_fma_f16 v57, v54, v58, v57
	v_pk_fma_f16 v57, v55, v59, v57
	v_pk_fma_f16 v57, v56, v60, v57
	v_pk_fma_f16 v61, v25, v58, v61
	v_cvt_f32_f16_e32 v58, v57
	v_cvt_f32_f16_sdwa v57, v57 dst_sel:DWORD dst_unused:UNUSED_PAD src0_sel:WORD_1
	v_pk_fma_f16 v61, v26, v59, v61
	v_pk_fma_f16 v61, v45, v60, v61
	v_cvt_f32_f16_e32 v62, v61
	v_add_f32_e32 v57, v58, v57
	v_fmac_f32_e32 v14, v57, v41
	ds_read2_b32 v[57:58], v53 offset0:64 offset1:65
	v_cvt_f32_f16_sdwa v61, v61 dst_sel:DWORD dst_unused:UNUSED_PAD src0_sel:WORD_1
	v_add_f32_e32 v61, v62, v61
	s_waitcnt lgkmcnt(0)
	v_pk_fma_f16 v59, v3, v57, 0
	v_fmac_f32_e32 v13, v61, v42
	v_pk_fma_f16 v61, v2, v58, v59
	ds_read2_b32 v[59:60], v53 offset0:66 offset1:67
	s_waitcnt lgkmcnt(0)
	v_pk_fma_f16 v61, v0, v59, v61
	v_pk_fma_f16 v61, v1, v60, v61
	v_cvt_f32_f16_e32 v62, v61
	v_cvt_f32_f16_sdwa v61, v61 dst_sel:DWORD dst_unused:UNUSED_PAD src0_sel:WORD_1
	v_add_f32_e32 v61, v62, v61
	v_fmac_f32_e32 v15, v61, v44
	v_pk_fma_f16 v61, v4, v57, 0
	v_pk_fma_f16 v61, v7, v58, v61
	v_pk_fma_f16 v61, v8, v59, v61
	v_pk_fma_f16 v61, v9, v60, v61
	v_cvt_f32_f16_e32 v62, v61
	v_cvt_f32_f16_sdwa v61, v61 dst_sel:DWORD dst_unused:UNUSED_PAD src0_sel:WORD_1
	v_add_f32_e32 v61, v62, v61
	v_fmac_f32_e32 v16, v61, v43
	v_pk_fma_f16 v61, v10, v57, 0
	v_pk_fma_f16 v57, v46, v57, 0
	v_pk_fma_f16 v57, v54, v58, v57
	v_pk_fma_f16 v57, v55, v59, v57
	v_pk_fma_f16 v57, v56, v60, v57
	v_pk_fma_f16 v61, v25, v58, v61
	v_cvt_f32_f16_e32 v58, v57
	v_cvt_f32_f16_sdwa v57, v57 dst_sel:DWORD dst_unused:UNUSED_PAD src0_sel:WORD_1
	v_pk_fma_f16 v61, v26, v59, v61
	v_pk_fma_f16 v61, v45, v60, v61
	v_cvt_f32_f16_e32 v62, v61
	v_add_f32_e32 v57, v58, v57
	v_fmac_f32_e32 v18, v57, v41
	ds_read2_b32 v[57:58], v53 offset0:128 offset1:129
	v_cvt_f32_f16_sdwa v61, v61 dst_sel:DWORD dst_unused:UNUSED_PAD src0_sel:WORD_1
	v_add_f32_e32 v61, v62, v61
	s_waitcnt lgkmcnt(0)
	v_pk_fma_f16 v59, v3, v57, 0
	v_fmac_f32_e32 v17, v61, v42
	v_pk_fma_f16 v61, v2, v58, v59
	ds_read2_b32 v[59:60], v53 offset0:130 offset1:131
	s_waitcnt lgkmcnt(0)
	v_pk_fma_f16 v61, v0, v59, v61
	v_pk_fma_f16 v61, v1, v60, v61
	v_cvt_f32_f16_e32 v62, v61
	v_cvt_f32_f16_sdwa v61, v61 dst_sel:DWORD dst_unused:UNUSED_PAD src0_sel:WORD_1
	v_add_f32_e32 v61, v62, v61
	v_fmac_f32_e32 v19, v61, v44
	v_pk_fma_f16 v61, v4, v57, 0
	v_pk_fma_f16 v61, v7, v58, v61
	v_pk_fma_f16 v61, v8, v59, v61
	v_pk_fma_f16 v61, v9, v60, v61
	v_cvt_f32_f16_e32 v62, v61
	v_cvt_f32_f16_sdwa v61, v61 dst_sel:DWORD dst_unused:UNUSED_PAD src0_sel:WORD_1
	;; [unrolled: 36-line block ×3, first 2 shown]
	v_add_f32_e32 v61, v62, v61
	v_fmac_f32_e32 v24, v61, v43
	v_pk_fma_f16 v61, v10, v57, 0
	v_pk_fma_f16 v57, v46, v57, 0
	;; [unrolled: 1-line block ×6, first 2 shown]
	v_cvt_f32_f16_e32 v58, v57
	v_cvt_f32_f16_sdwa v57, v57 dst_sel:DWORD dst_unused:UNUSED_PAD src0_sel:WORD_1
	v_pk_fma_f16 v61, v26, v59, v61
	v_pk_fma_f16 v61, v45, v60, v61
	v_cvt_f32_f16_e32 v62, v61
	v_add_f32_e32 v57, v58, v57
	v_fmac_f32_e32 v28, v57, v41
	v_mov_b32_e32 v57, s9
	ds_read2_b32 v[57:58], v57 offset1:1
	v_cvt_f32_f16_sdwa v61, v61 dst_sel:DWORD dst_unused:UNUSED_PAD src0_sel:WORD_1
	s_add_i32 s9, s6, 0x408
	v_add_f32_e32 v61, v62, v61
	s_waitcnt lgkmcnt(0)
	v_pk_fma_f16 v59, v3, v57, 0
	v_fmac_f32_e32 v27, v61, v42
	v_pk_fma_f16 v61, v2, v58, v59
	v_mov_b32_e32 v59, s9
	ds_read2_b32 v[59:60], v59 offset1:1
	s_add_i32 s9, s6, 0x500
	s_waitcnt lgkmcnt(0)
	v_pk_fma_f16 v61, v0, v59, v61
	v_pk_fma_f16 v61, v1, v60, v61
	v_cvt_f32_f16_e32 v62, v61
	v_cvt_f32_f16_sdwa v61, v61 dst_sel:DWORD dst_unused:UNUSED_PAD src0_sel:WORD_1
	v_add_f32_e32 v61, v62, v61
	v_fmac_f32_e32 v29, v61, v44
	v_pk_fma_f16 v61, v4, v57, 0
	v_pk_fma_f16 v61, v7, v58, v61
	;; [unrolled: 1-line block ×4, first 2 shown]
	v_cvt_f32_f16_e32 v62, v61
	v_cvt_f32_f16_sdwa v61, v61 dst_sel:DWORD dst_unused:UNUSED_PAD src0_sel:WORD_1
	v_add_f32_e32 v61, v62, v61
	v_fmac_f32_e32 v30, v61, v43
	v_pk_fma_f16 v61, v10, v57, 0
	v_pk_fma_f16 v57, v46, v57, 0
	;; [unrolled: 1-line block ×6, first 2 shown]
	v_cvt_f32_f16_e32 v58, v57
	v_cvt_f32_f16_sdwa v57, v57 dst_sel:DWORD dst_unused:UNUSED_PAD src0_sel:WORD_1
	v_pk_fma_f16 v61, v26, v59, v61
	v_pk_fma_f16 v61, v45, v60, v61
	v_cvt_f32_f16_e32 v62, v61
	v_add_f32_e32 v57, v58, v57
	v_fmac_f32_e32 v32, v57, v41
	v_mov_b32_e32 v57, s9
	ds_read2_b32 v[57:58], v57 offset1:1
	v_cvt_f32_f16_sdwa v61, v61 dst_sel:DWORD dst_unused:UNUSED_PAD src0_sel:WORD_1
	s_add_i32 s9, s6, 0x508
	v_add_f32_e32 v61, v62, v61
	s_waitcnt lgkmcnt(0)
	v_pk_fma_f16 v59, v3, v57, 0
	v_fmac_f32_e32 v31, v61, v42
	v_pk_fma_f16 v61, v2, v58, v59
	v_mov_b32_e32 v59, s9
	ds_read2_b32 v[59:60], v59 offset1:1
	s_add_i32 s9, s6, 0x600
	s_waitcnt lgkmcnt(0)
	v_pk_fma_f16 v61, v0, v59, v61
	v_pk_fma_f16 v61, v1, v60, v61
	v_cvt_f32_f16_e32 v62, v61
	v_cvt_f32_f16_sdwa v61, v61 dst_sel:DWORD dst_unused:UNUSED_PAD src0_sel:WORD_1
	v_add_f32_e32 v61, v62, v61
	v_fmac_f32_e32 v33, v61, v44
	v_pk_fma_f16 v61, v4, v57, 0
	v_pk_fma_f16 v61, v7, v58, v61
	;; [unrolled: 1-line block ×4, first 2 shown]
	v_cvt_f32_f16_e32 v62, v61
	v_cvt_f32_f16_sdwa v61, v61 dst_sel:DWORD dst_unused:UNUSED_PAD src0_sel:WORD_1
	v_add_f32_e32 v61, v62, v61
	v_fmac_f32_e32 v34, v61, v43
	v_pk_fma_f16 v61, v10, v57, 0
	v_pk_fma_f16 v57, v46, v57, 0
	v_pk_fma_f16 v57, v54, v58, v57
	v_pk_fma_f16 v57, v55, v59, v57
	v_pk_fma_f16 v57, v56, v60, v57
	v_pk_fma_f16 v61, v25, v58, v61
	v_cvt_f32_f16_e32 v58, v57
	v_cvt_f32_f16_sdwa v57, v57 dst_sel:DWORD dst_unused:UNUSED_PAD src0_sel:WORD_1
	v_pk_fma_f16 v61, v26, v59, v61
	v_pk_fma_f16 v61, v45, v60, v61
	v_cvt_f32_f16_e32 v62, v61
	v_add_f32_e32 v57, v58, v57
	v_fmac_f32_e32 v36, v57, v41
	v_mov_b32_e32 v57, s9
	ds_read2_b32 v[57:58], v57 offset1:1
	s_add_i32 s9, s6, 0x608
	v_cvt_f32_f16_sdwa v61, v61 dst_sel:DWORD dst_unused:UNUSED_PAD src0_sel:WORD_1
	s_waitcnt lgkmcnt(0)
	v_pk_fma_f16 v3, v3, v57, 0
	v_pk_fma_f16 v59, v2, v58, v3
	v_mov_b32_e32 v2, s9
	ds_read2_b32 v[2:3], v2 offset1:1
	v_add_f32_e32 v61, v62, v61
	v_fmac_f32_e32 v35, v61, v42
	s_add_i32 s9, s6, 0x410
	s_waitcnt lgkmcnt(0)
	v_pk_fma_f16 v0, v0, v2, v59
	v_pk_fma_f16 v0, v1, v3, v0
	v_cvt_f32_f16_e32 v1, v0
	v_cvt_f32_f16_sdwa v0, v0 dst_sel:DWORD dst_unused:UNUSED_PAD src0_sel:WORD_1
	v_add_f32_e32 v0, v1, v0
	v_fmac_f32_e32 v37, v0, v44
	v_pk_fma_f16 v0, v4, v57, 0
	v_pk_fma_f16 v0, v7, v58, v0
	v_pk_fma_f16 v0, v8, v2, v0
	v_pk_fma_f16 v0, v9, v3, v0
	v_cvt_f32_f16_e32 v1, v0
	v_cvt_f32_f16_sdwa v0, v0 dst_sel:DWORD dst_unused:UNUSED_PAD src0_sel:WORD_1
	v_add_f32_e32 v0, v1, v0
	v_fmac_f32_e32 v38, v0, v43
	v_pk_fma_f16 v0, v10, v57, 0
	v_pk_fma_f16 v0, v25, v58, v0
	;; [unrolled: 8-line block ×3, first 2 shown]
	v_pk_fma_f16 v0, v55, v2, v0
	v_pk_fma_f16 v0, v56, v3, v0
	v_cvt_f32_f16_e32 v1, v0
	v_cvt_f32_f16_sdwa v0, v0 dst_sel:DWORD dst_unused:UNUSED_PAD src0_sel:WORD_1
	v_mov_b32_e32 v3, s3
	v_add_f32_e32 v0, v1, v0
	v_fmac_f32_e32 v40, v0, v41
	buffer_load_dword v0, off, s[28:31], 0 offset:8 ; 4-byte Folded Reload
	buffer_load_dword v1, off, s[28:31], 0 offset:12 ; 4-byte Folded Reload
	s_waitcnt vmcnt(1)
	v_add_co_u32_e32 v0, vcc, s2, v0
	buffer_store_dword v3, off, s[28:31], 0 offset:16 ; 4-byte Folded Spill
	buffer_load_dword v1, off, s[28:31], 0 offset:8 ; 4-byte Folded Reload
	buffer_load_dword v2, off, s[28:31], 0 offset:12 ; 4-byte Folded Reload
	buffer_load_dword v4, off, s[28:31], 0 offset:4 ; 4-byte Folded Reload
	s_waitcnt vmcnt(1)
	v_addc_co_u32_e32 v1, vcc, v2, v3, vcc
	global_load_dwordx4 v[7:10], v[0:1], off
	s_waitcnt vmcnt(0)
	v_and_b32_e32 v2, 0xf000f, v7
	v_or_b32_e32 v2, 0x64006400, v2
	v_pk_add_f16 v46, v4, v2
	buffer_load_dword v2, off, s[28:31], 0  ; 4-byte Folded Reload
	buffer_load_dword v4, off, s[28:31], 0 offset:16 ; 4-byte Folded Reload
	v_and_b32_e32 v3, 0xf000f0, v7
	v_or_b32_e32 v3, 0x64006400, v3
	v_lshrrev_b32_e32 v7, 8, v7
	v_and_b32_e32 v25, 0xf000f, v7
	v_or_b32_e32 v25, 0x64006400, v25
	v_and_b32_e32 v7, 0xf000f0, v7
	v_or_b32_e32 v7, 0x64006400, v7
	s_waitcnt vmcnt(1)
	v_pk_fma_f16 v45, v3, s19, v2 op_sel_hi:[1,0,1]
	buffer_load_dword v2, off, s[28:31], 0 offset:4 ; 4-byte Folded Reload
	v_and_b32_e32 v3, 0xf000f0, v8
	v_or_b32_e32 v3, 0x64006400, v3
	v_pk_fma_f16 v60, v3, s19, v6 op_sel_hi:[1,0,1]
	v_and_b32_e32 v3, 0xf000f0, v9
	v_or_b32_e32 v3, 0x64006400, v3
	v_pk_fma_f16 v56, v3, s19, v52 op_sel_hi:[1,0,1]
	;; [unrolled: 3-line block ×3, first 2 shown]
	s_waitcnt vmcnt(0)
	v_pk_add_f16 v63, v2, v25
	buffer_load_dword v2, off, s[28:31], 0  ; 4-byte Folded Reload
	s_waitcnt vmcnt(0)
	v_pk_fma_f16 v26, v7, s19, v2 op_sel_hi:[1,0,1]
	v_and_b32_e32 v2, 0xf000f, v8
	v_or_b32_e32 v2, 0x64006400, v2
	v_lshrrev_b32_e32 v7, 8, v8
	v_pk_add_f16 v59, v48, v2
	v_and_b32_e32 v2, 0xf000f, v9
	v_and_b32_e32 v8, 0xf000f, v7
	;; [unrolled: 1-line block ×3, first 2 shown]
	v_or_b32_e32 v2, 0x64006400, v2
	v_or_b32_e32 v7, 0x64006400, v7
	v_pk_add_f16 v55, v47, v2
	v_and_b32_e32 v2, 0xf000f, v10
	v_or_b32_e32 v8, 0x64006400, v8
	v_pk_fma_f16 v62, v7, s19, v6 op_sel_hi:[1,0,1]
	v_lshrrev_b32_e32 v7, 8, v9
	v_or_b32_e32 v2, 0x64006400, v2
	v_pk_add_f16 v61, v48, v8
	v_and_b32_e32 v8, 0xf000f, v7
	v_and_b32_e32 v7, 0xf000f0, v7
	v_pk_add_f16 v25, v50, v2
	ds_read2_b32 v[2:3], v53 offset0:4 offset1:5
	v_or_b32_e32 v7, 0x64006400, v7
	v_or_b32_e32 v8, 0x64006400, v8
	v_pk_fma_f16 v58, v7, s19, v52 op_sel_hi:[1,0,1]
	v_lshrrev_b32_e32 v7, 8, v10
	v_pk_add_f16 v57, v47, v8
	v_and_b32_e32 v8, 0xf000f, v7
	v_and_b32_e32 v7, 0xf000f0, v7
	v_or_b32_e32 v7, 0x64006400, v7
	v_or_b32_e32 v8, 0x64006400, v8
	v_pk_fma_f16 v10, v7, s19, v51 op_sel_hi:[1,0,1]
	s_waitcnt lgkmcnt(0)
	v_pk_fma_f16 v7, v46, v2, 0
	v_pk_add_f16 v9, v50, v8
	v_mov_b32_e32 v52, v50
	v_mov_b32_e32 v50, v47
	v_pk_fma_f16 v47, v45, v3, v7
	ds_read2_b32 v[7:8], v53 offset0:6 offset1:7
	v_mov_b32_e32 v51, v48
	s_waitcnt lgkmcnt(0)
	v_pk_fma_f16 v47, v63, v7, v47
	v_pk_fma_f16 v47, v26, v8, v47
	v_cvt_f32_f16_e32 v48, v47
	v_cvt_f32_f16_sdwa v47, v47 dst_sel:DWORD dst_unused:UNUSED_PAD src0_sel:WORD_1
	v_add_f32_e32 v47, v48, v47
	v_fmac_f32_e32 v11, v47, v44
	v_pk_fma_f16 v47, v59, v2, 0
	v_pk_fma_f16 v47, v60, v3, v47
	v_pk_fma_f16 v47, v61, v7, v47
	v_pk_fma_f16 v47, v62, v8, v47
	v_cvt_f32_f16_e32 v48, v47
	v_cvt_f32_f16_sdwa v47, v47 dst_sel:DWORD dst_unused:UNUSED_PAD src0_sel:WORD_1
	v_add_f32_e32 v47, v48, v47
	v_fmac_f32_e32 v12, v47, v43
	v_pk_fma_f16 v47, v55, v2, 0
	v_pk_fma_f16 v2, v25, v2, 0
	v_pk_fma_f16 v2, v54, v3, v2
	v_pk_fma_f16 v2, v9, v7, v2
	v_pk_fma_f16 v2, v10, v8, v2
	v_pk_fma_f16 v47, v56, v3, v47
	v_cvt_f32_f16_e32 v3, v2
	v_cvt_f32_f16_sdwa v2, v2 dst_sel:DWORD dst_unused:UNUSED_PAD src0_sel:WORD_1
	v_pk_fma_f16 v47, v57, v7, v47
	v_pk_fma_f16 v47, v58, v8, v47
	v_cvt_f32_f16_e32 v48, v47
	v_add_f32_e32 v2, v3, v2
	v_fmac_f32_e32 v14, v2, v41
	ds_read2_b32 v[2:3], v53 offset0:68 offset1:69
	v_cvt_f32_f16_sdwa v47, v47 dst_sel:DWORD dst_unused:UNUSED_PAD src0_sel:WORD_1
	v_add_f32_e32 v47, v48, v47
	s_waitcnt lgkmcnt(0)
	v_pk_fma_f16 v7, v46, v2, 0
	v_fmac_f32_e32 v13, v47, v42
	v_pk_fma_f16 v47, v45, v3, v7
	ds_read2_b32 v[7:8], v53 offset0:70 offset1:71
	s_waitcnt lgkmcnt(0)
	v_pk_fma_f16 v47, v63, v7, v47
	v_pk_fma_f16 v47, v26, v8, v47
	v_cvt_f32_f16_e32 v48, v47
	v_cvt_f32_f16_sdwa v47, v47 dst_sel:DWORD dst_unused:UNUSED_PAD src0_sel:WORD_1
	v_add_f32_e32 v47, v48, v47
	v_fmac_f32_e32 v15, v47, v44
	v_pk_fma_f16 v47, v59, v2, 0
	v_pk_fma_f16 v47, v60, v3, v47
	v_pk_fma_f16 v47, v61, v7, v47
	v_pk_fma_f16 v47, v62, v8, v47
	v_cvt_f32_f16_e32 v48, v47
	v_cvt_f32_f16_sdwa v47, v47 dst_sel:DWORD dst_unused:UNUSED_PAD src0_sel:WORD_1
	v_add_f32_e32 v47, v48, v47
	v_fmac_f32_e32 v16, v47, v43
	v_pk_fma_f16 v47, v55, v2, 0
	v_pk_fma_f16 v2, v25, v2, 0
	v_pk_fma_f16 v2, v54, v3, v2
	v_pk_fma_f16 v2, v9, v7, v2
	v_pk_fma_f16 v2, v10, v8, v2
	v_pk_fma_f16 v47, v56, v3, v47
	v_cvt_f32_f16_e32 v3, v2
	v_cvt_f32_f16_sdwa v2, v2 dst_sel:DWORD dst_unused:UNUSED_PAD src0_sel:WORD_1
	v_pk_fma_f16 v47, v57, v7, v47
	v_pk_fma_f16 v47, v58, v8, v47
	v_cvt_f32_f16_e32 v48, v47
	v_add_f32_e32 v2, v3, v2
	v_fmac_f32_e32 v18, v2, v41
	ds_read2_b32 v[2:3], v53 offset0:132 offset1:133
	v_cvt_f32_f16_sdwa v47, v47 dst_sel:DWORD dst_unused:UNUSED_PAD src0_sel:WORD_1
	v_add_f32_e32 v47, v48, v47
	s_waitcnt lgkmcnt(0)
	v_pk_fma_f16 v7, v46, v2, 0
	v_fmac_f32_e32 v17, v47, v42
	v_pk_fma_f16 v47, v45, v3, v7
	ds_read2_b32 v[7:8], v53 offset0:134 offset1:135
	;; [unrolled: 36-line block ×3, first 2 shown]
	s_waitcnt lgkmcnt(0)
	v_pk_fma_f16 v47, v63, v7, v47
	v_pk_fma_f16 v47, v26, v8, v47
	v_cvt_f32_f16_e32 v48, v47
	v_cvt_f32_f16_sdwa v47, v47 dst_sel:DWORD dst_unused:UNUSED_PAD src0_sel:WORD_1
	v_add_f32_e32 v47, v48, v47
	v_fmac_f32_e32 v23, v47, v44
	v_pk_fma_f16 v47, v59, v2, 0
	v_pk_fma_f16 v47, v60, v3, v47
	;; [unrolled: 1-line block ×4, first 2 shown]
	v_cvt_f32_f16_e32 v48, v47
	v_cvt_f32_f16_sdwa v47, v47 dst_sel:DWORD dst_unused:UNUSED_PAD src0_sel:WORD_1
	v_add_f32_e32 v47, v48, v47
	v_fmac_f32_e32 v24, v47, v43
	v_pk_fma_f16 v47, v55, v2, 0
	v_pk_fma_f16 v2, v25, v2, 0
	;; [unrolled: 1-line block ×6, first 2 shown]
	v_cvt_f32_f16_e32 v3, v2
	v_cvt_f32_f16_sdwa v2, v2 dst_sel:DWORD dst_unused:UNUSED_PAD src0_sel:WORD_1
	v_pk_fma_f16 v47, v57, v7, v47
	v_pk_fma_f16 v47, v58, v8, v47
	v_cvt_f32_f16_e32 v48, v47
	v_add_f32_e32 v2, v3, v2
	v_fmac_f32_e32 v28, v2, v41
	v_mov_b32_e32 v2, s9
	ds_read2_b32 v[2:3], v2 offset1:1
	v_cvt_f32_f16_sdwa v47, v47 dst_sel:DWORD dst_unused:UNUSED_PAD src0_sel:WORD_1
	s_add_i32 s9, s6, 0x418
	v_add_f32_e32 v47, v48, v47
	s_waitcnt lgkmcnt(0)
	v_pk_fma_f16 v7, v46, v2, 0
	v_fmac_f32_e32 v27, v47, v42
	v_pk_fma_f16 v47, v45, v3, v7
	v_mov_b32_e32 v7, s9
	ds_read2_b32 v[7:8], v7 offset1:1
	s_add_i32 s9, s6, 0x510
	s_waitcnt lgkmcnt(0)
	v_pk_fma_f16 v47, v63, v7, v47
	v_pk_fma_f16 v47, v26, v8, v47
	v_cvt_f32_f16_e32 v48, v47
	v_cvt_f32_f16_sdwa v47, v47 dst_sel:DWORD dst_unused:UNUSED_PAD src0_sel:WORD_1
	v_add_f32_e32 v47, v48, v47
	v_fmac_f32_e32 v29, v47, v44
	v_pk_fma_f16 v47, v59, v2, 0
	v_pk_fma_f16 v47, v60, v3, v47
	;; [unrolled: 1-line block ×4, first 2 shown]
	v_cvt_f32_f16_e32 v48, v47
	v_cvt_f32_f16_sdwa v47, v47 dst_sel:DWORD dst_unused:UNUSED_PAD src0_sel:WORD_1
	v_add_f32_e32 v47, v48, v47
	v_fmac_f32_e32 v30, v47, v43
	v_pk_fma_f16 v47, v55, v2, 0
	v_pk_fma_f16 v2, v25, v2, 0
	;; [unrolled: 1-line block ×6, first 2 shown]
	v_cvt_f32_f16_e32 v3, v2
	v_cvt_f32_f16_sdwa v2, v2 dst_sel:DWORD dst_unused:UNUSED_PAD src0_sel:WORD_1
	v_pk_fma_f16 v47, v57, v7, v47
	v_pk_fma_f16 v47, v58, v8, v47
	v_cvt_f32_f16_e32 v48, v47
	v_add_f32_e32 v2, v3, v2
	v_fmac_f32_e32 v32, v2, v41
	v_mov_b32_e32 v2, s9
	ds_read2_b32 v[2:3], v2 offset1:1
	v_cvt_f32_f16_sdwa v47, v47 dst_sel:DWORD dst_unused:UNUSED_PAD src0_sel:WORD_1
	s_add_i32 s9, s6, 0x518
	v_add_f32_e32 v47, v48, v47
	s_waitcnt lgkmcnt(0)
	v_pk_fma_f16 v7, v46, v2, 0
	v_fmac_f32_e32 v31, v47, v42
	v_pk_fma_f16 v47, v45, v3, v7
	v_mov_b32_e32 v7, s9
	ds_read2_b32 v[7:8], v7 offset1:1
	s_add_i32 s9, s6, 0x610
	s_waitcnt lgkmcnt(0)
	v_pk_fma_f16 v47, v63, v7, v47
	v_pk_fma_f16 v47, v26, v8, v47
	v_cvt_f32_f16_e32 v48, v47
	v_cvt_f32_f16_sdwa v47, v47 dst_sel:DWORD dst_unused:UNUSED_PAD src0_sel:WORD_1
	v_add_f32_e32 v47, v48, v47
	v_fmac_f32_e32 v33, v47, v44
	v_pk_fma_f16 v47, v59, v2, 0
	v_pk_fma_f16 v47, v60, v3, v47
	;; [unrolled: 1-line block ×4, first 2 shown]
	v_cvt_f32_f16_e32 v48, v47
	v_cvt_f32_f16_sdwa v47, v47 dst_sel:DWORD dst_unused:UNUSED_PAD src0_sel:WORD_1
	v_add_f32_e32 v47, v48, v47
	v_fmac_f32_e32 v34, v47, v43
	v_pk_fma_f16 v47, v55, v2, 0
	v_pk_fma_f16 v2, v25, v2, 0
	;; [unrolled: 1-line block ×6, first 2 shown]
	v_cvt_f32_f16_e32 v3, v2
	v_cvt_f32_f16_sdwa v2, v2 dst_sel:DWORD dst_unused:UNUSED_PAD src0_sel:WORD_1
	v_pk_fma_f16 v47, v57, v7, v47
	v_pk_fma_f16 v47, v58, v8, v47
	v_cvt_f32_f16_e32 v48, v47
	v_add_f32_e32 v2, v3, v2
	v_fmac_f32_e32 v36, v2, v41
	v_mov_b32_e32 v2, s9
	ds_read2_b32 v[7:8], v2 offset1:1
	s_add_i32 s9, s6, 0x618
	v_cvt_f32_f16_sdwa v47, v47 dst_sel:DWORD dst_unused:UNUSED_PAD src0_sel:WORD_1
	s_waitcnt lgkmcnt(0)
	v_pk_fma_f16 v2, v46, v7, 0
	v_pk_fma_f16 v45, v45, v8, v2
	v_mov_b32_e32 v2, s9
	ds_read2_b32 v[2:3], v2 offset1:1
	v_add_f32_e32 v47, v48, v47
	v_fmac_f32_e32 v35, v47, v42
	s_add_i32 s9, s6, 0x420
	s_waitcnt lgkmcnt(0)
	v_pk_fma_f16 v45, v63, v2, v45
	v_pk_fma_f16 v26, v26, v3, v45
	v_cvt_f32_f16_e32 v45, v26
	v_cvt_f32_f16_sdwa v26, v26 dst_sel:DWORD dst_unused:UNUSED_PAD src0_sel:WORD_1
	v_add_f32_e32 v26, v45, v26
	v_fmac_f32_e32 v37, v26, v44
	v_pk_fma_f16 v26, v59, v7, 0
	v_pk_fma_f16 v26, v60, v8, v26
	;; [unrolled: 1-line block ×4, first 2 shown]
	v_cvt_f32_f16_e32 v45, v26
	v_cvt_f32_f16_sdwa v26, v26 dst_sel:DWORD dst_unused:UNUSED_PAD src0_sel:WORD_1
	ds_read2_b32 v[60:61], v53 offset0:8 offset1:9
	ds_read2_b32 v[62:63], v53 offset0:10 offset1:11
	v_add_f32_e32 v26, v45, v26
	v_fmac_f32_e32 v38, v26, v43
	v_pk_fma_f16 v26, v55, v7, 0
	v_pk_fma_f16 v7, v25, v7, 0
	;; [unrolled: 1-line block ×8, first 2 shown]
	v_cvt_f32_f16_e32 v3, v2
	v_cvt_f32_f16_sdwa v2, v2 dst_sel:DWORD dst_unused:UNUSED_PAD src0_sel:WORD_1
	v_add_co_u32_e32 v7, vcc, s2, v0
	v_addc_co_u32_e32 v8, vcc, v1, v4, vcc
	v_add_f32_e32 v2, v3, v2
	v_fmac_f32_e32 v40, v2, v41
	global_load_dwordx4 v[0:3], v[7:8], off
	v_cvt_f32_f16_e32 v45, v26
	v_cvt_f32_f16_sdwa v26, v26 dst_sel:DWORD dst_unused:UNUSED_PAD src0_sel:WORD_1
	v_add_f32_e32 v26, v45, v26
	v_fmac_f32_e32 v39, v26, v42
	s_waitcnt vmcnt(0)
	v_and_b32_e32 v9, 0xf000f, v0
	v_and_b32_e32 v10, 0xf000f0, v0
	v_lshrrev_b32_e32 v0, 8, v0
	v_and_b32_e32 v25, 0xf000f, v0
	v_and_b32_e32 v0, 0xf000f0, v0
	v_or_b32_e32 v45, 0x64006400, v0
	buffer_load_dword v0, off, s[28:31], 0 offset:4 ; 4-byte Folded Reload
	v_or_b32_e32 v9, 0x64006400, v9
	v_or_b32_e32 v26, 0x64006400, v25
	;; [unrolled: 1-line block ×3, first 2 shown]
	v_and_b32_e32 v48, 0xf000f0, v2
	v_or_b32_e32 v48, 0x64006400, v48
	s_waitcnt vmcnt(0)
	v_pk_add_f16 v25, v0, v9
	buffer_load_dword v0, off, s[28:31], 0  ; 4-byte Folded Reload
	buffer_load_dword v9, off, s[28:31], 0  ; 4-byte Folded Reload
	s_waitcnt vmcnt(1)
	v_pk_fma_f16 v10, v10, s19, v0 op_sel_hi:[1,0,1]
	buffer_load_dword v0, off, s[28:31], 0 offset:4 ; 4-byte Folded Reload
	s_waitcnt vmcnt(1)
	v_pk_fma_f16 v9, v45, s19, v9 op_sel_hi:[1,0,1]
	v_and_b32_e32 v45, 0xf000f0, v1
	v_or_b32_e32 v45, 0x64006400, v45
	s_waitcnt vmcnt(0)
	v_pk_add_f16 v0, v0, v26
	v_and_b32_e32 v26, 0xf000f, v1
	v_lshrrev_b32_e32 v1, 8, v1
	v_and_b32_e32 v46, 0xf000f, v1
	v_and_b32_e32 v1, 0xf000f0, v1
	v_or_b32_e32 v26, 0x64006400, v26
	v_or_b32_e32 v46, 0x64006400, v46
	;; [unrolled: 1-line block ×3, first 2 shown]
	v_pk_add_f16 v1, v51, v26
	v_pk_fma_f16 v26, v45, s19, v6 op_sel_hi:[1,0,1]
	v_pk_add_f16 v45, v51, v46
	v_pk_fma_f16 v46, v47, s19, v6 op_sel_hi:[1,0,1]
	v_and_b32_e32 v47, 0xf000f, v2
	v_lshrrev_b32_e32 v2, 8, v2
	v_or_b32_e32 v47, 0x64006400, v47
	v_and_b32_e32 v54, 0xf000f, v2
	v_and_b32_e32 v2, 0xf000f0, v2
	v_or_b32_e32 v55, 0x64006400, v54
	v_or_b32_e32 v56, 0x64006400, v2
	v_pk_add_f16 v2, v50, v47
	v_pk_fma_f16 v54, v48, s19, v49 op_sel_hi:[1,0,1]
	v_and_b32_e32 v47, 0xf000f, v3
	v_and_b32_e32 v48, 0xf000f0, v3
	v_lshrrev_b32_e32 v3, 8, v3
	v_or_b32_e32 v47, 0x64006400, v47
	v_and_b32_e32 v57, 0xf000f, v3
	v_and_b32_e32 v3, 0xf000f0, v3
	v_or_b32_e32 v59, 0x64006400, v3
	v_pk_add_f16 v3, v52, v47
	s_waitcnt lgkmcnt(1)
	v_pk_fma_f16 v47, v25, v60, 0
	v_pk_fma_f16 v47, v10, v61, v47
	s_waitcnt lgkmcnt(0)
	v_pk_fma_f16 v47, v0, v62, v47
	v_or_b32_e32 v48, 0x64006400, v48
	v_pk_fma_f16 v47, v9, v63, v47
	v_or_b32_e32 v58, 0x64006400, v57
	v_pk_fma_f16 v57, v48, s19, v5 op_sel_hi:[1,0,1]
	v_cvt_f32_f16_e32 v48, v47
	v_cvt_f32_f16_sdwa v47, v47 dst_sel:DWORD dst_unused:UNUSED_PAD src0_sel:WORD_1
	v_pk_add_f16 v55, v50, v55
	v_pk_fma_f16 v56, v56, s19, v49 op_sel_hi:[1,0,1]
	v_pk_add_f16 v58, v52, v58
	v_add_f32_e32 v47, v48, v47
	v_fmac_f32_e32 v11, v47, v44
	v_pk_fma_f16 v47, v1, v60, 0
	v_pk_fma_f16 v47, v26, v61, v47
	;; [unrolled: 1-line block ×4, first 2 shown]
	v_cvt_f32_f16_e32 v48, v47
	v_cvt_f32_f16_sdwa v47, v47 dst_sel:DWORD dst_unused:UNUSED_PAD src0_sel:WORD_1
	v_pk_fma_f16 v59, v59, s19, v5 op_sel_hi:[1,0,1]
	v_add_f32_e32 v47, v48, v47
	v_fmac_f32_e32 v12, v47, v43
	v_pk_fma_f16 v47, v2, v60, 0
	v_pk_fma_f16 v47, v54, v61, v47
	v_pk_fma_f16 v47, v55, v62, v47
	v_pk_fma_f16 v47, v56, v63, v47
	v_cvt_f32_f16_e32 v48, v47
	v_cvt_f32_f16_sdwa v47, v47 dst_sel:DWORD dst_unused:UNUSED_PAD src0_sel:WORD_1
	v_add_f32_e32 v47, v48, v47
	v_fmac_f32_e32 v13, v47, v42
	v_pk_fma_f16 v47, v3, v60, 0
	v_pk_fma_f16 v47, v57, v61, v47
	v_pk_fma_f16 v47, v58, v62, v47
	v_pk_fma_f16 v47, v59, v63, v47
	v_cvt_f32_f16_e32 v48, v47
	v_cvt_f32_f16_sdwa v47, v47 dst_sel:DWORD dst_unused:UNUSED_PAD src0_sel:WORD_1
	ds_read2_b32 v[60:61], v53 offset0:72 offset1:73
	ds_read2_b32 v[62:63], v53 offset0:74 offset1:75
	v_add_f32_e32 v47, v48, v47
	v_fmac_f32_e32 v14, v47, v41
	s_waitcnt lgkmcnt(1)
	v_pk_fma_f16 v47, v25, v60, 0
	v_pk_fma_f16 v47, v10, v61, v47
	s_waitcnt lgkmcnt(0)
	v_pk_fma_f16 v47, v0, v62, v47
	v_pk_fma_f16 v47, v9, v63, v47
	v_cvt_f32_f16_e32 v48, v47
	v_cvt_f32_f16_sdwa v47, v47 dst_sel:DWORD dst_unused:UNUSED_PAD src0_sel:WORD_1
	v_add_f32_e32 v47, v48, v47
	v_fmac_f32_e32 v15, v47, v44
	v_pk_fma_f16 v47, v1, v60, 0
	v_pk_fma_f16 v47, v26, v61, v47
	v_pk_fma_f16 v47, v45, v62, v47
	v_pk_fma_f16 v47, v46, v63, v47
	v_cvt_f32_f16_e32 v48, v47
	v_cvt_f32_f16_sdwa v47, v47 dst_sel:DWORD dst_unused:UNUSED_PAD src0_sel:WORD_1
	v_add_f32_e32 v47, v48, v47
	v_fmac_f32_e32 v16, v47, v43
	v_pk_fma_f16 v47, v2, v60, 0
	v_pk_fma_f16 v47, v54, v61, v47
	v_pk_fma_f16 v47, v55, v62, v47
	v_pk_fma_f16 v47, v56, v63, v47
	v_cvt_f32_f16_e32 v48, v47
	v_cvt_f32_f16_sdwa v47, v47 dst_sel:DWORD dst_unused:UNUSED_PAD src0_sel:WORD_1
	v_add_f32_e32 v47, v48, v47
	v_fmac_f32_e32 v17, v47, v42
	v_pk_fma_f16 v47, v3, v60, 0
	v_pk_fma_f16 v47, v57, v61, v47
	v_pk_fma_f16 v47, v58, v62, v47
	v_pk_fma_f16 v47, v59, v63, v47
	v_cvt_f32_f16_e32 v48, v47
	v_cvt_f32_f16_sdwa v47, v47 dst_sel:DWORD dst_unused:UNUSED_PAD src0_sel:WORD_1
	ds_read2_b32 v[60:61], v53 offset0:136 offset1:137
	ds_read2_b32 v[62:63], v53 offset0:138 offset1:139
	v_add_f32_e32 v47, v48, v47
	v_fmac_f32_e32 v18, v47, v41
	s_waitcnt lgkmcnt(1)
	v_pk_fma_f16 v47, v25, v60, 0
	v_pk_fma_f16 v47, v10, v61, v47
	s_waitcnt lgkmcnt(0)
	v_pk_fma_f16 v47, v0, v62, v47
	v_pk_fma_f16 v47, v9, v63, v47
	v_cvt_f32_f16_e32 v48, v47
	v_cvt_f32_f16_sdwa v47, v47 dst_sel:DWORD dst_unused:UNUSED_PAD src0_sel:WORD_1
	v_add_f32_e32 v47, v48, v47
	v_fmac_f32_e32 v19, v47, v44
	v_pk_fma_f16 v47, v1, v60, 0
	v_pk_fma_f16 v47, v26, v61, v47
	v_pk_fma_f16 v47, v45, v62, v47
	v_pk_fma_f16 v47, v46, v63, v47
	v_cvt_f32_f16_e32 v48, v47
	v_cvt_f32_f16_sdwa v47, v47 dst_sel:DWORD dst_unused:UNUSED_PAD src0_sel:WORD_1
	;; [unrolled: 36-line block ×3, first 2 shown]
	v_add_f32_e32 v47, v48, v47
	v_fmac_f32_e32 v24, v47, v43
	v_pk_fma_f16 v47, v2, v60, 0
	v_pk_fma_f16 v47, v54, v61, v47
	;; [unrolled: 1-line block ×4, first 2 shown]
	v_cvt_f32_f16_e32 v48, v47
	v_cvt_f32_f16_sdwa v47, v47 dst_sel:DWORD dst_unused:UNUSED_PAD src0_sel:WORD_1
	v_add_f32_e32 v47, v48, v47
	v_fmac_f32_e32 v27, v47, v42
	v_pk_fma_f16 v47, v3, v60, 0
	v_pk_fma_f16 v47, v57, v61, v47
	;; [unrolled: 1-line block ×4, first 2 shown]
	v_cvt_f32_f16_e32 v48, v47
	v_cvt_f32_f16_sdwa v47, v47 dst_sel:DWORD dst_unused:UNUSED_PAD src0_sel:WORD_1
	v_add_f32_e32 v47, v48, v47
	v_fmac_f32_e32 v28, v47, v41
	v_mov_b32_e32 v47, s9
	ds_read2_b32 v[60:61], v47 offset1:1
	s_add_i32 s9, s6, 0x428
	v_mov_b32_e32 v48, s9
	ds_read2_b32 v[62:63], v48 offset1:1
	s_add_i32 s9, s6, 0x520
	s_waitcnt lgkmcnt(1)
	v_pk_fma_f16 v47, v25, v60, 0
	v_pk_fma_f16 v47, v10, v61, v47
	s_waitcnt lgkmcnt(0)
	v_pk_fma_f16 v47, v0, v62, v47
	v_pk_fma_f16 v47, v9, v63, v47
	v_cvt_f32_f16_e32 v48, v47
	v_cvt_f32_f16_sdwa v47, v47 dst_sel:DWORD dst_unused:UNUSED_PAD src0_sel:WORD_1
	v_add_f32_e32 v47, v48, v47
	v_fmac_f32_e32 v29, v47, v44
	v_pk_fma_f16 v47, v1, v60, 0
	v_pk_fma_f16 v47, v26, v61, v47
	v_pk_fma_f16 v47, v45, v62, v47
	v_pk_fma_f16 v47, v46, v63, v47
	v_cvt_f32_f16_e32 v48, v47
	v_cvt_f32_f16_sdwa v47, v47 dst_sel:DWORD dst_unused:UNUSED_PAD src0_sel:WORD_1
	v_add_f32_e32 v47, v48, v47
	v_fmac_f32_e32 v30, v47, v43
	v_pk_fma_f16 v47, v2, v60, 0
	v_pk_fma_f16 v47, v54, v61, v47
	;; [unrolled: 8-line block ×3, first 2 shown]
	v_pk_fma_f16 v47, v58, v62, v47
	v_pk_fma_f16 v47, v59, v63, v47
	v_cvt_f32_f16_e32 v48, v47
	v_cvt_f32_f16_sdwa v47, v47 dst_sel:DWORD dst_unused:UNUSED_PAD src0_sel:WORD_1
	v_add_f32_e32 v47, v48, v47
	v_fmac_f32_e32 v32, v47, v41
	v_mov_b32_e32 v47, s9
	ds_read2_b32 v[60:61], v47 offset1:1
	s_add_i32 s9, s6, 0x528
	v_mov_b32_e32 v48, s9
	ds_read2_b32 v[62:63], v48 offset1:1
	s_add_i32 s9, s6, 0x620
	s_waitcnt lgkmcnt(1)
	v_pk_fma_f16 v47, v25, v60, 0
	v_pk_fma_f16 v47, v10, v61, v47
	s_waitcnt lgkmcnt(0)
	v_pk_fma_f16 v47, v0, v62, v47
	v_pk_fma_f16 v47, v9, v63, v47
	v_cvt_f32_f16_e32 v48, v47
	v_cvt_f32_f16_sdwa v47, v47 dst_sel:DWORD dst_unused:UNUSED_PAD src0_sel:WORD_1
	v_add_f32_e32 v47, v48, v47
	v_fmac_f32_e32 v33, v47, v44
	v_pk_fma_f16 v47, v1, v60, 0
	v_pk_fma_f16 v47, v26, v61, v47
	v_pk_fma_f16 v47, v45, v62, v47
	v_pk_fma_f16 v47, v46, v63, v47
	v_cvt_f32_f16_e32 v48, v47
	v_cvt_f32_f16_sdwa v47, v47 dst_sel:DWORD dst_unused:UNUSED_PAD src0_sel:WORD_1
	v_add_f32_e32 v47, v48, v47
	v_fmac_f32_e32 v34, v47, v43
	v_pk_fma_f16 v47, v2, v60, 0
	v_pk_fma_f16 v47, v54, v61, v47
	;; [unrolled: 8-line block ×3, first 2 shown]
	v_pk_fma_f16 v47, v58, v62, v47
	v_pk_fma_f16 v47, v59, v63, v47
	v_cvt_f32_f16_e32 v48, v47
	v_cvt_f32_f16_sdwa v47, v47 dst_sel:DWORD dst_unused:UNUSED_PAD src0_sel:WORD_1
	v_add_f32_e32 v47, v48, v47
	v_fmac_f32_e32 v36, v47, v41
	v_mov_b32_e32 v47, s9
	ds_read2_b32 v[60:61], v47 offset1:1
	s_add_i32 s9, s6, 0x628
	v_mov_b32_e32 v47, v50
	v_mov_b32_e32 v50, v52
	;; [unrolled: 1-line block ×3, first 2 shown]
	s_waitcnt lgkmcnt(0)
	v_pk_fma_f16 v25, v25, v60, 0
	v_pk_fma_f16 v10, v10, v61, v25
	v_mov_b32_e32 v25, s9
	ds_read2_b32 v[62:63], v25 offset1:1
	v_mov_b32_e32 v48, v51
	v_mov_b32_e32 v51, v5
	s_add_i32 s9, s6, 0x430
	s_waitcnt lgkmcnt(0)
	v_pk_fma_f16 v0, v0, v62, v10
	v_pk_fma_f16 v0, v9, v63, v0
	v_cvt_f32_f16_e32 v9, v0
	v_cvt_f32_f16_sdwa v0, v0 dst_sel:DWORD dst_unused:UNUSED_PAD src0_sel:WORD_1
	v_add_f32_e32 v0, v9, v0
	v_fmac_f32_e32 v37, v0, v44
	v_pk_fma_f16 v0, v1, v60, 0
	v_pk_fma_f16 v0, v26, v61, v0
	;; [unrolled: 1-line block ×4, first 2 shown]
	v_cvt_f32_f16_e32 v1, v0
	v_cvt_f32_f16_sdwa v0, v0 dst_sel:DWORD dst_unused:UNUSED_PAD src0_sel:WORD_1
	buffer_load_dword v46, off, s[28:31], 0 offset:4 ; 4-byte Folded Reload
	buffer_load_dword v49, off, s[28:31], 0 ; 4-byte Folded Reload
	v_add_f32_e32 v0, v1, v0
	v_fmac_f32_e32 v38, v0, v43
	v_pk_fma_f16 v0, v2, v60, 0
	v_pk_fma_f16 v0, v54, v61, v0
	;; [unrolled: 1-line block ×4, first 2 shown]
	v_cvt_f32_f16_e32 v1, v0
	v_cvt_f32_f16_sdwa v0, v0 dst_sel:DWORD dst_unused:UNUSED_PAD src0_sel:WORD_1
	buffer_store_dword v6, off, s[28:31], 0 offset:16 ; 4-byte Folded Spill
	v_add_f32_e32 v0, v1, v0
	v_fmac_f32_e32 v39, v0, v42
	v_pk_fma_f16 v0, v3, v60, 0
	v_pk_fma_f16 v0, v57, v61, v0
	;; [unrolled: 1-line block ×4, first 2 shown]
	v_cvt_f32_f16_e32 v1, v0
	v_cvt_f32_f16_sdwa v0, v0 dst_sel:DWORD dst_unused:UNUSED_PAD src0_sel:WORD_1
	v_add_f32_e32 v0, v1, v0
	v_fmac_f32_e32 v40, v0, v41
	v_add_co_u32_e32 v0, vcc, s2, v7
	v_addc_co_u32_e32 v1, vcc, v8, v4, vcc
	global_load_dwordx4 v[0:3], v[0:1], off
	s_waitcnt vmcnt(0)
	v_and_b32_e32 v4, 0xf000f, v0
	v_and_b32_e32 v7, 0xf000f0, v0
	v_lshrrev_b32_e32 v0, 8, v0
	v_and_b32_e32 v8, 0xf000f, v0
	v_and_b32_e32 v0, 0xf000f0, v0
	v_or_b32_e32 v4, 0x64006400, v4
	v_or_b32_e32 v7, 0x64006400, v7
	;; [unrolled: 1-line block ×4, first 2 shown]
	v_pk_add_f16 v25, v46, v4
	v_pk_fma_f16 v10, v7, s19, v49 op_sel_hi:[1,0,1]
	v_pk_fma_f16 v4, v0, s19, v49 op_sel_hi:[1,0,1]
	v_and_b32_e32 v0, 0xf000f, v1
	v_and_b32_e32 v7, 0xf000f0, v1
	v_lshrrev_b32_e32 v1, 8, v1
	v_pk_add_f16 v9, v46, v8
	v_and_b32_e32 v8, 0xf000f, v1
	v_and_b32_e32 v1, 0xf000f0, v1
	v_or_b32_e32 v0, 0x64006400, v0
	v_or_b32_e32 v1, 0x64006400, v1
	v_pk_add_f16 v62, v48, v0
	v_pk_fma_f16 v61, v1, s19, v6 op_sel_hi:[1,0,1]
	v_and_b32_e32 v0, 0xf000f, v2
	v_and_b32_e32 v1, 0xf000f0, v2
	v_or_b32_e32 v0, 0x64006400, v0
	v_or_b32_e32 v1, 0x64006400, v1
	v_pk_add_f16 v56, v47, v0
	v_pk_fma_f16 v57, v1, s19, v52 op_sel_hi:[1,0,1]
	v_and_b32_e32 v0, 0xf000f, v3
	v_and_b32_e32 v1, 0xf000f0, v3
	v_or_b32_e32 v7, 0x64006400, v7
	v_lshrrev_b32_e32 v2, 8, v2
	v_or_b32_e32 v0, 0x64006400, v0
	v_or_b32_e32 v1, 0x64006400, v1
	v_pk_fma_f16 v63, v7, s19, v6 op_sel_hi:[1,0,1]
	v_and_b32_e32 v7, 0xf000f, v2
	v_and_b32_e32 v2, 0xf000f0, v2
	v_pk_add_f16 v54, v50, v0
	v_pk_fma_f16 v55, v1, s19, v51 op_sel_hi:[1,0,1]
	ds_read2_b32 v[0:1], v53 offset0:12 offset1:13
	v_or_b32_e32 v2, 0x64006400, v2
	v_pk_fma_f16 v59, v2, s19, v52 op_sel_hi:[1,0,1]
	v_lshrrev_b32_e32 v2, 8, v3
	v_and_b32_e32 v3, 0xf000f, v2
	v_and_b32_e32 v2, 0xf000f0, v2
	v_or_b32_e32 v8, 0x64006400, v8
	v_or_b32_e32 v2, 0x64006400, v2
	v_pk_add_f16 v60, v48, v8
	v_or_b32_e32 v7, 0x64006400, v7
	v_or_b32_e32 v3, 0x64006400, v3
	v_pk_fma_f16 v8, v2, s19, v51 op_sel_hi:[1,0,1]
	s_waitcnt lgkmcnt(0)
	v_pk_fma_f16 v2, v25, v0, 0
	v_pk_add_f16 v58, v47, v7
	v_pk_add_f16 v7, v50, v3
	v_pk_fma_f16 v26, v10, v1, v2
	ds_read2_b32 v[2:3], v53 offset0:14 offset1:15
	s_waitcnt lgkmcnt(0)
	v_pk_fma_f16 v26, v9, v2, v26
	v_pk_fma_f16 v26, v4, v3, v26
	v_cvt_f32_f16_e32 v45, v26
	v_cvt_f32_f16_sdwa v26, v26 dst_sel:DWORD dst_unused:UNUSED_PAD src0_sel:WORD_1
	v_add_f32_e32 v26, v45, v26
	v_fmac_f32_e32 v11, v26, v44
	v_pk_fma_f16 v26, v62, v0, 0
	v_pk_fma_f16 v26, v63, v1, v26
	;; [unrolled: 1-line block ×4, first 2 shown]
	v_cvt_f32_f16_e32 v45, v26
	v_cvt_f32_f16_sdwa v26, v26 dst_sel:DWORD dst_unused:UNUSED_PAD src0_sel:WORD_1
	v_add_f32_e32 v26, v45, v26
	v_fmac_f32_e32 v12, v26, v43
	v_pk_fma_f16 v26, v56, v0, 0
	v_pk_fma_f16 v0, v54, v0, 0
	v_pk_fma_f16 v0, v55, v1, v0
	v_pk_fma_f16 v0, v7, v2, v0
	v_pk_fma_f16 v0, v8, v3, v0
	v_pk_fma_f16 v26, v57, v1, v26
	v_cvt_f32_f16_e32 v1, v0
	v_cvt_f32_f16_sdwa v0, v0 dst_sel:DWORD dst_unused:UNUSED_PAD src0_sel:WORD_1
	v_pk_fma_f16 v26, v58, v2, v26
	v_pk_fma_f16 v26, v59, v3, v26
	v_cvt_f32_f16_e32 v45, v26
	v_add_f32_e32 v0, v1, v0
	v_fmac_f32_e32 v14, v0, v41
	ds_read2_b32 v[0:1], v53 offset0:76 offset1:77
	v_cvt_f32_f16_sdwa v26, v26 dst_sel:DWORD dst_unused:UNUSED_PAD src0_sel:WORD_1
	v_add_f32_e32 v26, v45, v26
	s_waitcnt lgkmcnt(0)
	v_pk_fma_f16 v2, v25, v0, 0
	v_fmac_f32_e32 v13, v26, v42
	v_pk_fma_f16 v26, v10, v1, v2
	ds_read2_b32 v[2:3], v53 offset0:78 offset1:79
	s_waitcnt lgkmcnt(0)
	v_pk_fma_f16 v26, v9, v2, v26
	v_pk_fma_f16 v26, v4, v3, v26
	v_cvt_f32_f16_e32 v45, v26
	v_cvt_f32_f16_sdwa v26, v26 dst_sel:DWORD dst_unused:UNUSED_PAD src0_sel:WORD_1
	v_add_f32_e32 v26, v45, v26
	v_fmac_f32_e32 v15, v26, v44
	v_pk_fma_f16 v26, v62, v0, 0
	v_pk_fma_f16 v26, v63, v1, v26
	;; [unrolled: 1-line block ×4, first 2 shown]
	v_cvt_f32_f16_e32 v45, v26
	v_cvt_f32_f16_sdwa v26, v26 dst_sel:DWORD dst_unused:UNUSED_PAD src0_sel:WORD_1
	v_add_f32_e32 v26, v45, v26
	v_fmac_f32_e32 v16, v26, v43
	v_pk_fma_f16 v26, v56, v0, 0
	v_pk_fma_f16 v0, v54, v0, 0
	;; [unrolled: 1-line block ×6, first 2 shown]
	v_cvt_f32_f16_e32 v1, v0
	v_cvt_f32_f16_sdwa v0, v0 dst_sel:DWORD dst_unused:UNUSED_PAD src0_sel:WORD_1
	v_pk_fma_f16 v26, v58, v2, v26
	v_pk_fma_f16 v26, v59, v3, v26
	v_cvt_f32_f16_e32 v45, v26
	v_add_f32_e32 v0, v1, v0
	v_fmac_f32_e32 v18, v0, v41
	ds_read2_b32 v[0:1], v53 offset0:140 offset1:141
	v_cvt_f32_f16_sdwa v26, v26 dst_sel:DWORD dst_unused:UNUSED_PAD src0_sel:WORD_1
	v_add_f32_e32 v26, v45, v26
	s_waitcnt lgkmcnt(0)
	v_pk_fma_f16 v2, v25, v0, 0
	v_fmac_f32_e32 v17, v26, v42
	v_pk_fma_f16 v26, v10, v1, v2
	ds_read2_b32 v[2:3], v53 offset0:142 offset1:143
	s_waitcnt lgkmcnt(0)
	v_pk_fma_f16 v26, v9, v2, v26
	v_pk_fma_f16 v26, v4, v3, v26
	v_cvt_f32_f16_e32 v45, v26
	v_cvt_f32_f16_sdwa v26, v26 dst_sel:DWORD dst_unused:UNUSED_PAD src0_sel:WORD_1
	v_add_f32_e32 v26, v45, v26
	v_fmac_f32_e32 v19, v26, v44
	v_pk_fma_f16 v26, v62, v0, 0
	v_pk_fma_f16 v26, v63, v1, v26
	;; [unrolled: 1-line block ×4, first 2 shown]
	v_cvt_f32_f16_e32 v45, v26
	v_cvt_f32_f16_sdwa v26, v26 dst_sel:DWORD dst_unused:UNUSED_PAD src0_sel:WORD_1
	v_add_f32_e32 v26, v45, v26
	v_fmac_f32_e32 v20, v26, v43
	v_pk_fma_f16 v26, v56, v0, 0
	v_pk_fma_f16 v0, v54, v0, 0
	;; [unrolled: 1-line block ×8, first 2 shown]
	v_cvt_f32_f16_e32 v1, v0
	v_cvt_f32_f16_sdwa v0, v0 dst_sel:DWORD dst_unused:UNUSED_PAD src0_sel:WORD_1
	ds_read2_b32 v[2:3], v53 offset0:204 offset1:205
	v_cvt_f32_f16_e32 v45, v26
	v_cvt_f32_f16_sdwa v26, v26 dst_sel:DWORD dst_unused:UNUSED_PAD src0_sel:WORD_1
	v_add_f32_e32 v0, v1, v0
	v_fmac_f32_e32 v22, v0, v41
	s_waitcnt lgkmcnt(0)
	v_pk_fma_f16 v0, v25, v2, 0
	v_add_f32_e32 v26, v45, v26
	v_fmac_f32_e32 v21, v26, v42
	v_pk_fma_f16 v26, v10, v3, v0
	ds_read2_b32 v[0:1], v53 offset0:206 offset1:207
	s_waitcnt lgkmcnt(0)
	v_pk_fma_f16 v26, v9, v0, v26
	v_pk_fma_f16 v26, v4, v1, v26
	v_cvt_f32_f16_e32 v45, v26
	v_cvt_f32_f16_sdwa v26, v26 dst_sel:DWORD dst_unused:UNUSED_PAD src0_sel:WORD_1
	v_add_f32_e32 v26, v45, v26
	v_fmac_f32_e32 v23, v26, v44
	v_pk_fma_f16 v26, v62, v2, 0
	v_pk_fma_f16 v26, v63, v3, v26
	;; [unrolled: 1-line block ×4, first 2 shown]
	v_cvt_f32_f16_e32 v45, v26
	v_cvt_f32_f16_sdwa v26, v26 dst_sel:DWORD dst_unused:UNUSED_PAD src0_sel:WORD_1
	v_add_f32_e32 v26, v45, v26
	v_fmac_f32_e32 v24, v26, v43
	v_pk_fma_f16 v26, v56, v2, 0
	v_pk_fma_f16 v2, v54, v2, 0
	;; [unrolled: 1-line block ×8, first 2 shown]
	v_cvt_f32_f16_e32 v1, v0
	v_cvt_f32_f16_sdwa v0, v0 dst_sel:DWORD dst_unused:UNUSED_PAD src0_sel:WORD_1
	v_cvt_f32_f16_e32 v45, v26
	v_cvt_f32_f16_sdwa v26, v26 dst_sel:DWORD dst_unused:UNUSED_PAD src0_sel:WORD_1
	v_add_f32_e32 v0, v1, v0
	v_fmac_f32_e32 v28, v0, v41
	v_mov_b32_e32 v0, s9
	ds_read2_b32 v[0:1], v0 offset1:1
	v_add_f32_e32 v26, v45, v26
	s_add_i32 s9, s6, 0x438
	v_fmac_f32_e32 v27, v26, v42
	s_waitcnt lgkmcnt(0)
	v_pk_fma_f16 v2, v25, v0, 0
	v_pk_fma_f16 v26, v10, v1, v2
	v_mov_b32_e32 v2, s9
	ds_read2_b32 v[2:3], v2 offset1:1
	s_add_i32 s9, s6, 0x530
	s_waitcnt lgkmcnt(0)
	v_pk_fma_f16 v26, v9, v2, v26
	v_pk_fma_f16 v26, v4, v3, v26
	v_cvt_f32_f16_e32 v45, v26
	v_cvt_f32_f16_sdwa v26, v26 dst_sel:DWORD dst_unused:UNUSED_PAD src0_sel:WORD_1
	v_add_f32_e32 v26, v45, v26
	v_fmac_f32_e32 v29, v26, v44
	v_pk_fma_f16 v26, v62, v0, 0
	v_pk_fma_f16 v26, v63, v1, v26
	;; [unrolled: 1-line block ×4, first 2 shown]
	v_cvt_f32_f16_e32 v45, v26
	v_cvt_f32_f16_sdwa v26, v26 dst_sel:DWORD dst_unused:UNUSED_PAD src0_sel:WORD_1
	v_add_f32_e32 v26, v45, v26
	v_fmac_f32_e32 v30, v26, v43
	v_pk_fma_f16 v26, v56, v0, 0
	v_pk_fma_f16 v0, v54, v0, 0
	;; [unrolled: 1-line block ×6, first 2 shown]
	v_cvt_f32_f16_e32 v1, v0
	v_cvt_f32_f16_sdwa v0, v0 dst_sel:DWORD dst_unused:UNUSED_PAD src0_sel:WORD_1
	v_pk_fma_f16 v26, v58, v2, v26
	v_pk_fma_f16 v26, v59, v3, v26
	v_cvt_f32_f16_e32 v45, v26
	v_add_f32_e32 v0, v1, v0
	v_fmac_f32_e32 v32, v0, v41
	v_mov_b32_e32 v0, s9
	ds_read2_b32 v[0:1], v0 offset1:1
	v_cvt_f32_f16_sdwa v26, v26 dst_sel:DWORD dst_unused:UNUSED_PAD src0_sel:WORD_1
	s_add_i32 s9, s6, 0x538
	v_add_f32_e32 v26, v45, v26
	s_waitcnt lgkmcnt(0)
	v_pk_fma_f16 v2, v25, v0, 0
	v_fmac_f32_e32 v31, v26, v42
	v_pk_fma_f16 v26, v10, v1, v2
	v_mov_b32_e32 v2, s9
	ds_read2_b32 v[2:3], v2 offset1:1
	s_add_i32 s9, s6, 0x630
	s_waitcnt lgkmcnt(0)
	v_pk_fma_f16 v26, v9, v2, v26
	v_pk_fma_f16 v26, v4, v3, v26
	v_cvt_f32_f16_e32 v45, v26
	v_cvt_f32_f16_sdwa v26, v26 dst_sel:DWORD dst_unused:UNUSED_PAD src0_sel:WORD_1
	v_add_f32_e32 v26, v45, v26
	v_fmac_f32_e32 v33, v26, v44
	v_pk_fma_f16 v26, v62, v0, 0
	v_pk_fma_f16 v26, v63, v1, v26
	v_pk_fma_f16 v26, v60, v2, v26
	v_pk_fma_f16 v26, v61, v3, v26
	v_cvt_f32_f16_e32 v45, v26
	v_cvt_f32_f16_sdwa v26, v26 dst_sel:DWORD dst_unused:UNUSED_PAD src0_sel:WORD_1
	v_add_f32_e32 v26, v45, v26
	v_fmac_f32_e32 v34, v26, v43
	v_pk_fma_f16 v26, v56, v0, 0
	v_pk_fma_f16 v0, v54, v0, 0
	;; [unrolled: 1-line block ×6, first 2 shown]
	v_cvt_f32_f16_e32 v1, v0
	v_cvt_f32_f16_sdwa v0, v0 dst_sel:DWORD dst_unused:UNUSED_PAD src0_sel:WORD_1
	v_pk_fma_f16 v26, v58, v2, v26
	v_pk_fma_f16 v26, v59, v3, v26
	v_cvt_f32_f16_e32 v45, v26
	v_add_f32_e32 v0, v1, v0
	v_fmac_f32_e32 v36, v0, v41
	v_mov_b32_e32 v0, s9
	ds_read2_b32 v[2:3], v0 offset1:1
	buffer_load_dword v5, off, s[28:31], 0 offset:8 ; 4-byte Folded Reload
	buffer_load_dword v6, off, s[28:31], 0 offset:12 ; 4-byte Folded Reload
	s_add_i32 s9, s6, 0x638
	v_cvt_f32_f16_sdwa v26, v26 dst_sel:DWORD dst_unused:UNUSED_PAD src0_sel:WORD_1
	s_add_i32 s6, s6, 64
	s_waitcnt lgkmcnt(0)
	v_pk_fma_f16 v0, v25, v2, 0
	v_pk_fma_f16 v10, v10, v3, v0
	v_mov_b32_e32 v0, s9
	ds_read2_b32 v[0:1], v0 offset1:1
	v_add_f32_e32 v26, v45, v26
	v_fmac_f32_e32 v35, v26, v42
	s_cmp_ge_i32 s24, s25
	s_waitcnt lgkmcnt(0)
	v_pk_fma_f16 v9, v9, v0, v10
	v_pk_fma_f16 v4, v4, v1, v9
	v_cvt_f32_f16_e32 v9, v4
	v_cvt_f32_f16_sdwa v4, v4 dst_sel:DWORD dst_unused:UNUSED_PAD src0_sel:WORD_1
	v_add_f32_e32 v4, v9, v4
	v_fmac_f32_e32 v37, v4, v44
	v_pk_fma_f16 v4, v62, v2, 0
	v_pk_fma_f16 v4, v63, v3, v4
	;; [unrolled: 1-line block ×4, first 2 shown]
	v_cvt_f32_f16_e32 v9, v4
	v_cvt_f32_f16_sdwa v4, v4 dst_sel:DWORD dst_unused:UNUSED_PAD src0_sel:WORD_1
	v_add_f32_e32 v4, v9, v4
	v_fmac_f32_e32 v38, v4, v43
	v_pk_fma_f16 v4, v56, v2, 0
	v_pk_fma_f16 v2, v54, v2, 0
	;; [unrolled: 1-line block ×8, first 2 shown]
	v_cvt_f32_f16_e32 v1, v0
	v_cvt_f32_f16_sdwa v0, v0 dst_sel:DWORD dst_unused:UNUSED_PAD src0_sel:WORD_1
	v_cvt_f32_f16_e32 v9, v4
	v_cvt_f32_f16_sdwa v4, v4 dst_sel:DWORD dst_unused:UNUSED_PAD src0_sel:WORD_1
	v_add_f32_e32 v0, v1, v0
	v_fmac_f32_e32 v40, v0, v41
	v_add_f32_e32 v4, v9, v4
	v_mov_b32_e32 v0, s1
	v_fmac_f32_e32 v39, v4, v42
	s_waitcnt vmcnt(1)
	v_add_co_u32_e32 v5, vcc, s0, v5
	s_waitcnt vmcnt(0)
	v_addc_co_u32_e32 v6, vcc, v6, v0, vcc
	s_cbranch_scc1 .LBB41_22
; %bb.21:                               ;   in Loop: Header=BB41_20 Depth=1
	buffer_load_dword v25, off, s[28:31], 0 offset:16 ; 4-byte Folded Reload
	s_cmp_lg_u32 s24, s8
	s_cbranch_scc0 .LBB41_19
	s_branch .LBB41_20
.LBB41_22:
	v_cvt_f16_f32_e32 v48, v11
	v_cvt_f16_f32_e32 v3, v12
	;; [unrolled: 1-line block ×28, first 2 shown]
.LBB41_23:
	buffer_load_dword v0, off, s[28:31], 0 offset:20 ; 4-byte Folded Reload
	buffer_load_dword v1, off, s[28:31], 0 offset:24 ; 4-byte Folded Reload
	s_mul_i32 s7, s7, s16
	v_mov_b32_e32 v4, s15
	s_mov_b32 s0, 0x5040100
	v_perm_b32 v22, v3, v48, s0
	s_mov_b64 s[0:1], 0
	s_waitcnt vmcnt(1)
	v_add_u32_e32 v0, s7, v0
	s_waitcnt vmcnt(0)
	v_ashrrev_i32_e32 v1, 31, v0
	v_lshlrev_b64 v[1:2], 1, v[0:1]
	v_add_co_u32_e32 v1, vcc, s14, v1
	v_addc_co_u32_e32 v2, vcc, v4, v2, vcc
	global_load_dword v4, v[1:2], off
.LBB41_24:                              ; =>This Inner Loop Header: Depth=1
	s_waitcnt vmcnt(0)
	v_pk_add_f16 v3, v22, v4
	global_atomic_cmpswap v3, v[1:2], v[3:4], off glc
	s_waitcnt vmcnt(0)
	v_cmp_eq_u32_e32 vcc, v4, v3
	s_or_b64 s[0:1], vcc, s[0:1]
	v_mov_b32_e32 v4, v3
	s_andn2_b64 exec, exec, s[0:1]
	s_cbranch_execnz .LBB41_24
; %bb.25:
	s_or_b64 exec, exec, s[0:1]
	global_load_dword v4, v[1:2], off offset:4
	s_mov_b32 s0, 0x5040100
	v_perm_b32 v22, v46, v47, s0
	s_mov_b64 s[0:1], 0
.LBB41_26:                              ; =>This Inner Loop Header: Depth=1
	s_waitcnt vmcnt(0)
	v_pk_add_f16 v3, v22, v4
	global_atomic_cmpswap v3, v[1:2], v[3:4], off offset:4 glc
	s_waitcnt vmcnt(0)
	v_cmp_eq_u32_e32 vcc, v4, v3
	s_or_b64 s[0:1], vcc, s[0:1]
	v_mov_b32_e32 v4, v3
	s_andn2_b64 exec, exec, s[0:1]
	s_cbranch_execnz .LBB41_26
; %bb.27:
	s_or_b64 exec, exec, s[0:1]
	v_add_u32_e32 v0, s16, v0
	v_ashrrev_i32_e32 v1, 31, v0
	v_lshlrev_b64 v[1:2], 1, v[0:1]
	v_mov_b32_e32 v3, s15
	v_add_co_u32_e32 v1, vcc, s14, v1
	v_addc_co_u32_e32 v2, vcc, v3, v2, vcc
	global_load_dword v4, v[1:2], off
	s_mov_b32 s0, 0x5040100
	v_perm_b32 v22, v44, v45, s0
	s_mov_b64 s[0:1], 0
.LBB41_28:                              ; =>This Inner Loop Header: Depth=1
	s_waitcnt vmcnt(0)
	v_pk_add_f16 v3, v22, v4
	global_atomic_cmpswap v3, v[1:2], v[3:4], off glc
	s_waitcnt vmcnt(0)
	v_cmp_eq_u32_e32 vcc, v4, v3
	s_or_b64 s[0:1], vcc, s[0:1]
	v_mov_b32_e32 v4, v3
	s_andn2_b64 exec, exec, s[0:1]
	s_cbranch_execnz .LBB41_28
; %bb.29:
	s_or_b64 exec, exec, s[0:1]
	global_load_dword v4, v[1:2], off offset:4
	s_mov_b32 s0, 0x5040100
	v_perm_b32 v22, v42, v43, s0
	s_mov_b64 s[0:1], 0
.LBB41_30:                              ; =>This Inner Loop Header: Depth=1
	s_waitcnt vmcnt(0)
	v_pk_add_f16 v3, v22, v4
	global_atomic_cmpswap v3, v[1:2], v[3:4], off offset:4 glc
	s_waitcnt vmcnt(0)
	v_cmp_eq_u32_e32 vcc, v4, v3
	s_or_b64 s[0:1], vcc, s[0:1]
	v_mov_b32_e32 v4, v3
	s_andn2_b64 exec, exec, s[0:1]
	s_cbranch_execnz .LBB41_30
; %bb.31:
	s_or_b64 exec, exec, s[0:1]
	v_add_u32_e32 v0, s16, v0
	v_ashrrev_i32_e32 v1, 31, v0
	v_lshlrev_b64 v[1:2], 1, v[0:1]
	v_mov_b32_e32 v3, s15
	v_add_co_u32_e32 v1, vcc, s14, v1
	v_addc_co_u32_e32 v2, vcc, v3, v2, vcc
	global_load_dword v4, v[1:2], off
	s_mov_b32 s0, 0x5040100
	v_perm_b32 v22, v26, v41, s0
	s_mov_b64 s[0:1], 0
	;; [unrolled: 38-line block ×6, first 2 shown]
.LBB41_48:                              ; =>This Inner Loop Header: Depth=1
	s_waitcnt vmcnt(0)
	v_pk_add_f16 v2, v4, v3
	global_atomic_cmpswap v2, v[0:1], v[2:3], off glc
	s_waitcnt vmcnt(0)
	v_cmp_eq_u32_e32 vcc, v3, v2
	s_or_b64 s[0:1], vcc, s[0:1]
	v_mov_b32_e32 v3, v2
	s_andn2_b64 exec, exec, s[0:1]
	s_cbranch_execnz .LBB41_48
; %bb.49:
	s_or_b64 exec, exec, s[0:1]
	global_load_dword v3, v[0:1], off offset:4
	s_mov_b32 s0, 0x5040100
	v_perm_b32 v4, v5, v6, s0
	s_mov_b64 s[0:1], 0
.LBB41_50:                              ; =>This Inner Loop Header: Depth=1
	s_waitcnt vmcnt(0)
	v_pk_add_f16 v2, v4, v3
	global_atomic_cmpswap v2, v[0:1], v[2:3], off offset:4 glc
	s_waitcnt vmcnt(0)
	v_cmp_eq_u32_e32 vcc, v3, v2
	s_or_b64 s[0:1], vcc, s[0:1]
	v_mov_b32_e32 v3, v2
	s_andn2_b64 exec, exec, s[0:1]
	s_cbranch_execnz .LBB41_50
.LBB41_51:
	s_endpgm
	.section	.rodata,"a",@progbits
	.p2align	6, 0x0
	.amdhsa_kernel _ZN4vllm4gptq33gemm_half_q_half_gptq_4bit_kernelILb1ELi7EEEvPK6__halfPKjS6_S4_PS2_iiiibPKi
		.amdhsa_group_segment_fixed_size 1792
		.amdhsa_private_segment_fixed_size 44
		.amdhsa_kernarg_size 72
		.amdhsa_user_sgpr_count 6
		.amdhsa_user_sgpr_private_segment_buffer 1
		.amdhsa_user_sgpr_dispatch_ptr 0
		.amdhsa_user_sgpr_queue_ptr 0
		.amdhsa_user_sgpr_kernarg_segment_ptr 1
		.amdhsa_user_sgpr_dispatch_id 0
		.amdhsa_user_sgpr_flat_scratch_init 0
		.amdhsa_user_sgpr_private_segment_size 0
		.amdhsa_uses_dynamic_stack 0
		.amdhsa_system_sgpr_private_segment_wavefront_offset 1
		.amdhsa_system_sgpr_workgroup_id_x 1
		.amdhsa_system_sgpr_workgroup_id_y 1
		.amdhsa_system_sgpr_workgroup_id_z 1
		.amdhsa_system_sgpr_workgroup_info 0
		.amdhsa_system_vgpr_workitem_id 0
		.amdhsa_next_free_vgpr 64
		.amdhsa_next_free_sgpr 61
		.amdhsa_reserve_vcc 1
		.amdhsa_reserve_flat_scratch 0
		.amdhsa_float_round_mode_32 0
		.amdhsa_float_round_mode_16_64 0
		.amdhsa_float_denorm_mode_32 3
		.amdhsa_float_denorm_mode_16_64 3
		.amdhsa_dx10_clamp 1
		.amdhsa_ieee_mode 1
		.amdhsa_fp16_overflow 0
		.amdhsa_exception_fp_ieee_invalid_op 0
		.amdhsa_exception_fp_denorm_src 0
		.amdhsa_exception_fp_ieee_div_zero 0
		.amdhsa_exception_fp_ieee_overflow 0
		.amdhsa_exception_fp_ieee_underflow 0
		.amdhsa_exception_fp_ieee_inexact 0
		.amdhsa_exception_int_div_zero 0
	.end_amdhsa_kernel
	.section	.text._ZN4vllm4gptq33gemm_half_q_half_gptq_4bit_kernelILb1ELi7EEEvPK6__halfPKjS6_S4_PS2_iiiibPKi,"axG",@progbits,_ZN4vllm4gptq33gemm_half_q_half_gptq_4bit_kernelILb1ELi7EEEvPK6__halfPKjS6_S4_PS2_iiiibPKi,comdat
.Lfunc_end41:
	.size	_ZN4vllm4gptq33gemm_half_q_half_gptq_4bit_kernelILb1ELi7EEEvPK6__halfPKjS6_S4_PS2_iiiibPKi, .Lfunc_end41-_ZN4vllm4gptq33gemm_half_q_half_gptq_4bit_kernelILb1ELi7EEEvPK6__halfPKjS6_S4_PS2_iiiibPKi
                                        ; -- End function
	.set _ZN4vllm4gptq33gemm_half_q_half_gptq_4bit_kernelILb1ELi7EEEvPK6__halfPKjS6_S4_PS2_iiiibPKi.num_vgpr, 64
	.set _ZN4vllm4gptq33gemm_half_q_half_gptq_4bit_kernelILb1ELi7EEEvPK6__halfPKjS6_S4_PS2_iiiibPKi.num_agpr, 0
	.set _ZN4vllm4gptq33gemm_half_q_half_gptq_4bit_kernelILb1ELi7EEEvPK6__halfPKjS6_S4_PS2_iiiibPKi.numbered_sgpr, 32
	.set _ZN4vllm4gptq33gemm_half_q_half_gptq_4bit_kernelILb1ELi7EEEvPK6__halfPKjS6_S4_PS2_iiiibPKi.num_named_barrier, 0
	.set _ZN4vllm4gptq33gemm_half_q_half_gptq_4bit_kernelILb1ELi7EEEvPK6__halfPKjS6_S4_PS2_iiiibPKi.private_seg_size, 44
	.set _ZN4vllm4gptq33gemm_half_q_half_gptq_4bit_kernelILb1ELi7EEEvPK6__halfPKjS6_S4_PS2_iiiibPKi.uses_vcc, 1
	.set _ZN4vllm4gptq33gemm_half_q_half_gptq_4bit_kernelILb1ELi7EEEvPK6__halfPKjS6_S4_PS2_iiiibPKi.uses_flat_scratch, 0
	.set _ZN4vllm4gptq33gemm_half_q_half_gptq_4bit_kernelILb1ELi7EEEvPK6__halfPKjS6_S4_PS2_iiiibPKi.has_dyn_sized_stack, 0
	.set _ZN4vllm4gptq33gemm_half_q_half_gptq_4bit_kernelILb1ELi7EEEvPK6__halfPKjS6_S4_PS2_iiiibPKi.has_recursion, 0
	.set _ZN4vllm4gptq33gemm_half_q_half_gptq_4bit_kernelILb1ELi7EEEvPK6__halfPKjS6_S4_PS2_iiiibPKi.has_indirect_call, 0
	.section	.AMDGPU.csdata,"",@progbits
; Kernel info:
; codeLenInByte = 12360
; TotalNumSgprs: 36
; NumVgprs: 64
; ScratchSize: 44
; MemoryBound: 0
; FloatMode: 240
; IeeeMode: 1
; LDSByteSize: 1792 bytes/workgroup (compile time only)
; SGPRBlocks: 8
; VGPRBlocks: 15
; NumSGPRsForWavesPerEU: 65
; NumVGPRsForWavesPerEU: 64
; Occupancy: 4
; WaveLimiterHint : 0
; COMPUTE_PGM_RSRC2:SCRATCH_EN: 1
; COMPUTE_PGM_RSRC2:USER_SGPR: 6
; COMPUTE_PGM_RSRC2:TRAP_HANDLER: 0
; COMPUTE_PGM_RSRC2:TGID_X_EN: 1
; COMPUTE_PGM_RSRC2:TGID_Y_EN: 1
; COMPUTE_PGM_RSRC2:TGID_Z_EN: 1
; COMPUTE_PGM_RSRC2:TIDIG_COMP_CNT: 0
	.section	.text._ZN4vllm4gptq33gemm_half_q_half_gptq_8bit_kernelILb1ELi7EEEvPK6__halfPKjS6_S4_PS2_iiiibPKi,"axG",@progbits,_ZN4vllm4gptq33gemm_half_q_half_gptq_8bit_kernelILb1ELi7EEEvPK6__halfPKjS6_S4_PS2_iiiibPKi,comdat
	.protected	_ZN4vllm4gptq33gemm_half_q_half_gptq_8bit_kernelILb1ELi7EEEvPK6__halfPKjS6_S4_PS2_iiiibPKi ; -- Begin function _ZN4vllm4gptq33gemm_half_q_half_gptq_8bit_kernelILb1ELi7EEEvPK6__halfPKjS6_S4_PS2_iiiibPKi
	.globl	_ZN4vllm4gptq33gemm_half_q_half_gptq_8bit_kernelILb1ELi7EEEvPK6__halfPKjS6_S4_PS2_iiiibPKi
	.p2align	8
	.type	_ZN4vllm4gptq33gemm_half_q_half_gptq_8bit_kernelILb1ELi7EEEvPK6__halfPKjS6_S4_PS2_iiiibPKi,@function
_ZN4vllm4gptq33gemm_half_q_half_gptq_8bit_kernelILb1ELi7EEEvPK6__halfPKjS6_S4_PS2_iiiibPKi: ; @_ZN4vllm4gptq33gemm_half_q_half_gptq_8bit_kernelILb1ELi7EEEvPK6__halfPKjS6_S4_PS2_iiiibPKi
; %bb.0:
	s_mov_b64 s[30:31], s[2:3]
	s_load_dwordx4 s[16:19], s[4:5], 0x2c
	s_mov_b64 s[28:29], s[0:1]
	s_add_u32 s28, s28, s9
	s_addc_u32 s29, s29, 0
	s_lshl_b32 s24, s8, 7
	s_add_i32 s0, s24, 0x80
	v_cvt_f64_u32_e32 v[1:2], s0
	s_waitcnt lgkmcnt(0)
	v_cvt_f64_i32_e32 v[3:4], s17
	s_load_dwordx8 s[8:15], s[4:5], 0x8
	s_mul_i32 s7, s7, 7
	v_min_f64 v[1:2], v[1:2], v[3:4]
	v_cvt_i32_f64_e32 v2, v[1:2]
	v_add_u32_e32 v1, s24, v0
	v_readfirstlane_b32 s25, v2
	v_cmp_lt_u32_e32 vcc, v1, v2
	s_and_saveexec_b64 s[2:3], vcc
	s_cbranch_execz .LBB42_16
; %bb.1:
	s_load_dwordx2 s[0:1], s[4:5], 0x40
	s_load_dwordx2 s[20:21], s[4:5], 0x0
	v_mov_b32_e32 v2, 0
	v_lshlrev_b64 v[3:4], 2, v[1:2]
	s_waitcnt lgkmcnt(0)
	v_mov_b32_e32 v5, s1
	v_add_co_u32_e32 v3, vcc, s0, v3
	s_cmp_lg_u64 s[0:1], 0
	v_addc_co_u32_e32 v4, vcc, v5, v4, vcc
	v_mov_b32_e32 v6, v2
	s_cselect_b64 s[4:5], -1, 0
	s_cmp_eq_u64 s[0:1], 0
	v_mov_b32_e32 v5, v1
	s_cbranch_scc1 .LBB42_3
; %bb.2:
	global_load_dword v5, v[3:4], off
	s_waitcnt vmcnt(0)
	v_ashrrev_i32_e32 v6, 31, v5
.LBB42_3:
	s_mul_i32 s22, s7, s17
	s_ashr_i32 s23, s22, 31
	s_lshl_b64 s[0:1], s[22:23], 1
	s_add_u32 s0, s20, s0
	v_lshlrev_b64 v[5:6], 1, v[5:6]
	s_addc_u32 s1, s21, s1
	v_mov_b32_e32 v7, s1
	v_add_co_u32_e32 v5, vcc, s0, v5
	v_addc_co_u32_e32 v6, vcc, v7, v6, vcc
	global_load_ushort v5, v[5:6], off
	v_lshlrev_b32_e32 v7, 1, v0
	v_cndmask_b32_e64 v6, 0, 1, s[4:5]
	v_cmp_ne_u32_e64 s[0:1], 1, v6
	s_andn2_b64 vcc, exec, s[4:5]
	s_waitcnt vmcnt(0)
	ds_write_b16 v7, v5
	v_mov_b32_e32 v6, v2
	v_mov_b32_e32 v5, v1
	s_cbranch_vccnz .LBB42_5
; %bb.4:
	global_load_dword v5, v[3:4], off
	s_waitcnt vmcnt(0)
	v_ashrrev_i32_e32 v6, 31, v5
.LBB42_5:
	s_add_i32 s4, s22, s17
	s_ashr_i32 s5, s4, 31
	s_lshl_b64 s[22:23], s[4:5], 1
	s_add_u32 s5, s20, s22
	v_lshlrev_b64 v[5:6], 1, v[5:6]
	s_addc_u32 s22, s21, s23
	v_mov_b32_e32 v8, s22
	v_add_co_u32_e32 v5, vcc, s5, v5
	v_addc_co_u32_e32 v6, vcc, v8, v6, vcc
	global_load_ushort v5, v[5:6], off
	s_and_b64 vcc, exec, s[0:1]
	s_waitcnt vmcnt(0)
	ds_write_b16 v7, v5 offset:256
	v_mov_b32_e32 v6, v2
	v_mov_b32_e32 v5, v1
	s_cbranch_vccnz .LBB42_7
; %bb.6:
	global_load_dword v5, v[3:4], off
	s_waitcnt vmcnt(0)
	v_ashrrev_i32_e32 v6, 31, v5
.LBB42_7:
	s_add_i32 s4, s4, s17
	s_ashr_i32 s5, s4, 31
	s_lshl_b64 s[22:23], s[4:5], 1
	s_add_u32 s5, s20, s22
	v_lshlrev_b64 v[5:6], 1, v[5:6]
	s_addc_u32 s22, s21, s23
	v_mov_b32_e32 v8, s22
	v_add_co_u32_e32 v5, vcc, s5, v5
	v_addc_co_u32_e32 v6, vcc, v8, v6, vcc
	global_load_ushort v5, v[5:6], off
	s_and_b64 vcc, exec, s[0:1]
	s_waitcnt vmcnt(0)
	ds_write_b16 v7, v5 offset:512
	v_mov_b32_e32 v6, v2
	v_mov_b32_e32 v5, v1
	s_cbranch_vccnz .LBB42_9
; %bb.8:
	global_load_dword v5, v[3:4], off
	s_waitcnt vmcnt(0)
	v_ashrrev_i32_e32 v6, 31, v5
.LBB42_9:
	s_add_i32 s4, s4, s17
	s_ashr_i32 s5, s4, 31
	s_lshl_b64 s[22:23], s[4:5], 1
	s_add_u32 s5, s20, s22
	v_lshlrev_b64 v[5:6], 1, v[5:6]
	s_addc_u32 s22, s21, s23
	v_mov_b32_e32 v8, s22
	v_add_co_u32_e32 v5, vcc, s5, v5
	v_addc_co_u32_e32 v6, vcc, v8, v6, vcc
	global_load_ushort v5, v[5:6], off
	s_and_b64 vcc, exec, s[0:1]
	s_waitcnt vmcnt(0)
	ds_write_b16 v7, v5 offset:768
	v_mov_b32_e32 v6, v2
	v_mov_b32_e32 v5, v1
	s_cbranch_vccnz .LBB42_11
; %bb.10:
	global_load_dword v5, v[3:4], off
	s_waitcnt vmcnt(0)
	v_ashrrev_i32_e32 v6, 31, v5
.LBB42_11:
	s_add_i32 s4, s4, s17
	s_ashr_i32 s5, s4, 31
	s_lshl_b64 s[22:23], s[4:5], 1
	s_add_u32 s5, s20, s22
	v_lshlrev_b64 v[5:6], 1, v[5:6]
	s_addc_u32 s22, s21, s23
	v_mov_b32_e32 v8, s22
	v_add_co_u32_e32 v5, vcc, s5, v5
	v_addc_co_u32_e32 v6, vcc, v8, v6, vcc
	global_load_ushort v5, v[5:6], off
	s_and_b64 vcc, exec, s[0:1]
	s_waitcnt vmcnt(0)
	ds_write_b16 v7, v5 offset:1024
	v_mov_b32_e32 v6, v2
	v_mov_b32_e32 v5, v1
	s_cbranch_vccnz .LBB42_13
; %bb.12:
	global_load_dword v5, v[3:4], off
	s_waitcnt vmcnt(0)
	v_ashrrev_i32_e32 v6, 31, v5
.LBB42_13:
	s_add_i32 s4, s4, s17
	s_ashr_i32 s5, s4, 31
	s_lshl_b64 s[22:23], s[4:5], 1
	s_add_u32 s5, s20, s22
	v_lshlrev_b64 v[5:6], 1, v[5:6]
	s_addc_u32 s22, s21, s23
	v_mov_b32_e32 v8, s22
	v_add_co_u32_e32 v5, vcc, s5, v5
	v_addc_co_u32_e32 v6, vcc, v8, v6, vcc
	global_load_ushort v5, v[5:6], off
	s_and_b64 vcc, exec, s[0:1]
	s_waitcnt vmcnt(0)
	ds_write_b16 v7, v5 offset:1280
	s_cbranch_vccnz .LBB42_15
; %bb.14:
	global_load_dword v1, v[3:4], off
	s_waitcnt vmcnt(0)
	v_ashrrev_i32_e32 v2, 31, v1
.LBB42_15:
	s_add_i32 s0, s4, s17
	s_ashr_i32 s1, s0, 31
	s_lshl_b64 s[0:1], s[0:1], 1
	s_add_u32 s0, s20, s0
	v_lshlrev_b64 v[1:2], 1, v[1:2]
	s_addc_u32 s1, s21, s1
	v_mov_b32_e32 v3, s1
	v_add_co_u32_e32 v1, vcc, s0, v1
	v_addc_co_u32_e32 v2, vcc, v3, v2, vcc
	global_load_ushort v1, v[1:2], off
	s_waitcnt vmcnt(0)
	ds_write_b16 v7, v1 offset:1536
.LBB42_16:
	s_or_b64 exec, exec, s[2:3]
	v_lshlrev_b32_e32 v0, 2, v0
	v_lshl_add_u32 v1, s6, 9, v0
	v_mov_b32_e32 v0, v1
	buffer_store_dword v0, off, s[28:31], 0 offset:152 ; 4-byte Folded Spill
	s_nop 0
	buffer_store_dword v1, off, s[28:31], 0 offset:156 ; 4-byte Folded Spill
	v_cmp_gt_i32_e32 vcc, s16, v1
	s_and_saveexec_b64 s[0:1], vcc
	s_cbranch_execz .LBB42_51
; %bb.17:
	s_abs_i32 s0, s18
	v_cvt_f32_u32_e32 v0, s0
	s_mov_b32 s2, 0
	v_mov_b32_e32 v8, 0
	v_mov_b32_e32 v17, 0
	v_rcp_iflag_f32_e32 v0, v0
	v_mov_b32_e32 v22, 0
	v_mov_b32_e32 v11, 0
	s_cmp_ge_i32 s24, s25
	v_mul_f32_e32 v0, 0x4f7ffffe, v0
	v_cvt_u32_f32_e32 v0, v0
	v_mov_b32_e32 v25, 0
	v_mov_b32_e32 v23, 0
	;; [unrolled: 1-line block ×3, first 2 shown]
	v_readfirstlane_b32 s1, v0
	v_mov_b32_e32 v26, 0
	v_mov_b32_e32 v31, 0
	;; [unrolled: 1-line block ×7, first 2 shown]
	s_waitcnt vmcnt(0) lgkmcnt(0)
	s_barrier
	s_cbranch_scc1 .LBB42_23
; %bb.18:
	buffer_load_dword v1, off, s[28:31], 0 offset:152 ; 4-byte Folded Reload
	buffer_load_dword v2, off, s[28:31], 0 offset:156 ; 4-byte Folded Reload
	s_sub_i32 s6, 0, s0
	s_mul_i32 s6, s6, s1
	s_mul_hi_u32 s6, s1, s6
	s_abs_i32 s5, s17
	s_add_i32 s1, s1, s6
	s_ashr_i32 s3, s17, 31
	s_ashr_i32 s4, s18, 31
	s_mul_hi_u32 s1, s5, s1
	s_xor_b32 s3, s3, s4
	s_mul_i32 s4, s1, s0
	s_sub_i32 s4, s5, s4
	s_add_i32 s5, s1, 1
	s_sub_i32 s6, s4, s0
	s_cmp_ge_u32 s4, s0
	s_cselect_b32 s1, s5, s1
	s_cselect_b32 s4, s6, s4
	s_add_i32 s5, s1, 1
	s_cmp_ge_u32 s4, s0
	s_cselect_b32 s0, s5, s1
	s_xor_b32 s0, s0, s3
	s_sub_i32 s3, s0, s3
	v_cvt_f32_u32_e32 v0, s3
	s_bitcmp1_b32 s19, 0
	s_cselect_b64 s[0:1], -1, 0
	s_sub_i32 s4, 0, s3
	v_rcp_iflag_f32_e32 v0, v0
	s_xor_b64 s[0:1], s[0:1], -1
	v_mov_b32_e32 v4, s11
	v_mov_b32_e32 v9, 0
	v_mul_f32_e32 v0, 0x4f7ffffe, v0
	v_cvt_u32_f32_e32 v0, v0
	v_mov_b32_e32 v32, 0
	v_mov_b32_e32 v33, 0
	;; [unrolled: 1-line block ×3, first 2 shown]
	v_readfirstlane_b32 s5, v0
	s_mul_i32 s4, s4, s5
	s_mul_hi_u32 s4, s5, s4
	s_add_i32 s5, s5, s4
	s_mul_hi_u32 s4, s24, s5
	s_mul_i32 s5, s4, s3
	s_sub_i32 s5, s24, s5
	s_add_i32 s6, s4, 1
	s_sub_i32 s17, s5, s3
	s_cmp_ge_u32 s5, s3
	s_cselect_b32 s4, s6, s4
	s_cselect_b32 s5, s17, s5
	s_add_i32 s6, s4, 1
	s_cmp_ge_u32 s5, s3
	s_cselect_b32 s4, s6, s4
	s_mul_i32 s5, s4, s16
	s_ashr_i32 s6, s5, 31
	s_lshr_b32 s6, s6, 30
	v_mov_b32_e32 v31, 0
	v_mov_b32_e32 v26, 0
	;; [unrolled: 1-line block ×9, first 2 shown]
	s_waitcnt vmcnt(1)
	v_mov_b32_e32 v5, v1
	v_add_u32_e32 v0, s5, v5
	s_add_i32 s5, s5, s6
	s_waitcnt vmcnt(0)
	v_ashrrev_i32_e32 v2, 2, v5
	s_ashr_i32 s5, s5, 2
	buffer_store_dword v2, off, s[28:31], 0 offset:160 ; 4-byte Folded Spill
	v_add_u32_e32 v2, s5, v2
	v_ashrrev_i32_e32 v3, 31, v2
	v_lshlrev_b64 v[2:3], 2, v[2:3]
	v_ashrrev_i32_e32 v1, 31, v0
	v_lshlrev_b64 v[0:1], 1, v[0:1]
	v_add_co_u32_e32 v2, vcc, s10, v2
	v_addc_co_u32_e32 v3, vcc, v4, v3, vcc
	global_load_dword v2, v[2:3], off
	v_mov_b32_e32 v3, s13
	v_add_co_u32_e32 v0, vcc, s12, v0
	v_addc_co_u32_e32 v1, vcc, v3, v1, vcc
	global_load_dwordx2 v[29:30], v[0:1], off
	v_cndmask_b32_e64 v3, 0, 1, s[0:1]
	s_lshr_b32 s0, s24, 2
	v_mov_b32_e32 v0, 0
	s_mul_i32 s0, s16, s0
	buffer_store_dword v0, off, s[28:31], 0 offset:44 ; 4-byte Folded Spill
	v_mov_b32_e32 v0, v5
	s_ashr_i32 s1, s0, 31
	v_ashrrev_i32_e32 v6, 31, v5
	buffer_store_dword v0, off, s[28:31], 0 offset:152 ; 4-byte Folded Spill
	s_nop 0
	buffer_store_dword v1, off, s[28:31], 0 offset:156 ; 4-byte Folded Spill
	s_lshl_b64 s[0:1], s[0:1], 2
	v_lshlrev_b64 v[0:1], 2, v[5:6]
	s_add_u32 s6, s8, s0
	s_addc_u32 s0, s9, s1
	buffer_store_dword v3, off, s[28:31], 0 offset:148 ; 4-byte Folded Spill
	s_ashr_i32 s17, s16, 31
	v_mov_b32_e32 v3, s0
	v_add_co_u32_e32 v0, vcc, s6, v0
	s_add_i32 s5, s3, s24
	s_lshl_b64 s[0:1], s[16:17], 2
	v_addc_co_u32_e32 v1, vcc, v3, v1, vcc
	s_waitcnt vmcnt(5)
	v_and_b32_e32 v3, 0xff, v2
	v_bfe_u32 v5, v2, 8, 8
	v_bfe_u32 v6, v2, 16, 8
	v_lshrrev_b32_e32 v4, 24, v2
.LBB42_19:                              ; =>This Inner Loop Header: Depth=1
	s_cmp_lg_u32 s24, s5
	v_mov_b32_e32 v20, v8
	buffer_store_dword v11, off, s[28:31], 0 offset:4 ; 4-byte Folded Spill
	buffer_store_dword v22, off, s[28:31], 0 offset:8 ; 4-byte Folded Spill
	;; [unrolled: 1-line block ×11, first 2 shown]
	s_cbranch_scc1 .LBB42_21
; %bb.20:                               ;   in Loop: Header=BB42_19 Depth=1
	buffer_load_dword v2, off, s[28:31], 0 offset:160 ; 4-byte Folded Reload
	s_add_i32 s4, s4, 1
	s_mul_i32 s6, s4, s16
	s_ashr_i32 s8, s6, 31
	s_lshr_b32 s8, s8, 30
	s_add_i32 s8, s6, s8
	s_ashr_i32 s8, s8, 2
	s_waitcnt vmcnt(12)
	v_mov_b32_e32 v4, s11
	v_mov_b32_e32 v5, s13
	s_add_i32 s5, s5, s3
	s_waitcnt vmcnt(0)
	v_add_u32_e32 v2, s8, v2
	v_ashrrev_i32_e32 v3, 31, v2
	v_lshlrev_b64 v[2:3], 2, v[2:3]
	v_add_co_u32_e32 v2, vcc, s10, v2
	v_addc_co_u32_e32 v3, vcc, v4, v3, vcc
	global_load_dword v4, v[2:3], off
	s_nop 0
	buffer_load_dword v2, off, s[28:31], 0 offset:152 ; 4-byte Folded Reload
	buffer_load_dword v3, off, s[28:31], 0 offset:156 ; 4-byte Folded Reload
	s_waitcnt vmcnt(1)
	v_add_u32_e32 v2, s6, v2
	s_waitcnt vmcnt(0)
	v_ashrrev_i32_e32 v3, 31, v2
	v_lshlrev_b64 v[2:3], 1, v[2:3]
	v_bfe_u32 v6, v4, 16, 8
	v_add_co_u32_e32 v2, vcc, s12, v2
	v_addc_co_u32_e32 v3, vcc, v5, v3, vcc
	global_load_dwordx2 v[29:30], v[2:3], off
	v_and_b32_e32 v3, 0xff, v4
	v_bfe_u32 v5, v4, 8, 8
	v_lshrrev_b32_e32 v4, 24, v4
.LBB42_21:                              ;   in Loop: Header=BB42_19 Depth=1
	buffer_load_dword v2, off, s[28:31], 0 offset:148 ; 4-byte Folded Reload
	v_add_co_u32_e32 v12, vcc, s0, v0
	s_waitcnt vmcnt(14)
	buffer_store_dword v5, off, s[28:31], 0 offset:136 ; 4-byte Folded Spill
	s_waitcnt vmcnt(14)
	buffer_store_dword v6, off, s[28:31], 0 offset:140 ; 4-byte Folded Spill
	s_waitcnt vmcnt(14)
	buffer_store_dword v4, off, s[28:31], 0 offset:144 ; 4-byte Folded Spill
	buffer_store_dword v3, off, s[28:31], 0 offset:132 ; 4-byte Folded Spill
	v_mov_b32_e32 v19, s2
	s_add_i32 s24, s24, 32
	s_waitcnt vmcnt(4)
	v_add_u32_e32 v31, v5, v2
	v_add_u32_e32 v28, v6, v2
	v_add_u32_e32 v22, v4, v2
	global_load_dwordx4 v[4:7], v[0:1], off
	v_mov_b32_e32 v0, s1
	v_addc_co_u32_e32 v13, vcc, v1, v0, vcc
	v_add_u32_e32 v32, v3, v2
	buffer_store_dword v0, off, s[28:31], 0 ; 4-byte Folded Spill
	global_load_dwordx4 v[0:3], v[12:13], off
	s_waitcnt vmcnt(2)
	v_sub_u32_sdwa v8, v4, v32 dst_sel:DWORD dst_unused:UNUSED_PAD src0_sel:BYTE_0 src1_sel:DWORD
	v_cvt_f32_i32_e32 v8, v8
	v_cvt_f16_f32_e32 v24, v8
	v_sub_u32_sdwa v8, v4, v32 dst_sel:DWORD dst_unused:UNUSED_PAD src0_sel:BYTE_1 src1_sel:DWORD
	v_cvt_f32_i32_e32 v8, v8
	v_cvt_f16_f32_e32 v25, v8
	v_sub_u32_sdwa v8, v4, v32 dst_sel:DWORD dst_unused:UNUSED_PAD src0_sel:BYTE_2 src1_sel:DWORD
	v_sub_u32_sdwa v4, v4, v32 dst_sel:DWORD dst_unused:UNUSED_PAD src0_sel:BYTE_3 src1_sel:DWORD
	v_cvt_f32_i32_e32 v4, v4
	v_cvt_f32_i32_e32 v8, v8
	v_cvt_f16_f32_e32 v63, v4
	s_waitcnt vmcnt(0)
	v_sub_u32_sdwa v4, v0, v32 dst_sel:DWORD dst_unused:UNUSED_PAD src0_sel:BYTE_0 src1_sel:DWORD
	v_cvt_f32_i32_e32 v4, v4
	v_cvt_f16_f32_e32 v18, v8
	ds_read_b128 v[37:40], v19
	ds_read_b128 v[8:11], v19 offset:16
	ds_read_b128 v[33:36], v19 offset:32
	;; [unrolled: 1-line block ×3, first 2 shown]
	buffer_load_dword v23, off, s[28:31], 0 offset:8 ; 4-byte Folded Reload
	v_cvt_f16_f32_e32 v14, v4
	v_sub_u32_sdwa v4, v0, v32 dst_sel:DWORD dst_unused:UNUSED_PAD src0_sel:BYTE_1 src1_sel:DWORD
	v_cvt_f32_i32_e32 v4, v4
	v_cvt_f16_f32_e32 v16, v4
	v_sub_u32_sdwa v4, v0, v32 dst_sel:DWORD dst_unused:UNUSED_PAD src0_sel:BYTE_2 src1_sel:DWORD
	v_sub_u32_sdwa v0, v0, v32 dst_sel:DWORD dst_unused:UNUSED_PAD src0_sel:BYTE_3 src1_sel:DWORD
	v_cvt_f32_i32_e32 v0, v0
	v_cvt_f32_i32_e32 v4, v4
	v_cvt_f16_f32_e32 v42, v0
	v_sub_u32_sdwa v0, v5, v31 dst_sel:DWORD dst_unused:UNUSED_PAD src0_sel:BYTE_0 src1_sel:DWORD
	v_cvt_f32_i32_e32 v0, v0
	v_cvt_f16_f32_e32 v41, v4
	v_sub_u32_sdwa v4, v7, v22 dst_sel:DWORD dst_unused:UNUSED_PAD src0_sel:BYTE_3 src1_sel:DWORD
	v_cvt_f32_i32_e32 v4, v4
	v_cvt_f16_f32_e32 v43, v0
	v_sub_u32_sdwa v0, v5, v31 dst_sel:DWORD dst_unused:UNUSED_PAD src0_sel:BYTE_1 src1_sel:DWORD
	v_cvt_f32_i32_e32 v0, v0
	v_cvt_f16_f32_e32 v26, v4
	v_sub_u32_sdwa v4, v3, v22 dst_sel:DWORD dst_unused:UNUSED_PAD src0_sel:BYTE_0 src1_sel:DWORD
	v_cvt_f32_i32_e32 v4, v4
	v_cvt_f16_f32_e32 v44, v0
	v_sub_u32_sdwa v0, v5, v31 dst_sel:DWORD dst_unused:UNUSED_PAD src0_sel:BYTE_2 src1_sel:DWORD
	v_cvt_f32_i32_e32 v0, v0
	v_cvt_f16_f32_e32 v4, v4
	v_cvt_f16_f32_e32 v45, v0
	v_sub_u32_sdwa v0, v5, v31 dst_sel:DWORD dst_unused:UNUSED_PAD src0_sel:BYTE_3 src1_sel:DWORD
	v_cvt_f32_i32_e32 v0, v0
	v_sub_u32_sdwa v5, v3, v22 dst_sel:DWORD dst_unused:UNUSED_PAD src0_sel:BYTE_1 src1_sel:DWORD
	v_cvt_f32_i32_e32 v5, v5
	v_cvt_f16_f32_e32 v46, v0
	v_sub_u32_sdwa v0, v1, v31 dst_sel:DWORD dst_unused:UNUSED_PAD src0_sel:BYTE_0 src1_sel:DWORD
	v_cvt_f32_i32_e32 v0, v0
	v_cvt_f16_f32_e32 v5, v5
	v_cvt_f16_f32_e32 v47, v0
	v_sub_u32_sdwa v0, v1, v31 dst_sel:DWORD dst_unused:UNUSED_PAD src0_sel:BYTE_1 src1_sel:DWORD
	v_cvt_f32_i32_e32 v0, v0
	v_cvt_f16_f32_e32 v48, v0
	v_sub_u32_sdwa v0, v1, v31 dst_sel:DWORD dst_unused:UNUSED_PAD src0_sel:BYTE_2 src1_sel:DWORD
	v_cvt_f32_i32_e32 v0, v0
	v_cvt_f16_f32_e32 v49, v0
	v_sub_u32_sdwa v0, v1, v31 dst_sel:DWORD dst_unused:UNUSED_PAD src0_sel:BYTE_3 src1_sel:DWORD
	v_cvt_f32_i32_e32 v0, v0
	v_sub_u32_sdwa v1, v7, v22 dst_sel:DWORD dst_unused:UNUSED_PAD src0_sel:BYTE_1 src1_sel:DWORD
	v_cvt_f32_i32_e32 v1, v1
	v_cvt_f16_f32_e32 v50, v0
	v_sub_u32_sdwa v0, v6, v28 dst_sel:DWORD dst_unused:UNUSED_PAD src0_sel:BYTE_0 src1_sel:DWORD
	v_cvt_f32_i32_e32 v0, v0
	v_cvt_f16_f32_e32 v1, v1
	v_cvt_f16_f32_e32 v51, v0
	v_sub_u32_sdwa v0, v6, v28 dst_sel:DWORD dst_unused:UNUSED_PAD src0_sel:BYTE_1 src1_sel:DWORD
	v_cvt_f32_i32_e32 v0, v0
	v_cvt_f16_f32_e32 v52, v0
	v_sub_u32_sdwa v0, v6, v28 dst_sel:DWORD dst_unused:UNUSED_PAD src0_sel:BYTE_2 src1_sel:DWORD
	v_cvt_f32_i32_e32 v0, v0
	v_cvt_f16_f32_e32 v53, v0
	v_sub_u32_sdwa v0, v6, v28 dst_sel:DWORD dst_unused:UNUSED_PAD src0_sel:BYTE_3 src1_sel:DWORD
	v_cvt_f32_i32_e32 v0, v0
	v_sub_u32_sdwa v6, v3, v22 dst_sel:DWORD dst_unused:UNUSED_PAD src0_sel:BYTE_2 src1_sel:DWORD
	v_cvt_f32_i32_e32 v6, v6
	v_sub_u32_sdwa v3, v3, v22 dst_sel:DWORD dst_unused:UNUSED_PAD src0_sel:BYTE_3 src1_sel:DWORD
	v_cvt_f16_f32_e32 v54, v0
	v_sub_u32_sdwa v0, v2, v28 dst_sel:DWORD dst_unused:UNUSED_PAD src0_sel:BYTE_0 src1_sel:DWORD
	v_cvt_f32_i32_e32 v0, v0
	v_cvt_f16_f32_e32 v15, v6
	s_waitcnt lgkmcnt(3)
	v_fma_mix_f32 v6, v24, v37, 0 op_sel_hi:[1,1,0]
	v_fma_mix_f32 v6, v25, v37, v6 op_sel:[0,1,0] op_sel_hi:[1,1,0]
	v_cvt_f16_f32_e32 v55, v0
	v_sub_u32_sdwa v0, v2, v28 dst_sel:DWORD dst_unused:UNUSED_PAD src0_sel:BYTE_1 src1_sel:DWORD
	v_cvt_f32_i32_e32 v0, v0
	v_fma_mix_f32 v6, v18, v38, v6 op_sel_hi:[1,1,0]
	v_fma_mix_f32 v6, v63, v38, v6 op_sel:[0,1,0] op_sel_hi:[1,1,0]
	v_fma_mix_f32 v6, v14, v39, v6 op_sel_hi:[1,1,0]
	v_cvt_f16_f32_e32 v56, v0
	v_sub_u32_sdwa v0, v2, v28 dst_sel:DWORD dst_unused:UNUSED_PAD src0_sel:BYTE_2 src1_sel:DWORD
	v_cvt_f32_i32_e32 v0, v0
	v_fma_mix_f32 v6, v16, v39, v6 op_sel:[0,1,0] op_sel_hi:[1,1,0]
	v_fma_mix_f32 v6, v41, v40, v6 op_sel_hi:[1,1,0]
	v_fma_mix_f32 v6, v42, v40, v6 op_sel:[0,1,0] op_sel_hi:[1,1,0]
	v_cvt_f16_f32_e32 v57, v0
	v_sub_u32_sdwa v0, v2, v28 dst_sel:DWORD dst_unused:UNUSED_PAD src0_sel:BYTE_3 src1_sel:DWORD
	v_cvt_f32_i32_e32 v0, v0
	v_sub_u32_sdwa v2, v7, v22 dst_sel:DWORD dst_unused:UNUSED_PAD src0_sel:BYTE_2 src1_sel:DWORD
	v_fma_mixlo_f16 v6, v6, v29, 0 op_sel_hi:[0,1,0]
	v_cvt_f32_i32_e32 v2, v2
	v_cvt_f16_f32_e32 v58, v0
	v_sub_u32_sdwa v0, v7, v22 dst_sel:DWORD dst_unused:UNUSED_PAD src0_sel:BYTE_0 src1_sel:DWORD
	v_mov_b32_e32 v7, v20
	v_add_f16_e32 v20, v7, v6
	v_fma_mix_f32 v6, v43, v37, 0 op_sel_hi:[1,1,0]
	v_fma_mix_f32 v6, v44, v37, v6 op_sel:[0,1,0] op_sel_hi:[1,1,0]
	v_fma_mix_f32 v6, v45, v38, v6 op_sel_hi:[1,1,0]
	v_fma_mix_f32 v6, v46, v38, v6 op_sel:[0,1,0] op_sel_hi:[1,1,0]
	v_fma_mix_f32 v6, v47, v39, v6 op_sel_hi:[1,1,0]
	v_fma_mix_f32 v6, v48, v39, v6 op_sel:[0,1,0] op_sel_hi:[1,1,0]
	v_fma_mix_f32 v6, v49, v40, v6 op_sel_hi:[1,1,0]
	v_fma_mix_f32 v6, v50, v40, v6 op_sel:[0,1,0] op_sel_hi:[1,1,0]
	v_fma_mixlo_f16 v6, v6, v29, 0 op_sel:[0,1,0] op_sel_hi:[0,1,0]
	v_add_f16_sdwa v21, v7, v6 dst_sel:DWORD dst_unused:UNUSED_PAD src0_sel:WORD_1 src1_sel:DWORD
	v_fma_mix_f32 v6, v51, v37, 0 op_sel_hi:[1,1,0]
	v_cvt_f32_i32_e32 v0, v0
	v_fma_mix_f32 v6, v52, v37, v6 op_sel:[0,1,0] op_sel_hi:[1,1,0]
	v_fma_mix_f32 v6, v53, v38, v6 op_sel_hi:[1,1,0]
	v_fma_mix_f32 v6, v54, v38, v6 op_sel:[0,1,0] op_sel_hi:[1,1,0]
	v_fma_mix_f32 v6, v55, v39, v6 op_sel_hi:[1,1,0]
	v_cvt_f16_f32_e32 v0, v0
	v_fma_mix_f32 v6, v56, v39, v6 op_sel:[0,1,0] op_sel_hi:[1,1,0]
	v_fma_mix_f32 v6, v57, v40, v6 op_sel_hi:[1,1,0]
	v_cvt_f16_f32_e32 v2, v2
	v_fma_mix_f32 v6, v58, v40, v6 op_sel:[0,1,0] op_sel_hi:[1,1,0]
	v_cvt_f32_i32_e32 v3, v3
	v_fma_mixlo_f16 v6, v6, v30, 0 op_sel_hi:[0,1,0]
	v_mov_b32_e32 v7, v17
	v_add_f16_e32 v17, v7, v6
	v_fma_mix_f32 v6, v0, v37, 0 op_sel_hi:[1,1,0]
	v_fma_mix_f32 v6, v1, v37, v6 op_sel:[0,1,0] op_sel_hi:[1,1,0]
	v_fma_mix_f32 v6, v2, v38, v6 op_sel_hi:[1,1,0]
	v_cvt_f16_f32_e32 v3, v3
	v_fma_mix_f32 v6, v26, v38, v6 op_sel:[0,1,0] op_sel_hi:[1,1,0]
	v_fma_mix_f32 v6, v4, v39, v6 op_sel_hi:[1,1,0]
	v_fma_mix_f32 v6, v5, v39, v6 op_sel:[0,1,0] op_sel_hi:[1,1,0]
	v_fma_mix_f32 v6, v15, v40, v6 op_sel_hi:[1,1,0]
	v_fma_mix_f32 v6, v3, v40, v6 op_sel:[0,1,0] op_sel_hi:[1,1,0]
	ds_read_b128 v[37:40], v19 offset:256
	v_fma_mixlo_f16 v6, v6, v30, 0 op_sel:[0,1,0] op_sel_hi:[0,1,0]
	v_add_f16_sdwa v27, v7, v6 dst_sel:DWORD dst_unused:UNUSED_PAD src0_sel:WORD_1 src1_sel:DWORD
	s_waitcnt lgkmcnt(0)
	v_fma_mix_f32 v6, v24, v37, 0 op_sel_hi:[1,1,0]
	v_fma_mix_f32 v6, v25, v37, v6 op_sel:[0,1,0] op_sel_hi:[1,1,0]
	v_fma_mix_f32 v7, v43, v37, 0 op_sel_hi:[1,1,0]
	v_fma_mix_f32 v6, v18, v38, v6 op_sel_hi:[1,1,0]
	v_fma_mix_f32 v7, v44, v37, v7 op_sel:[0,1,0] op_sel_hi:[1,1,0]
	v_fma_mix_f32 v6, v63, v38, v6 op_sel:[0,1,0] op_sel_hi:[1,1,0]
	v_fma_mix_f32 v7, v45, v38, v7 op_sel_hi:[1,1,0]
	v_fma_mix_f32 v6, v14, v39, v6 op_sel_hi:[1,1,0]
	v_fma_mix_f32 v7, v46, v38, v7 op_sel:[0,1,0] op_sel_hi:[1,1,0]
	;; [unrolled: 4-line block ×3, first 2 shown]
	v_fma_mix_f32 v6, v42, v40, v6 op_sel:[0,1,0] op_sel_hi:[1,1,0]
	v_fma_mix_f32 v7, v49, v40, v7 op_sel_hi:[1,1,0]
	v_fma_mixlo_f16 v6, v6, v29, 0 op_sel_hi:[0,1,0]
	v_fma_mix_f32 v7, v50, v40, v7 op_sel:[0,1,0] op_sel_hi:[1,1,0]
	s_waitcnt vmcnt(0)
	v_add_f16_e32 v6, v23, v6
	v_fma_mixlo_f16 v7, v7, v29, 0 op_sel:[0,1,0] op_sel_hi:[0,1,0]
	buffer_store_dword v6, off, s[28:31], 0 offset:116 ; 4-byte Folded Spill
	v_add_f16_sdwa v6, v23, v7 dst_sel:DWORD dst_unused:UNUSED_PAD src0_sel:WORD_1 src1_sel:DWORD
	buffer_load_dword v7, off, s[28:31], 0 offset:4 ; 4-byte Folded Reload
	s_nop 0
	buffer_store_dword v6, off, s[28:31], 0 offset:120 ; 4-byte Folded Spill
	v_fma_mix_f32 v6, v51, v37, 0 op_sel_hi:[1,1,0]
	v_fma_mix_f32 v6, v52, v37, v6 op_sel:[0,1,0] op_sel_hi:[1,1,0]
	v_fma_mix_f32 v6, v53, v38, v6 op_sel_hi:[1,1,0]
	v_fma_mix_f32 v6, v54, v38, v6 op_sel:[0,1,0] op_sel_hi:[1,1,0]
	v_fma_mix_f32 v6, v55, v39, v6 op_sel_hi:[1,1,0]
	v_fma_mix_f32 v6, v56, v39, v6 op_sel:[0,1,0] op_sel_hi:[1,1,0]
	v_fma_mix_f32 v6, v57, v40, v6 op_sel_hi:[1,1,0]
	v_fma_mix_f32 v6, v58, v40, v6 op_sel:[0,1,0] op_sel_hi:[1,1,0]
	v_fma_mixlo_f16 v6, v6, v30, 0 op_sel_hi:[0,1,0]
	s_waitcnt vmcnt(1)
	v_add_f16_e32 v6, v7, v6
	buffer_store_dword v6, off, s[28:31], 0 offset:124 ; 4-byte Folded Spill
	v_fma_mix_f32 v6, v0, v37, 0 op_sel_hi:[1,1,0]
	v_fma_mix_f32 v6, v1, v37, v6 op_sel:[0,1,0] op_sel_hi:[1,1,0]
	v_fma_mix_f32 v6, v2, v38, v6 op_sel_hi:[1,1,0]
	v_fma_mix_f32 v6, v26, v38, v6 op_sel:[0,1,0] op_sel_hi:[1,1,0]
	v_fma_mix_f32 v6, v4, v39, v6 op_sel_hi:[1,1,0]
	v_fma_mix_f32 v6, v5, v39, v6 op_sel:[0,1,0] op_sel_hi:[1,1,0]
	v_fma_mix_f32 v6, v15, v40, v6 op_sel_hi:[1,1,0]
	v_fma_mix_f32 v6, v3, v40, v6 op_sel:[0,1,0] op_sel_hi:[1,1,0]
	v_fma_mixlo_f16 v6, v6, v30, 0 op_sel:[0,1,0] op_sel_hi:[0,1,0]
	v_add_f16_sdwa v6, v7, v6 dst_sel:DWORD dst_unused:UNUSED_PAD src0_sel:WORD_1 src1_sel:DWORD
	buffer_load_dword v7, off, s[28:31], 0 offset:16 ; 4-byte Folded Reload
	ds_read_b128 v[37:40], v19 offset:512
	buffer_store_dword v6, off, s[28:31], 0 offset:128 ; 4-byte Folded Spill
	s_waitcnt lgkmcnt(0)
	v_fma_mix_f32 v6, v24, v37, 0 op_sel_hi:[1,1,0]
	v_fma_mix_f32 v6, v25, v37, v6 op_sel:[0,1,0] op_sel_hi:[1,1,0]
	v_fma_mix_f32 v6, v18, v38, v6 op_sel_hi:[1,1,0]
	v_fma_mix_f32 v6, v63, v38, v6 op_sel:[0,1,0] op_sel_hi:[1,1,0]
	v_fma_mix_f32 v6, v14, v39, v6 op_sel_hi:[1,1,0]
	v_fma_mix_f32 v6, v16, v39, v6 op_sel:[0,1,0] op_sel_hi:[1,1,0]
	v_fma_mix_f32 v6, v41, v40, v6 op_sel_hi:[1,1,0]
	v_fma_mix_f32 v6, v42, v40, v6 op_sel:[0,1,0] op_sel_hi:[1,1,0]
	v_fma_mixlo_f16 v6, v6, v29, 0 op_sel_hi:[0,1,0]
	s_waitcnt vmcnt(1)
	v_add_f16_e32 v6, v7, v6
	buffer_store_dword v6, off, s[28:31], 0 offset:52 ; 4-byte Folded Spill
	v_fma_mix_f32 v6, v43, v37, 0 op_sel_hi:[1,1,0]
	v_fma_mix_f32 v6, v44, v37, v6 op_sel:[0,1,0] op_sel_hi:[1,1,0]
	v_fma_mix_f32 v6, v45, v38, v6 op_sel_hi:[1,1,0]
	v_fma_mix_f32 v6, v46, v38, v6 op_sel:[0,1,0] op_sel_hi:[1,1,0]
	v_fma_mix_f32 v6, v47, v39, v6 op_sel_hi:[1,1,0]
	v_fma_mix_f32 v6, v48, v39, v6 op_sel:[0,1,0] op_sel_hi:[1,1,0]
	v_fma_mix_f32 v6, v49, v40, v6 op_sel_hi:[1,1,0]
	v_fma_mix_f32 v6, v50, v40, v6 op_sel:[0,1,0] op_sel_hi:[1,1,0]
	v_fma_mixlo_f16 v6, v6, v29, 0 op_sel:[0,1,0] op_sel_hi:[0,1,0]
	v_add_f16_sdwa v6, v7, v6 dst_sel:DWORD dst_unused:UNUSED_PAD src0_sel:WORD_1 src1_sel:DWORD
	buffer_load_dword v7, off, s[28:31], 0 offset:12 ; 4-byte Folded Reload
	s_nop 0
	buffer_store_dword v6, off, s[28:31], 0 offset:56 ; 4-byte Folded Spill
	v_fma_mix_f32 v6, v51, v37, 0 op_sel_hi:[1,1,0]
	v_fma_mix_f32 v6, v52, v37, v6 op_sel:[0,1,0] op_sel_hi:[1,1,0]
	v_fma_mix_f32 v6, v53, v38, v6 op_sel_hi:[1,1,0]
	v_fma_mix_f32 v6, v54, v38, v6 op_sel:[0,1,0] op_sel_hi:[1,1,0]
	v_fma_mix_f32 v6, v55, v39, v6 op_sel_hi:[1,1,0]
	v_fma_mix_f32 v6, v56, v39, v6 op_sel:[0,1,0] op_sel_hi:[1,1,0]
	v_fma_mix_f32 v6, v57, v40, v6 op_sel_hi:[1,1,0]
	v_fma_mix_f32 v6, v58, v40, v6 op_sel:[0,1,0] op_sel_hi:[1,1,0]
	v_fma_mixlo_f16 v6, v6, v30, 0 op_sel_hi:[0,1,0]
	s_waitcnt vmcnt(1)
	v_add_f16_e32 v6, v7, v6
	buffer_store_dword v6, off, s[28:31], 0 offset:60 ; 4-byte Folded Spill
	v_fma_mix_f32 v6, v0, v37, 0 op_sel_hi:[1,1,0]
	v_fma_mix_f32 v6, v1, v37, v6 op_sel:[0,1,0] op_sel_hi:[1,1,0]
	v_fma_mix_f32 v6, v2, v38, v6 op_sel_hi:[1,1,0]
	v_fma_mix_f32 v6, v26, v38, v6 op_sel:[0,1,0] op_sel_hi:[1,1,0]
	v_fma_mix_f32 v6, v4, v39, v6 op_sel_hi:[1,1,0]
	v_fma_mix_f32 v6, v5, v39, v6 op_sel:[0,1,0] op_sel_hi:[1,1,0]
	v_fma_mix_f32 v6, v15, v40, v6 op_sel_hi:[1,1,0]
	v_fma_mix_f32 v6, v3, v40, v6 op_sel:[0,1,0] op_sel_hi:[1,1,0]
	v_fma_mixlo_f16 v6, v6, v30, 0 op_sel:[0,1,0] op_sel_hi:[0,1,0]
	v_add_f16_sdwa v6, v7, v6 dst_sel:DWORD dst_unused:UNUSED_PAD src0_sel:WORD_1 src1_sel:DWORD
	buffer_load_dword v7, off, s[28:31], 0 offset:24 ; 4-byte Folded Reload
	ds_read_b128 v[37:40], v19 offset:768
	buffer_store_dword v6, off, s[28:31], 0 offset:112 ; 4-byte Folded Spill
	s_waitcnt lgkmcnt(0)
	v_fma_mix_f32 v6, v24, v37, 0 op_sel_hi:[1,1,0]
	v_fma_mix_f32 v6, v25, v37, v6 op_sel:[0,1,0] op_sel_hi:[1,1,0]
	v_fma_mix_f32 v6, v18, v38, v6 op_sel_hi:[1,1,0]
	v_fma_mix_f32 v6, v63, v38, v6 op_sel:[0,1,0] op_sel_hi:[1,1,0]
	v_fma_mix_f32 v6, v14, v39, v6 op_sel_hi:[1,1,0]
	v_fma_mix_f32 v6, v16, v39, v6 op_sel:[0,1,0] op_sel_hi:[1,1,0]
	v_fma_mix_f32 v6, v41, v40, v6 op_sel_hi:[1,1,0]
	v_fma_mix_f32 v6, v42, v40, v6 op_sel:[0,1,0] op_sel_hi:[1,1,0]
	v_fma_mixlo_f16 v6, v6, v29, 0 op_sel_hi:[0,1,0]
	s_waitcnt vmcnt(1)
	v_add_f16_e32 v6, v7, v6
	buffer_store_dword v6, off, s[28:31], 0 offset:64 ; 4-byte Folded Spill
	v_fma_mix_f32 v6, v43, v37, 0 op_sel_hi:[1,1,0]
	v_fma_mix_f32 v6, v44, v37, v6 op_sel:[0,1,0] op_sel_hi:[1,1,0]
	v_fma_mix_f32 v6, v45, v38, v6 op_sel_hi:[1,1,0]
	v_fma_mix_f32 v6, v46, v38, v6 op_sel:[0,1,0] op_sel_hi:[1,1,0]
	v_fma_mix_f32 v6, v47, v39, v6 op_sel_hi:[1,1,0]
	v_fma_mix_f32 v6, v48, v39, v6 op_sel:[0,1,0] op_sel_hi:[1,1,0]
	v_fma_mix_f32 v6, v49, v40, v6 op_sel_hi:[1,1,0]
	v_fma_mix_f32 v6, v50, v40, v6 op_sel:[0,1,0] op_sel_hi:[1,1,0]
	v_fma_mixlo_f16 v6, v6, v29, 0 op_sel:[0,1,0] op_sel_hi:[0,1,0]
	;; [unrolled: 51-line block ×4, first 2 shown]
	v_add_f16_sdwa v6, v7, v6 dst_sel:DWORD dst_unused:UNUSED_PAD src0_sel:WORD_1 src1_sel:DWORD
	buffer_load_dword v7, off, s[28:31], 0 offset:36 ; 4-byte Folded Reload
	s_nop 0
	buffer_store_dword v6, off, s[28:31], 0 offset:84 ; 4-byte Folded Spill
	v_fma_mix_f32 v6, v51, v37, 0 op_sel_hi:[1,1,0]
	v_fma_mix_f32 v6, v52, v37, v6 op_sel:[0,1,0] op_sel_hi:[1,1,0]
	v_fma_mix_f32 v6, v53, v38, v6 op_sel_hi:[1,1,0]
	v_fma_mix_f32 v6, v54, v38, v6 op_sel:[0,1,0] op_sel_hi:[1,1,0]
	;; [unrolled: 2-line block ×4, first 2 shown]
	v_fma_mixlo_f16 v6, v6, v30, 0 op_sel_hi:[0,1,0]
	s_waitcnt vmcnt(1)
	v_add_f16_e32 v6, v7, v6
	buffer_store_dword v6, off, s[28:31], 0 offset:88 ; 4-byte Folded Spill
	v_fma_mix_f32 v6, v0, v37, 0 op_sel_hi:[1,1,0]
	v_fma_mix_f32 v6, v1, v37, v6 op_sel:[0,1,0] op_sel_hi:[1,1,0]
	v_fma_mix_f32 v6, v2, v38, v6 op_sel_hi:[1,1,0]
	v_fma_mix_f32 v6, v26, v38, v6 op_sel:[0,1,0] op_sel_hi:[1,1,0]
	;; [unrolled: 2-line block ×4, first 2 shown]
	ds_read_b128 v[37:40], v19 offset:1536
	v_fma_mixlo_f16 v6, v6, v30, 0 op_sel:[0,1,0] op_sel_hi:[0,1,0]
	v_add_f16_sdwa v6, v7, v6 dst_sel:DWORD dst_unused:UNUSED_PAD src0_sel:WORD_1 src1_sel:DWORD
	buffer_store_dword v6, off, s[28:31], 0 offset:92 ; 4-byte Folded Spill
	s_waitcnt lgkmcnt(0)
	v_fma_mix_f32 v6, v24, v37, 0 op_sel_hi:[1,1,0]
	v_fma_mix_f32 v6, v25, v37, v6 op_sel:[0,1,0] op_sel_hi:[1,1,0]
	v_fma_mix_f32 v6, v18, v38, v6 op_sel_hi:[1,1,0]
	v_fma_mix_f32 v6, v63, v38, v6 op_sel:[0,1,0] op_sel_hi:[1,1,0]
	v_fma_mix_f32 v6, v14, v39, v6 op_sel_hi:[1,1,0]
	buffer_load_dword v14, off, s[28:31], 0 offset:48 ; 4-byte Folded Reload
	v_fma_mix_f32 v6, v16, v39, v6 op_sel:[0,1,0] op_sel_hi:[1,1,0]
	v_fma_mix_f32 v6, v41, v40, v6 op_sel_hi:[1,1,0]
	v_fma_mix_f32 v6, v42, v40, v6 op_sel:[0,1,0] op_sel_hi:[1,1,0]
	v_fma_mixlo_f16 v6, v6, v29, 0 op_sel_hi:[0,1,0]
	v_fma_mix_f32 v0, v0, v37, 0 op_sel_hi:[1,1,0]
	v_fma_mix_f32 v0, v1, v37, v0 op_sel:[0,1,0] op_sel_hi:[1,1,0]
	v_fma_mix_f32 v0, v2, v38, v0 op_sel_hi:[1,1,0]
	v_fma_mix_f32 v0, v26, v38, v0 op_sel:[0,1,0] op_sel_hi:[1,1,0]
	;; [unrolled: 2-line block ×4, first 2 shown]
	v_fma_mixlo_f16 v0, v0, v30, 0 op_sel:[0,1,0] op_sel_hi:[0,1,0]
	buffer_load_dword v2, off, s[28:31], 0  ; 4-byte Folded Reload
	s_waitcnt vmcnt(1)
	v_add_f16_e32 v6, v14, v6
	buffer_store_dword v6, off, s[28:31], 0 offset:28 ; 4-byte Folded Spill
	v_fma_mix_f32 v6, v43, v37, 0 op_sel_hi:[1,1,0]
	v_fma_mix_f32 v6, v44, v37, v6 op_sel:[0,1,0] op_sel_hi:[1,1,0]
	v_fma_mix_f32 v6, v45, v38, v6 op_sel_hi:[1,1,0]
	v_fma_mix_f32 v6, v46, v38, v6 op_sel:[0,1,0] op_sel_hi:[1,1,0]
	;; [unrolled: 2-line block ×4, first 2 shown]
	v_fma_mixlo_f16 v6, v6, v29, 0 op_sel:[0,1,0] op_sel_hi:[0,1,0]
	v_add_f16_sdwa v6, v14, v6 dst_sel:DWORD dst_unused:UNUSED_PAD src0_sel:WORD_1 src1_sel:DWORD
	buffer_load_dword v14, off, s[28:31], 0 offset:44 ; 4-byte Folded Reload
	s_waitcnt vmcnt(0)
	v_add_f16_sdwa v0, v14, v0 dst_sel:DWORD dst_unused:UNUSED_PAD src0_sel:WORD_1 src1_sel:DWORD
	buffer_store_dword v0, off, s[28:31], 0 offset:16 ; 4-byte Folded Spill
	v_add_co_u32_e32 v0, vcc, s0, v12
	v_addc_co_u32_e32 v1, vcc, v13, v2, vcc
	global_load_dwordx4 v[23:26], v[0:1], off
	v_add_co_u32_e32 v18, vcc, s0, v0
	buffer_store_dword v6, off, s[28:31], 0 offset:24 ; 4-byte Folded Spill
	v_fma_mix_f32 v6, v51, v37, 0 op_sel_hi:[1,1,0]
	v_fma_mix_f32 v6, v52, v37, v6 op_sel:[0,1,0] op_sel_hi:[1,1,0]
	v_fma_mix_f32 v6, v53, v38, v6 op_sel_hi:[1,1,0]
	v_fma_mix_f32 v6, v54, v38, v6 op_sel:[0,1,0] op_sel_hi:[1,1,0]
	;; [unrolled: 2-line block ×4, first 2 shown]
	v_fma_mixlo_f16 v6, v6, v30, 0 op_sel_hi:[0,1,0]
	v_addc_co_u32_e32 v19, vcc, v1, v2, vcc
	v_add_f16_e32 v6, v14, v6
	global_load_dwordx4 v[12:15], v[18:19], off
	s_waitcnt vmcnt(2)
	v_sub_u32_sdwa v0, v23, v32 dst_sel:DWORD dst_unused:UNUSED_PAD src0_sel:BYTE_0 src1_sel:DWORD
	v_cvt_f32_i32_e32 v0, v0
	buffer_store_dword v6, off, s[28:31], 0 offset:20 ; 4-byte Folded Spill
	buffer_load_dword v6, off, s[28:31], 0 offset:116 ; 4-byte Folded Reload
	v_sub_u32_sdwa v5, v26, v22 dst_sel:DWORD dst_unused:UNUSED_PAD src0_sel:BYTE_3 src1_sel:DWORD
	v_cvt_f16_f32_e32 v4, v0
	v_sub_u32_sdwa v0, v23, v32 dst_sel:DWORD dst_unused:UNUSED_PAD src0_sel:BYTE_1 src1_sel:DWORD
	v_cvt_f32_i32_e32 v0, v0
	v_cvt_f32_i32_e32 v5, v5
	v_sub_u32_sdwa v2, v26, v22 dst_sel:DWORD dst_unused:UNUSED_PAD src0_sel:BYTE_2 src1_sel:DWORD
	v_cvt_f32_i32_e32 v2, v2
	v_cvt_f16_f32_e32 v37, v0
	v_sub_u32_sdwa v0, v23, v32 dst_sel:DWORD dst_unused:UNUSED_PAD src0_sel:BYTE_2 src1_sel:DWORD
	v_cvt_f32_i32_e32 v0, v0
	v_cvt_f16_f32_e32 v63, v5
	v_cvt_f16_f32_e32 v2, v2
	s_waitcnt vmcnt(2)
	v_sub_u32_sdwa v5, v15, v22 dst_sel:DWORD dst_unused:UNUSED_PAD src0_sel:BYTE_0 src1_sel:DWORD
	v_cvt_f16_f32_e32 v38, v0
	v_sub_u32_sdwa v0, v23, v32 dst_sel:DWORD dst_unused:UNUSED_PAD src0_sel:BYTE_3 src1_sel:DWORD
	v_cvt_f32_i32_e32 v0, v0
	v_cvt_f32_i32_e32 v5, v5
	v_cvt_f16_f32_e32 v39, v0
	v_sub_u32_sdwa v0, v12, v32 dst_sel:DWORD dst_unused:UNUSED_PAD src0_sel:BYTE_0 src1_sel:DWORD
	v_cvt_f32_i32_e32 v0, v0
	v_cvt_f16_f32_e32 v16, v5
	v_sub_u32_sdwa v5, v15, v22 dst_sel:DWORD dst_unused:UNUSED_PAD src0_sel:BYTE_1 src1_sel:DWORD
	v_cvt_f32_i32_e32 v5, v5
	v_cvt_f16_f32_e32 v40, v0
	v_sub_u32_sdwa v0, v12, v32 dst_sel:DWORD dst_unused:UNUSED_PAD src0_sel:BYTE_1 src1_sel:DWORD
	v_cvt_f32_i32_e32 v0, v0
	v_cvt_f16_f32_e32 v23, v5
	v_sub_u32_sdwa v5, v15, v22 dst_sel:DWORD dst_unused:UNUSED_PAD src0_sel:BYTE_2 src1_sel:DWORD
	v_cvt_f32_i32_e32 v5, v5
	v_cvt_f16_f32_e32 v42, v0
	v_sub_u32_sdwa v0, v12, v32 dst_sel:DWORD dst_unused:UNUSED_PAD src0_sel:BYTE_2 src1_sel:DWORD
	v_cvt_f32_i32_e32 v0, v0
	v_cvt_f16_f32_e32 v44, v0
	v_sub_u32_sdwa v0, v12, v32 dst_sel:DWORD dst_unused:UNUSED_PAD src0_sel:BYTE_3 src1_sel:DWORD
	v_cvt_f32_i32_e32 v0, v0
	v_cvt_f16_f32_e32 v46, v0
	v_sub_u32_sdwa v0, v24, v31 dst_sel:DWORD dst_unused:UNUSED_PAD src0_sel:BYTE_0 src1_sel:DWORD
	v_cvt_f32_i32_e32 v0, v0
	v_cvt_f16_f32_e32 v41, v0
	v_sub_u32_sdwa v0, v24, v31 dst_sel:DWORD dst_unused:UNUSED_PAD src0_sel:BYTE_1 src1_sel:DWORD
	v_cvt_f32_i32_e32 v0, v0
	v_cvt_f16_f32_e32 v43, v0
	v_sub_u32_sdwa v0, v24, v31 dst_sel:DWORD dst_unused:UNUSED_PAD src0_sel:BYTE_2 src1_sel:DWORD
	v_cvt_f32_i32_e32 v0, v0
	v_cvt_f16_f32_e32 v45, v0
	v_sub_u32_sdwa v0, v24, v31 dst_sel:DWORD dst_unused:UNUSED_PAD src0_sel:BYTE_3 src1_sel:DWORD
	v_cvt_f32_i32_e32 v0, v0
	v_cvt_f16_f32_e32 v24, v5
	v_sub_u32_sdwa v5, v15, v22 dst_sel:DWORD dst_unused:UNUSED_PAD src0_sel:BYTE_3 src1_sel:DWORD
	v_cvt_f32_i32_e32 v5, v5
	v_cvt_f16_f32_e32 v47, v0
	v_sub_u32_sdwa v0, v13, v31 dst_sel:DWORD dst_unused:UNUSED_PAD src0_sel:BYTE_0 src1_sel:DWORD
	v_cvt_f32_i32_e32 v0, v0
	v_cvt_f16_f32_e32 v48, v0
	v_sub_u32_sdwa v0, v13, v31 dst_sel:DWORD dst_unused:UNUSED_PAD src0_sel:BYTE_1 src1_sel:DWORD
	v_cvt_f32_i32_e32 v0, v0
	v_cvt_f16_f32_e32 v50, v0
	v_sub_u32_sdwa v0, v13, v31 dst_sel:DWORD dst_unused:UNUSED_PAD src0_sel:BYTE_2 src1_sel:DWORD
	v_cvt_f32_i32_e32 v0, v0
	v_cvt_f16_f32_e32 v52, v0
	v_sub_u32_sdwa v0, v13, v31 dst_sel:DWORD dst_unused:UNUSED_PAD src0_sel:BYTE_3 src1_sel:DWORD
	v_cvt_f32_i32_e32 v0, v0
	v_cvt_f16_f32_e32 v54, v0
	v_sub_u32_sdwa v0, v25, v28 dst_sel:DWORD dst_unused:UNUSED_PAD src0_sel:BYTE_0 src1_sel:DWORD
	v_cvt_f32_i32_e32 v0, v0
	v_cvt_f16_f32_e32 v49, v0
	v_sub_u32_sdwa v0, v25, v28 dst_sel:DWORD dst_unused:UNUSED_PAD src0_sel:BYTE_1 src1_sel:DWORD
	v_cvt_f32_i32_e32 v0, v0
	v_cvt_f16_f32_e32 v51, v0
	v_sub_u32_sdwa v0, v25, v28 dst_sel:DWORD dst_unused:UNUSED_PAD src0_sel:BYTE_2 src1_sel:DWORD
	v_cvt_f32_i32_e32 v0, v0
	v_cvt_f16_f32_e32 v53, v0
	v_sub_u32_sdwa v0, v25, v28 dst_sel:DWORD dst_unused:UNUSED_PAD src0_sel:BYTE_3 src1_sel:DWORD
	v_cvt_f32_i32_e32 v0, v0
	v_cvt_f16_f32_e32 v25, v5
	v_fma_mix_f32 v5, v4, v8, 0 op_sel_hi:[1,1,0]
	v_fma_mix_f32 v5, v37, v8, v5 op_sel:[0,1,0] op_sel_hi:[1,1,0]
	v_cvt_f16_f32_e32 v55, v0
	v_sub_u32_sdwa v0, v14, v28 dst_sel:DWORD dst_unused:UNUSED_PAD src0_sel:BYTE_0 src1_sel:DWORD
	v_cvt_f32_i32_e32 v0, v0
	v_fma_mix_f32 v5, v38, v9, v5 op_sel_hi:[1,1,0]
	v_fma_mix_f32 v5, v39, v9, v5 op_sel:[0,1,0] op_sel_hi:[1,1,0]
	v_fma_mix_f32 v5, v40, v10, v5 op_sel_hi:[1,1,0]
	v_cvt_f16_f32_e32 v56, v0
	v_sub_u32_sdwa v0, v14, v28 dst_sel:DWORD dst_unused:UNUSED_PAD src0_sel:BYTE_1 src1_sel:DWORD
	v_cvt_f32_i32_e32 v0, v0
	v_fma_mix_f32 v5, v42, v10, v5 op_sel:[0,1,0] op_sel_hi:[1,1,0]
	v_fma_mix_f32 v5, v44, v11, v5 op_sel_hi:[1,1,0]
	v_fma_mix_f32 v5, v46, v11, v5 op_sel:[0,1,0] op_sel_hi:[1,1,0]
	v_cvt_f16_f32_e32 v58, v0
	v_sub_u32_sdwa v0, v14, v28 dst_sel:DWORD dst_unused:UNUSED_PAD src0_sel:BYTE_2 src1_sel:DWORD
	v_cvt_f32_i32_e32 v0, v0
	v_fma_mixlo_f16 v5, v5, v29, 0 op_sel_hi:[0,1,0]
	v_add_f16_e32 v5, v20, v5
	buffer_store_dword v5, off, s[28:31], 0 offset:12 ; 4-byte Folded Spill
	v_fma_mix_f32 v5, v41, v8, 0 op_sel_hi:[1,1,0]
	v_fma_mix_f32 v5, v43, v8, v5 op_sel:[0,1,0] op_sel_hi:[1,1,0]
	v_cvt_f16_f32_e32 v1, v0
	v_sub_u32_sdwa v0, v14, v28 dst_sel:DWORD dst_unused:UNUSED_PAD src0_sel:BYTE_3 src1_sel:DWORD
	v_fma_mix_f32 v5, v45, v9, v5 op_sel_hi:[1,1,0]
	v_cvt_f32_i32_e32 v0, v0
	v_fma_mix_f32 v5, v47, v9, v5 op_sel:[0,1,0] op_sel_hi:[1,1,0]
	v_fma_mix_f32 v5, v48, v10, v5 op_sel_hi:[1,1,0]
	v_fma_mix_f32 v5, v50, v10, v5 op_sel:[0,1,0] op_sel_hi:[1,1,0]
	v_fma_mix_f32 v5, v52, v11, v5 op_sel_hi:[1,1,0]
	v_cvt_f16_f32_e32 v3, v0
	v_sub_u32_sdwa v0, v26, v22 dst_sel:DWORD dst_unused:UNUSED_PAD src0_sel:BYTE_0 src1_sel:DWORD
	v_fma_mix_f32 v5, v54, v11, v5 op_sel:[0,1,0] op_sel_hi:[1,1,0]
	v_cvt_f32_i32_e32 v0, v0
	v_fma_mixlo_f16 v5, v5, v29, 0 op_sel:[0,1,0] op_sel_hi:[0,1,0]
	v_add_f16_e32 v5, v21, v5
	buffer_store_dword v5, off, s[28:31], 0 offset:8 ; 4-byte Folded Spill
	v_fma_mix_f32 v5, v49, v8, 0 op_sel_hi:[1,1,0]
	v_fma_mix_f32 v5, v51, v8, v5 op_sel:[0,1,0] op_sel_hi:[1,1,0]
	v_cvt_f16_f32_e32 v57, v0
	v_sub_u32_sdwa v0, v26, v22 dst_sel:DWORD dst_unused:UNUSED_PAD src0_sel:BYTE_1 src1_sel:DWORD
	v_fma_mix_f32 v5, v53, v9, v5 op_sel_hi:[1,1,0]
	v_cvt_f32_i32_e32 v0, v0
	v_fma_mix_f32 v5, v55, v9, v5 op_sel:[0,1,0] op_sel_hi:[1,1,0]
	v_fma_mix_f32 v5, v56, v10, v5 op_sel_hi:[1,1,0]
	v_fma_mix_f32 v5, v58, v10, v5 op_sel:[0,1,0] op_sel_hi:[1,1,0]
	v_fma_mix_f32 v5, v1, v11, v5 op_sel_hi:[1,1,0]
	v_cvt_f16_f32_e32 v0, v0
	v_fma_mix_f32 v5, v3, v11, v5 op_sel:[0,1,0] op_sel_hi:[1,1,0]
	v_fma_mixlo_f16 v5, v5, v30, 0 op_sel_hi:[0,1,0]
	v_add_f16_e32 v5, v17, v5
	buffer_store_dword v5, off, s[28:31], 0 offset:4 ; 4-byte Folded Spill
	v_fma_mix_f32 v5, v57, v8, 0 op_sel_hi:[1,1,0]
	v_fma_mix_f32 v5, v0, v8, v5 op_sel:[0,1,0] op_sel_hi:[1,1,0]
	v_fma_mix_f32 v5, v2, v9, v5 op_sel_hi:[1,1,0]
	v_fma_mix_f32 v5, v63, v9, v5 op_sel:[0,1,0] op_sel_hi:[1,1,0]
	;; [unrolled: 2-line block ×4, first 2 shown]
	v_fma_mixlo_f16 v5, v5, v30, 0 op_sel:[0,1,0] op_sel_hi:[0,1,0]
	v_add_f16_e32 v26, v27, v5
	v_mov_b32_e32 v27, s2
	ds_read_b128 v[8:11], v27 offset:272
	s_waitcnt lgkmcnt(0)
	v_fma_mix_f32 v5, v4, v8, 0 op_sel_hi:[1,1,0]
	v_fma_mix_f32 v5, v37, v8, v5 op_sel:[0,1,0] op_sel_hi:[1,1,0]
	v_fma_mix_f32 v5, v38, v9, v5 op_sel_hi:[1,1,0]
	v_fma_mix_f32 v5, v39, v9, v5 op_sel:[0,1,0] op_sel_hi:[1,1,0]
	;; [unrolled: 2-line block ×4, first 2 shown]
	v_fma_mixlo_f16 v5, v5, v29, 0 op_sel_hi:[0,1,0]
	s_waitcnt vmcnt(3)
	v_add_f16_e32 v5, v6, v5
	buffer_load_dword v6, off, s[28:31], 0 offset:120 ; 4-byte Folded Reload
	s_nop 0
	buffer_store_dword v5, off, s[28:31], 0 offset:32 ; 4-byte Folded Spill
	v_fma_mix_f32 v5, v41, v8, 0 op_sel_hi:[1,1,0]
	v_fma_mix_f32 v5, v43, v8, v5 op_sel:[0,1,0] op_sel_hi:[1,1,0]
	v_fma_mix_f32 v5, v45, v9, v5 op_sel_hi:[1,1,0]
	v_fma_mix_f32 v5, v47, v9, v5 op_sel:[0,1,0] op_sel_hi:[1,1,0]
	;; [unrolled: 2-line block ×4, first 2 shown]
	v_fma_mixlo_f16 v5, v5, v29, 0 op_sel:[0,1,0] op_sel_hi:[0,1,0]
	s_waitcnt vmcnt(1)
	v_add_f16_e32 v5, v6, v5
	buffer_load_dword v6, off, s[28:31], 0 offset:124 ; 4-byte Folded Reload
	s_nop 0
	buffer_store_dword v5, off, s[28:31], 0 offset:36 ; 4-byte Folded Spill
	v_fma_mix_f32 v5, v49, v8, 0 op_sel_hi:[1,1,0]
	v_fma_mix_f32 v5, v51, v8, v5 op_sel:[0,1,0] op_sel_hi:[1,1,0]
	v_fma_mix_f32 v5, v53, v9, v5 op_sel_hi:[1,1,0]
	v_fma_mix_f32 v5, v55, v9, v5 op_sel:[0,1,0] op_sel_hi:[1,1,0]
	v_fma_mix_f32 v5, v56, v10, v5 op_sel_hi:[1,1,0]
	v_fma_mix_f32 v5, v58, v10, v5 op_sel:[0,1,0] op_sel_hi:[1,1,0]
	v_fma_mix_f32 v5, v1, v11, v5 op_sel_hi:[1,1,0]
	v_fma_mix_f32 v5, v3, v11, v5 op_sel:[0,1,0] op_sel_hi:[1,1,0]
	v_fma_mixlo_f16 v5, v5, v30, 0 op_sel_hi:[0,1,0]
	s_waitcnt vmcnt(1)
	v_add_f16_e32 v5, v6, v5
	buffer_load_dword v6, off, s[28:31], 0 offset:128 ; 4-byte Folded Reload
	s_nop 0
	buffer_store_dword v5, off, s[28:31], 0 offset:40 ; 4-byte Folded Spill
	v_fma_mix_f32 v5, v57, v8, 0 op_sel_hi:[1,1,0]
	v_fma_mix_f32 v5, v0, v8, v5 op_sel:[0,1,0] op_sel_hi:[1,1,0]
	v_fma_mix_f32 v5, v2, v9, v5 op_sel_hi:[1,1,0]
	v_fma_mix_f32 v5, v63, v9, v5 op_sel:[0,1,0] op_sel_hi:[1,1,0]
	;; [unrolled: 2-line block ×3, first 2 shown]
	buffer_load_dword v10, off, s[28:31], 0 offset:52 ; 4-byte Folded Reload
	v_fma_mix_f32 v5, v24, v11, v5 op_sel_hi:[1,1,0]
	v_fma_mix_f32 v5, v25, v11, v5 op_sel:[0,1,0] op_sel_hi:[1,1,0]
	v_fma_mixlo_f16 v5, v5, v30, 0 op_sel:[0,1,0] op_sel_hi:[0,1,0]
	s_waitcnt vmcnt(2)
	v_add_f16_e32 v5, v6, v5
	buffer_store_dword v5, off, s[28:31], 0 offset:44 ; 4-byte Folded Spill
	ds_read_b128 v[5:8], v27 offset:528
	s_waitcnt lgkmcnt(0)
	v_fma_mix_f32 v9, v4, v5, 0 op_sel_hi:[1,1,0]
	v_fma_mix_f32 v9, v37, v5, v9 op_sel:[0,1,0] op_sel_hi:[1,1,0]
	v_fma_mix_f32 v9, v38, v6, v9 op_sel_hi:[1,1,0]
	v_fma_mix_f32 v9, v39, v6, v9 op_sel:[0,1,0] op_sel_hi:[1,1,0]
	v_fma_mix_f32 v9, v40, v7, v9 op_sel_hi:[1,1,0]
	v_fma_mix_f32 v9, v42, v7, v9 op_sel:[0,1,0] op_sel_hi:[1,1,0]
	v_fma_mix_f32 v9, v44, v8, v9 op_sel_hi:[1,1,0]
	v_fma_mix_f32 v9, v46, v8, v9 op_sel:[0,1,0] op_sel_hi:[1,1,0]
	v_fma_mixlo_f16 v9, v9, v29, 0 op_sel_hi:[0,1,0]
	s_waitcnt vmcnt(1)
	v_add_f16_e32 v9, v10, v9
	buffer_load_dword v10, off, s[28:31], 0 offset:56 ; 4-byte Folded Reload
	s_nop 0
	buffer_store_dword v9, off, s[28:31], 0 offset:48 ; 4-byte Folded Spill
	v_fma_mix_f32 v9, v41, v5, 0 op_sel_hi:[1,1,0]
	v_fma_mix_f32 v9, v43, v5, v9 op_sel:[0,1,0] op_sel_hi:[1,1,0]
	v_fma_mix_f32 v9, v45, v6, v9 op_sel_hi:[1,1,0]
	v_fma_mix_f32 v9, v47, v6, v9 op_sel:[0,1,0] op_sel_hi:[1,1,0]
	v_fma_mix_f32 v9, v48, v7, v9 op_sel_hi:[1,1,0]
	v_fma_mix_f32 v9, v50, v7, v9 op_sel:[0,1,0] op_sel_hi:[1,1,0]
	v_fma_mix_f32 v9, v52, v8, v9 op_sel_hi:[1,1,0]
	v_fma_mix_f32 v9, v54, v8, v9 op_sel:[0,1,0] op_sel_hi:[1,1,0]
	v_fma_mixlo_f16 v9, v9, v29, 0 op_sel:[0,1,0] op_sel_hi:[0,1,0]
	s_waitcnt vmcnt(1)
	v_add_f16_e32 v9, v10, v9
	buffer_load_dword v10, off, s[28:31], 0 offset:60 ; 4-byte Folded Reload
	s_nop 0
	buffer_store_dword v9, off, s[28:31], 0 offset:52 ; 4-byte Folded Spill
	v_fma_mix_f32 v9, v49, v5, 0 op_sel_hi:[1,1,0]
	v_fma_mix_f32 v9, v51, v5, v9 op_sel:[0,1,0] op_sel_hi:[1,1,0]
	v_fma_mix_f32 v9, v53, v6, v9 op_sel_hi:[1,1,0]
	v_fma_mix_f32 v9, v55, v6, v9 op_sel:[0,1,0] op_sel_hi:[1,1,0]
	v_fma_mix_f32 v9, v56, v7, v9 op_sel_hi:[1,1,0]
	v_fma_mix_f32 v9, v58, v7, v9 op_sel:[0,1,0] op_sel_hi:[1,1,0]
	v_fma_mix_f32 v9, v1, v8, v9 op_sel_hi:[1,1,0]
	v_fma_mix_f32 v9, v3, v8, v9 op_sel:[0,1,0] op_sel_hi:[1,1,0]
	v_fma_mixlo_f16 v9, v9, v30, 0 op_sel_hi:[0,1,0]
	s_waitcnt vmcnt(1)
	v_add_f16_e32 v9, v10, v9
	buffer_store_dword v9, off, s[28:31], 0 offset:56 ; 4-byte Folded Spill
	v_fma_mix_f32 v9, v57, v5, 0 op_sel_hi:[1,1,0]
	v_fma_mix_f32 v5, v0, v5, v9 op_sel:[0,1,0] op_sel_hi:[1,1,0]
	v_fma_mix_f32 v5, v2, v6, v5 op_sel_hi:[1,1,0]
	v_fma_mix_f32 v5, v63, v6, v5 op_sel:[0,1,0] op_sel_hi:[1,1,0]
	buffer_load_dword v6, off, s[28:31], 0 offset:112 ; 4-byte Folded Reload
	buffer_load_dword v10, off, s[28:31], 0 offset:64 ; 4-byte Folded Reload
	v_fma_mix_f32 v5, v16, v7, v5 op_sel_hi:[1,1,0]
	v_fma_mix_f32 v5, v23, v7, v5 op_sel:[0,1,0] op_sel_hi:[1,1,0]
	v_fma_mix_f32 v5, v24, v8, v5 op_sel_hi:[1,1,0]
	v_fma_mix_f32 v5, v25, v8, v5 op_sel:[0,1,0] op_sel_hi:[1,1,0]
	v_fma_mixlo_f16 v5, v5, v30, 0 op_sel:[0,1,0] op_sel_hi:[0,1,0]
	s_waitcnt vmcnt(1)
	v_add_f16_e32 v5, v6, v5
	buffer_store_dword v5, off, s[28:31], 0 offset:60 ; 4-byte Folded Spill
	ds_read_b128 v[5:8], v27 offset:784
	s_waitcnt lgkmcnt(0)
	v_fma_mix_f32 v9, v4, v5, 0 op_sel_hi:[1,1,0]
	v_fma_mix_f32 v9, v37, v5, v9 op_sel:[0,1,0] op_sel_hi:[1,1,0]
	v_fma_mix_f32 v9, v38, v6, v9 op_sel_hi:[1,1,0]
	v_fma_mix_f32 v9, v39, v6, v9 op_sel:[0,1,0] op_sel_hi:[1,1,0]
	v_fma_mix_f32 v9, v40, v7, v9 op_sel_hi:[1,1,0]
	v_fma_mix_f32 v9, v42, v7, v9 op_sel:[0,1,0] op_sel_hi:[1,1,0]
	v_fma_mix_f32 v9, v44, v8, v9 op_sel_hi:[1,1,0]
	v_fma_mix_f32 v9, v46, v8, v9 op_sel:[0,1,0] op_sel_hi:[1,1,0]
	v_fma_mixlo_f16 v9, v9, v29, 0 op_sel_hi:[0,1,0]
	s_waitcnt vmcnt(1)
	v_add_f16_e32 v9, v10, v9
	buffer_load_dword v10, off, s[28:31], 0 offset:68 ; 4-byte Folded Reload
	s_nop 0
	buffer_store_dword v9, off, s[28:31], 0 offset:64 ; 4-byte Folded Spill
	v_fma_mix_f32 v9, v41, v5, 0 op_sel_hi:[1,1,0]
	v_fma_mix_f32 v9, v43, v5, v9 op_sel:[0,1,0] op_sel_hi:[1,1,0]
	v_fma_mix_f32 v9, v45, v6, v9 op_sel_hi:[1,1,0]
	v_fma_mix_f32 v9, v47, v6, v9 op_sel:[0,1,0] op_sel_hi:[1,1,0]
	v_fma_mix_f32 v9, v48, v7, v9 op_sel_hi:[1,1,0]
	v_fma_mix_f32 v9, v50, v7, v9 op_sel:[0,1,0] op_sel_hi:[1,1,0]
	v_fma_mix_f32 v9, v52, v8, v9 op_sel_hi:[1,1,0]
	v_fma_mix_f32 v9, v54, v8, v9 op_sel:[0,1,0] op_sel_hi:[1,1,0]
	v_fma_mixlo_f16 v9, v9, v29, 0 op_sel:[0,1,0] op_sel_hi:[0,1,0]
	s_waitcnt vmcnt(1)
	v_add_f16_e32 v9, v10, v9
	buffer_load_dword v10, off, s[28:31], 0 offset:72 ; 4-byte Folded Reload
	s_nop 0
	buffer_store_dword v9, off, s[28:31], 0 offset:68 ; 4-byte Folded Spill
	v_fma_mix_f32 v9, v49, v5, 0 op_sel_hi:[1,1,0]
	v_fma_mix_f32 v9, v51, v5, v9 op_sel:[0,1,0] op_sel_hi:[1,1,0]
	v_fma_mix_f32 v9, v53, v6, v9 op_sel_hi:[1,1,0]
	v_fma_mix_f32 v9, v55, v6, v9 op_sel:[0,1,0] op_sel_hi:[1,1,0]
	v_fma_mix_f32 v9, v56, v7, v9 op_sel_hi:[1,1,0]
	v_fma_mix_f32 v9, v58, v7, v9 op_sel:[0,1,0] op_sel_hi:[1,1,0]
	v_fma_mix_f32 v9, v1, v8, v9 op_sel_hi:[1,1,0]
	v_fma_mix_f32 v9, v3, v8, v9 op_sel:[0,1,0] op_sel_hi:[1,1,0]
	v_fma_mixlo_f16 v9, v9, v30, 0 op_sel_hi:[0,1,0]
	s_waitcnt vmcnt(1)
	v_add_f16_e32 v9, v10, v9
	buffer_store_dword v9, off, s[28:31], 0 offset:72 ; 4-byte Folded Spill
	v_fma_mix_f32 v9, v57, v5, 0 op_sel_hi:[1,1,0]
	v_fma_mix_f32 v5, v0, v5, v9 op_sel:[0,1,0] op_sel_hi:[1,1,0]
	v_fma_mix_f32 v5, v2, v6, v5 op_sel_hi:[1,1,0]
	v_fma_mix_f32 v5, v63, v6, v5 op_sel:[0,1,0] op_sel_hi:[1,1,0]
	buffer_load_dword v6, off, s[28:31], 0 offset:76 ; 4-byte Folded Reload
	buffer_load_dword v10, off, s[28:31], 0 offset:96 ; 4-byte Folded Reload
	v_fma_mix_f32 v5, v16, v7, v5 op_sel_hi:[1,1,0]
	v_fma_mix_f32 v5, v23, v7, v5 op_sel:[0,1,0] op_sel_hi:[1,1,0]
	;; [unrolled: 56-line block ×3, first 2 shown]
	v_fma_mix_f32 v5, v24, v8, v5 op_sel_hi:[1,1,0]
	v_fma_mix_f32 v5, v25, v8, v5 op_sel:[0,1,0] op_sel_hi:[1,1,0]
	v_fma_mixlo_f16 v5, v5, v30, 0 op_sel:[0,1,0] op_sel_hi:[0,1,0]
	s_waitcnt vmcnt(1)
	v_add_f16_e32 v5, v6, v5
	buffer_store_dword v5, off, s[28:31], 0 offset:108 ; 4-byte Folded Spill
	ds_read_b128 v[5:8], v27 offset:1296
	s_waitcnt lgkmcnt(0)
	v_fma_mix_f32 v9, v4, v5, 0 op_sel_hi:[1,1,0]
	v_fma_mix_f32 v9, v37, v5, v9 op_sel:[0,1,0] op_sel_hi:[1,1,0]
	v_fma_mix_f32 v9, v38, v6, v9 op_sel_hi:[1,1,0]
	v_fma_mix_f32 v9, v39, v6, v9 op_sel:[0,1,0] op_sel_hi:[1,1,0]
	;; [unrolled: 2-line block ×4, first 2 shown]
	v_fma_mixlo_f16 v9, v9, v29, 0 op_sel_hi:[0,1,0]
	s_waitcnt vmcnt(1)
	v_add_f16_e32 v9, v10, v9
	buffer_load_dword v10, off, s[28:31], 0 offset:84 ; 4-byte Folded Reload
	s_nop 0
	buffer_store_dword v9, off, s[28:31], 0 offset:80 ; 4-byte Folded Spill
	v_fma_mix_f32 v9, v41, v5, 0 op_sel_hi:[1,1,0]
	v_fma_mix_f32 v9, v43, v5, v9 op_sel:[0,1,0] op_sel_hi:[1,1,0]
	v_fma_mix_f32 v9, v45, v6, v9 op_sel_hi:[1,1,0]
	v_fma_mix_f32 v9, v47, v6, v9 op_sel:[0,1,0] op_sel_hi:[1,1,0]
	;; [unrolled: 2-line block ×4, first 2 shown]
	v_fma_mixlo_f16 v9, v9, v29, 0 op_sel:[0,1,0] op_sel_hi:[0,1,0]
	s_waitcnt vmcnt(1)
	v_add_f16_e32 v9, v10, v9
	buffer_load_dword v10, off, s[28:31], 0 offset:88 ; 4-byte Folded Reload
	s_nop 0
	buffer_store_dword v9, off, s[28:31], 0 offset:84 ; 4-byte Folded Spill
	v_fma_mix_f32 v9, v49, v5, 0 op_sel_hi:[1,1,0]
	v_fma_mix_f32 v9, v51, v5, v9 op_sel:[0,1,0] op_sel_hi:[1,1,0]
	v_fma_mix_f32 v9, v53, v6, v9 op_sel_hi:[1,1,0]
	v_fma_mix_f32 v9, v55, v6, v9 op_sel:[0,1,0] op_sel_hi:[1,1,0]
	;; [unrolled: 2-line block ×4, first 2 shown]
	v_fma_mixlo_f16 v9, v9, v30, 0 op_sel_hi:[0,1,0]
	s_waitcnt vmcnt(1)
	v_add_f16_e32 v9, v10, v9
	buffer_store_dword v9, off, s[28:31], 0 offset:88 ; 4-byte Folded Spill
	v_fma_mix_f32 v9, v57, v5, 0 op_sel_hi:[1,1,0]
	v_fma_mix_f32 v5, v0, v5, v9 op_sel:[0,1,0] op_sel_hi:[1,1,0]
	v_fma_mix_f32 v5, v2, v6, v5 op_sel_hi:[1,1,0]
	v_fma_mix_f32 v5, v63, v6, v5 op_sel:[0,1,0] op_sel_hi:[1,1,0]
	buffer_load_dword v6, off, s[28:31], 0 offset:92 ; 4-byte Folded Reload
	v_fma_mix_f32 v5, v16, v7, v5 op_sel_hi:[1,1,0]
	v_fma_mix_f32 v5, v23, v7, v5 op_sel:[0,1,0] op_sel_hi:[1,1,0]
	v_fma_mix_f32 v5, v24, v8, v5 op_sel_hi:[1,1,0]
	v_fma_mix_f32 v5, v25, v8, v5 op_sel:[0,1,0] op_sel_hi:[1,1,0]
	v_fma_mixlo_f16 v5, v5, v30, 0 op_sel:[0,1,0] op_sel_hi:[0,1,0]
	ds_read_b128 v[8:11], v27 offset:1552
	s_waitcnt lgkmcnt(0)
	v_fma_mix_f32 v4, v4, v8, 0 op_sel_hi:[1,1,0]
	v_fma_mix_f32 v4, v37, v8, v4 op_sel:[0,1,0] op_sel_hi:[1,1,0]
	v_fma_mix_f32 v4, v38, v9, v4 op_sel_hi:[1,1,0]
	v_fma_mix_f32 v4, v39, v9, v4 op_sel:[0,1,0] op_sel_hi:[1,1,0]
	;; [unrolled: 2-line block ×4, first 2 shown]
	v_fma_mixlo_f16 v4, v4, v29, 0 op_sel_hi:[0,1,0]
	buffer_load_dword v37, off, s[28:31], 0 ; 4-byte Folded Reload
	s_waitcnt vmcnt(1)
	v_add_f16_e32 v5, v6, v5
	buffer_store_dword v5, off, s[28:31], 0 offset:92 ; 4-byte Folded Spill
	buffer_load_dword v5, off, s[28:31], 0 offset:28 ; 4-byte Folded Reload
	s_waitcnt vmcnt(0)
	v_add_f16_e32 v4, v5, v4
	buffer_load_dword v5, off, s[28:31], 0 offset:24 ; 4-byte Folded Reload
	s_nop 0
	buffer_store_dword v4, off, s[28:31], 0 offset:124 ; 4-byte Folded Spill
	v_fma_mix_f32 v4, v41, v8, 0 op_sel_hi:[1,1,0]
	v_fma_mix_f32 v4, v43, v8, v4 op_sel:[0,1,0] op_sel_hi:[1,1,0]
	v_fma_mix_f32 v4, v45, v9, v4 op_sel_hi:[1,1,0]
	v_fma_mix_f32 v4, v47, v9, v4 op_sel:[0,1,0] op_sel_hi:[1,1,0]
	;; [unrolled: 2-line block ×4, first 2 shown]
	v_fma_mixlo_f16 v4, v4, v29, 0 op_sel:[0,1,0] op_sel_hi:[0,1,0]
	ds_read_b128 v[41:44], v27 offset:288
	s_waitcnt vmcnt(1)
	v_add_f16_e32 v38, v5, v4
	v_fma_mix_f32 v4, v49, v8, 0 op_sel_hi:[1,1,0]
	v_fma_mix_f32 v4, v51, v8, v4 op_sel:[0,1,0] op_sel_hi:[1,1,0]
	v_fma_mix_f32 v4, v53, v9, v4 op_sel_hi:[1,1,0]
	v_fma_mix_f32 v4, v55, v9, v4 op_sel:[0,1,0] op_sel_hi:[1,1,0]
	;; [unrolled: 2-line block ×4, first 2 shown]
	buffer_load_dword v3, off, s[28:31], 0 offset:20 ; 4-byte Folded Reload
	v_fma_mixlo_f16 v1, v1, v30, 0 op_sel_hi:[0,1,0]
	s_waitcnt vmcnt(0)
	v_add_f16_e32 v39, v3, v1
	v_fma_mix_f32 v1, v57, v8, 0 op_sel_hi:[1,1,0]
	v_fma_mix_f32 v0, v0, v8, v1 op_sel:[0,1,0] op_sel_hi:[1,1,0]
	buffer_load_dword v1, off, s[28:31], 0 offset:16 ; 4-byte Folded Reload
	v_fma_mix_f32 v0, v2, v9, v0 op_sel_hi:[1,1,0]
	v_fma_mix_f32 v0, v63, v9, v0 op_sel:[0,1,0] op_sel_hi:[1,1,0]
	v_fma_mix_f32 v0, v16, v10, v0 op_sel_hi:[1,1,0]
	v_fma_mix_f32 v0, v23, v10, v0 op_sel:[0,1,0] op_sel_hi:[1,1,0]
	;; [unrolled: 2-line block ×3, first 2 shown]
	v_fma_mixlo_f16 v0, v0, v30, 0 op_sel:[0,1,0] op_sel_hi:[0,1,0]
	buffer_load_dword v23, off, s[28:31], 0 offset:32 ; 4-byte Folded Reload
	s_waitcnt vmcnt(1)
	v_add_f16_e32 v40, v1, v0
	v_add_co_u32_e32 v0, vcc, s0, v18
	v_addc_co_u32_e32 v1, vcc, v19, v37, vcc
	global_load_dwordx4 v[12:15], v[0:1], off
	v_add_co_u32_e32 v20, vcc, s0, v0
	v_addc_co_u32_e32 v21, vcc, v1, v37, vcc
	global_load_dwordx4 v[8:11], v[20:21], off
	s_waitcnt vmcnt(1)
	v_sub_u32_sdwa v0, v12, v32 dst_sel:DWORD dst_unused:UNUSED_PAD src0_sel:BYTE_0 src1_sel:DWORD
	v_cvt_f32_i32_e32 v0, v0
	v_cvt_f16_f32_e32 v19, v0
	v_sub_u32_sdwa v0, v12, v32 dst_sel:DWORD dst_unused:UNUSED_PAD src0_sel:BYTE_1 src1_sel:DWORD
	v_cvt_f32_i32_e32 v0, v0
	s_waitcnt vmcnt(0)
	v_sub_u32_sdwa v6, v11, v22 dst_sel:DWORD dst_unused:UNUSED_PAD src0_sel:BYTE_3 src1_sel:DWORD
	v_cvt_f32_i32_e32 v6, v6
	v_cvt_f16_f32_e32 v7, v0
	v_sub_u32_sdwa v0, v12, v32 dst_sel:DWORD dst_unused:UNUSED_PAD src0_sel:BYTE_2 src1_sel:DWORD
	v_cvt_f32_i32_e32 v0, v0
	v_cvt_f16_f32_e32 v18, v6
	v_fma_mix_f32 v6, v19, v33, 0 op_sel_hi:[1,1,0]
	v_fma_mix_f32 v6, v7, v33, v6 op_sel:[0,1,0] op_sel_hi:[1,1,0]
	v_cvt_f16_f32_e32 v16, v0
	v_sub_u32_sdwa v0, v12, v32 dst_sel:DWORD dst_unused:UNUSED_PAD src0_sel:BYTE_3 src1_sel:DWORD
	v_cvt_f32_i32_e32 v0, v0
	v_fma_mix_f32 v6, v16, v34, v6 op_sel_hi:[1,1,0]
	v_cvt_f16_f32_e32 v17, v0
	v_sub_u32_sdwa v0, v8, v32 dst_sel:DWORD dst_unused:UNUSED_PAD src0_sel:BYTE_0 src1_sel:DWORD
	v_cvt_f32_i32_e32 v0, v0
	v_fma_mix_f32 v6, v17, v34, v6 op_sel:[0,1,0] op_sel_hi:[1,1,0]
	v_cvt_f16_f32_e32 v12, v0
	v_sub_u32_sdwa v0, v8, v32 dst_sel:DWORD dst_unused:UNUSED_PAD src0_sel:BYTE_1 src1_sel:DWORD
	v_cvt_f32_i32_e32 v0, v0
	v_fma_mix_f32 v6, v12, v35, v6 op_sel_hi:[1,1,0]
	v_cvt_f16_f32_e32 v45, v0
	v_sub_u32_sdwa v0, v8, v32 dst_sel:DWORD dst_unused:UNUSED_PAD src0_sel:BYTE_2 src1_sel:DWORD
	v_cvt_f32_i32_e32 v0, v0
	v_fma_mix_f32 v6, v45, v35, v6 op_sel:[0,1,0] op_sel_hi:[1,1,0]
	v_cvt_f16_f32_e32 v46, v0
	v_sub_u32_sdwa v0, v8, v32 dst_sel:DWORD dst_unused:UNUSED_PAD src0_sel:BYTE_3 src1_sel:DWORD
	v_cvt_f32_i32_e32 v0, v0
	buffer_load_dword v8, off, s[28:31], 0 offset:12 ; 4-byte Folded Reload
	v_fma_mix_f32 v6, v46, v36, v6 op_sel_hi:[1,1,0]
	v_cvt_f16_f32_e32 v47, v0
	v_sub_u32_sdwa v0, v13, v31 dst_sel:DWORD dst_unused:UNUSED_PAD src0_sel:BYTE_0 src1_sel:DWORD
	v_cvt_f32_i32_e32 v0, v0
	v_fma_mix_f32 v6, v47, v36, v6 op_sel:[0,1,0] op_sel_hi:[1,1,0]
	v_fma_mixlo_f16 v6, v6, v29, 0 op_sel_hi:[0,1,0]
	v_cvt_f16_f32_e32 v48, v0
	v_sub_u32_sdwa v0, v13, v31 dst_sel:DWORD dst_unused:UNUSED_PAD src0_sel:BYTE_1 src1_sel:DWORD
	v_cvt_f32_i32_e32 v0, v0
	v_cvt_f16_f32_e32 v49, v0
	v_sub_u32_sdwa v0, v13, v31 dst_sel:DWORD dst_unused:UNUSED_PAD src0_sel:BYTE_2 src1_sel:DWORD
	v_cvt_f32_i32_e32 v0, v0
	v_cvt_f16_f32_e32 v50, v0
	v_sub_u32_sdwa v0, v13, v31 dst_sel:DWORD dst_unused:UNUSED_PAD src0_sel:BYTE_3 src1_sel:DWORD
	v_cvt_f32_i32_e32 v0, v0
	v_cvt_f16_f32_e32 v13, v0
	v_sub_u32_sdwa v0, v9, v31 dst_sel:DWORD dst_unused:UNUSED_PAD src0_sel:BYTE_0 src1_sel:DWORD
	v_cvt_f32_i32_e32 v0, v0
	v_cvt_f16_f32_e32 v51, v0
	v_sub_u32_sdwa v0, v9, v31 dst_sel:DWORD dst_unused:UNUSED_PAD src0_sel:BYTE_1 src1_sel:DWORD
	v_cvt_f32_i32_e32 v0, v0
	v_cvt_f16_f32_e32 v52, v0
	v_sub_u32_sdwa v0, v9, v31 dst_sel:DWORD dst_unused:UNUSED_PAD src0_sel:BYTE_2 src1_sel:DWORD
	v_cvt_f32_i32_e32 v0, v0
	v_cvt_f16_f32_e32 v53, v0
	v_sub_u32_sdwa v0, v9, v31 dst_sel:DWORD dst_unused:UNUSED_PAD src0_sel:BYTE_3 src1_sel:DWORD
	buffer_load_dword v9, off, s[28:31], 0 offset:8 ; 4-byte Folded Reload
	v_cvt_f32_i32_e32 v0, v0
	v_cvt_f16_f32_e32 v54, v0
	v_sub_u32_sdwa v0, v14, v28 dst_sel:DWORD dst_unused:UNUSED_PAD src0_sel:BYTE_0 src1_sel:DWORD
	v_cvt_f32_i32_e32 v0, v0
	v_cvt_f16_f32_e32 v55, v0
	v_sub_u32_sdwa v0, v14, v28 dst_sel:DWORD dst_unused:UNUSED_PAD src0_sel:BYTE_1 src1_sel:DWORD
	v_cvt_f32_i32_e32 v0, v0
	v_cvt_f16_f32_e32 v56, v0
	v_sub_u32_sdwa v0, v14, v28 dst_sel:DWORD dst_unused:UNUSED_PAD src0_sel:BYTE_2 src1_sel:DWORD
	v_cvt_f32_i32_e32 v0, v0
	v_cvt_f16_f32_e32 v57, v0
	v_sub_u32_sdwa v0, v14, v28 dst_sel:DWORD dst_unused:UNUSED_PAD src0_sel:BYTE_3 src1_sel:DWORD
	v_cvt_f32_i32_e32 v0, v0
	v_cvt_f16_f32_e32 v14, v0
	v_sub_u32_sdwa v0, v10, v28 dst_sel:DWORD dst_unused:UNUSED_PAD src0_sel:BYTE_0 src1_sel:DWORD
	v_cvt_f32_i32_e32 v0, v0
	s_waitcnt vmcnt(1)
	v_add_f16_e32 v8, v8, v6
	v_fma_mix_f32 v6, v48, v33, 0 op_sel_hi:[1,1,0]
	v_cvt_f16_f32_e32 v58, v0
	v_sub_u32_sdwa v0, v10, v28 dst_sel:DWORD dst_unused:UNUSED_PAD src0_sel:BYTE_1 src1_sel:DWORD
	v_cvt_f32_i32_e32 v0, v0
	v_fma_mix_f32 v6, v49, v33, v6 op_sel:[0,1,0] op_sel_hi:[1,1,0]
	v_fma_mix_f32 v6, v50, v34, v6 op_sel_hi:[1,1,0]
	v_fma_mix_f32 v6, v13, v34, v6 op_sel:[0,1,0] op_sel_hi:[1,1,0]
	v_cvt_f16_f32_e32 v5, v0
	v_sub_u32_sdwa v0, v10, v28 dst_sel:DWORD dst_unused:UNUSED_PAD src0_sel:BYTE_2 src1_sel:DWORD
	v_cvt_f32_i32_e32 v0, v0
	v_fma_mix_f32 v6, v51, v35, v6 op_sel_hi:[1,1,0]
	v_fma_mix_f32 v6, v52, v35, v6 op_sel:[0,1,0] op_sel_hi:[1,1,0]
	v_fma_mix_f32 v6, v53, v36, v6 op_sel_hi:[1,1,0]
	v_cvt_f16_f32_e32 v4, v0
	v_sub_u32_sdwa v0, v10, v28 dst_sel:DWORD dst_unused:UNUSED_PAD src0_sel:BYTE_3 src1_sel:DWORD
	v_cvt_f32_i32_e32 v0, v0
	v_fma_mix_f32 v6, v54, v36, v6 op_sel:[0,1,0] op_sel_hi:[1,1,0]
	v_fma_mixlo_f16 v6, v6, v29, 0 op_sel:[0,1,0] op_sel_hi:[0,1,0]
	v_cvt_f16_f32_e32 v10, v0
	v_sub_u32_sdwa v0, v15, v22 dst_sel:DWORD dst_unused:UNUSED_PAD src0_sel:BYTE_0 src1_sel:DWORD
	v_cvt_f32_i32_e32 v0, v0
	v_cvt_f16_f32_e32 v3, v0
	v_sub_u32_sdwa v0, v15, v22 dst_sel:DWORD dst_unused:UNUSED_PAD src0_sel:BYTE_1 src1_sel:DWORD
	v_cvt_f32_i32_e32 v0, v0
	v_cvt_f16_f32_e32 v2, v0
	v_sub_u32_sdwa v0, v15, v22 dst_sel:DWORD dst_unused:UNUSED_PAD src0_sel:BYTE_2 src1_sel:DWORD
	v_cvt_f32_i32_e32 v0, v0
	v_cvt_f16_f32_e32 v24, v0
	v_sub_u32_sdwa v0, v15, v22 dst_sel:DWORD dst_unused:UNUSED_PAD src0_sel:BYTE_3 src1_sel:DWORD
	v_cvt_f32_i32_e32 v0, v0
	v_cvt_f16_f32_e32 v1, v0
	v_sub_u32_sdwa v0, v11, v22 dst_sel:DWORD dst_unused:UNUSED_PAD src0_sel:BYTE_0 src1_sel:DWORD
	v_cvt_f32_i32_e32 v0, v0
	v_cvt_f16_f32_e32 v25, v0
	v_sub_u32_sdwa v0, v11, v22 dst_sel:DWORD dst_unused:UNUSED_PAD src0_sel:BYTE_1 src1_sel:DWORD
	v_cvt_f32_i32_e32 v0, v0
	v_cvt_f16_f32_e32 v15, v0
	v_sub_u32_sdwa v0, v11, v22 dst_sel:DWORD dst_unused:UNUSED_PAD src0_sel:BYTE_2 src1_sel:DWORD
	s_waitcnt vmcnt(0)
	v_add_f16_e32 v11, v9, v6
	buffer_load_dword v9, off, s[28:31], 0 offset:4 ; 4-byte Folded Reload
	v_fma_mix_f32 v6, v55, v33, 0 op_sel_hi:[1,1,0]
	v_fma_mix_f32 v6, v56, v33, v6 op_sel:[0,1,0] op_sel_hi:[1,1,0]
	v_fma_mix_f32 v6, v57, v34, v6 op_sel_hi:[1,1,0]
	v_fma_mix_f32 v6, v14, v34, v6 op_sel:[0,1,0] op_sel_hi:[1,1,0]
	;; [unrolled: 2-line block ×3, first 2 shown]
	v_fma_mix_f32 v6, v4, v36, v6 op_sel_hi:[1,1,0]
	v_cvt_f32_i32_e32 v0, v0
	v_fma_mix_f32 v6, v10, v36, v6 op_sel:[0,1,0] op_sel_hi:[1,1,0]
	v_fma_mixlo_f16 v6, v6, v30, 0 op_sel_hi:[0,1,0]
	v_cvt_f16_f32_e32 v0, v0
	s_waitcnt vmcnt(0)
	v_add_f16_e32 v6, v9, v6
	v_fma_mix_f32 v9, v3, v33, 0 op_sel_hi:[1,1,0]
	v_fma_mix_f32 v9, v2, v33, v9 op_sel:[0,1,0] op_sel_hi:[1,1,0]
	v_fma_mix_f32 v9, v24, v34, v9 op_sel_hi:[1,1,0]
	v_fma_mix_f32 v9, v1, v34, v9 op_sel:[0,1,0] op_sel_hi:[1,1,0]
	;; [unrolled: 2-line block ×4, first 2 shown]
	v_fma_mixlo_f16 v9, v9, v30, 0 op_sel:[0,1,0] op_sel_hi:[0,1,0]
	v_add_f16_e32 v35, v26, v9
	s_waitcnt lgkmcnt(0)
	v_fma_mix_f32 v9, v19, v41, 0 op_sel_hi:[1,1,0]
	v_fma_mix_f32 v9, v7, v41, v9 op_sel:[0,1,0] op_sel_hi:[1,1,0]
	v_fma_mix_f32 v9, v16, v42, v9 op_sel_hi:[1,1,0]
	v_fma_mix_f32 v9, v17, v42, v9 op_sel:[0,1,0] op_sel_hi:[1,1,0]
	;; [unrolled: 2-line block ×4, first 2 shown]
	v_fma_mixlo_f16 v9, v9, v29, 0 op_sel_hi:[0,1,0]
	v_add_f16_e32 v9, v23, v9
	buffer_load_dword v23, off, s[28:31], 0 offset:36 ; 4-byte Folded Reload
	buffer_load_dword v34, off, s[28:31], 0 offset:48 ; 4-byte Folded Reload
	v_fma_mix_f32 v26, v3, v41, 0 op_sel_hi:[1,1,0]
	buffer_store_dword v9, off, s[28:31], 0 offset:120 ; 4-byte Folded Spill
	v_fma_mix_f32 v9, v48, v41, 0 op_sel_hi:[1,1,0]
	v_fma_mix_f32 v9, v49, v41, v9 op_sel:[0,1,0] op_sel_hi:[1,1,0]
	v_fma_mix_f32 v9, v50, v42, v9 op_sel_hi:[1,1,0]
	v_fma_mix_f32 v9, v13, v42, v9 op_sel:[0,1,0] op_sel_hi:[1,1,0]
	;; [unrolled: 2-line block ×4, first 2 shown]
	v_fma_mixlo_f16 v9, v9, v29, 0 op_sel:[0,1,0] op_sel_hi:[0,1,0]
	v_fma_mix_f32 v26, v2, v41, v26 op_sel:[0,1,0] op_sel_hi:[1,1,0]
	v_fma_mix_f32 v26, v24, v42, v26 op_sel_hi:[1,1,0]
	v_fma_mix_f32 v26, v1, v42, v26 op_sel:[0,1,0] op_sel_hi:[1,1,0]
	v_fma_mix_f32 v26, v25, v43, v26 op_sel_hi:[1,1,0]
	v_fma_mix_f32 v26, v15, v43, v26 op_sel:[0,1,0] op_sel_hi:[1,1,0]
	v_fma_mix_f32 v26, v0, v44, v26 op_sel_hi:[1,1,0]
	v_fma_mix_f32 v26, v18, v44, v26 op_sel:[0,1,0] op_sel_hi:[1,1,0]
	buffer_load_dword v36, off, s[28:31], 0 offset:56 ; 4-byte Folded Reload
	v_fma_mixlo_f16 v26, v26, v30, 0 op_sel:[0,1,0] op_sel_hi:[0,1,0]
	s_waitcnt vmcnt(3)
	v_add_f16_e32 v33, v23, v9
	buffer_load_dword v9, off, s[28:31], 0 offset:40 ; 4-byte Folded Reload
	v_fma_mix_f32 v23, v55, v41, 0 op_sel_hi:[1,1,0]
	v_fma_mix_f32 v23, v56, v41, v23 op_sel:[0,1,0] op_sel_hi:[1,1,0]
	v_fma_mix_f32 v23, v57, v42, v23 op_sel_hi:[1,1,0]
	v_fma_mix_f32 v23, v14, v42, v23 op_sel:[0,1,0] op_sel_hi:[1,1,0]
	;; [unrolled: 2-line block ×4, first 2 shown]
	ds_read_b128 v[41:44], v27 offset:544
	v_fma_mixlo_f16 v23, v23, v30, 0 op_sel_hi:[0,1,0]
	s_waitcnt lgkmcnt(0)
	v_fma_mix_f32 v27, v19, v41, 0 op_sel_hi:[1,1,0]
	v_fma_mix_f32 v27, v7, v41, v27 op_sel:[0,1,0] op_sel_hi:[1,1,0]
	v_fma_mix_f32 v27, v16, v42, v27 op_sel_hi:[1,1,0]
	v_fma_mix_f32 v27, v17, v42, v27 op_sel:[0,1,0] op_sel_hi:[1,1,0]
	;; [unrolled: 2-line block ×4, first 2 shown]
	v_fma_mixlo_f16 v27, v27, v29, 0 op_sel_hi:[0,1,0]
	s_waitcnt vmcnt(3)
	v_add_f16_e32 v63, v34, v27
	buffer_load_dword v34, off, s[28:31], 0 offset:52 ; 4-byte Folded Reload
	v_fma_mix_f32 v27, v48, v41, 0 op_sel_hi:[1,1,0]
	v_fma_mix_f32 v27, v49, v41, v27 op_sel:[0,1,0] op_sel_hi:[1,1,0]
	v_fma_mix_f32 v27, v50, v42, v27 op_sel_hi:[1,1,0]
	v_fma_mix_f32 v27, v13, v42, v27 op_sel:[0,1,0] op_sel_hi:[1,1,0]
	;; [unrolled: 2-line block ×4, first 2 shown]
	v_fma_mixlo_f16 v27, v27, v29, 0 op_sel:[0,1,0] op_sel_hi:[0,1,0]
	s_waitcnt vmcnt(1)
	v_add_f16_e32 v23, v9, v23
	buffer_load_dword v9, off, s[28:31], 0 offset:44 ; 4-byte Folded Reload
	s_waitcnt vmcnt(1)
	v_add_f16_e32 v27, v34, v27
	v_fma_mix_f32 v34, v55, v41, 0 op_sel_hi:[1,1,0]
	v_fma_mix_f32 v34, v56, v41, v34 op_sel:[0,1,0] op_sel_hi:[1,1,0]
	v_fma_mix_f32 v34, v57, v42, v34 op_sel_hi:[1,1,0]
	v_fma_mix_f32 v34, v14, v42, v34 op_sel:[0,1,0] op_sel_hi:[1,1,0]
	v_fma_mix_f32 v34, v58, v43, v34 op_sel_hi:[1,1,0]
	v_fma_mix_f32 v34, v5, v43, v34 op_sel:[0,1,0] op_sel_hi:[1,1,0]
	v_fma_mix_f32 v34, v4, v44, v34 op_sel_hi:[1,1,0]
	v_fma_mix_f32 v34, v10, v44, v34 op_sel:[0,1,0] op_sel_hi:[1,1,0]
	v_fma_mixlo_f16 v34, v34, v30, 0 op_sel_hi:[0,1,0]
	v_add_f16_e32 v34, v36, v34
	v_fma_mix_f32 v36, v3, v41, 0 op_sel_hi:[1,1,0]
	v_fma_mix_f32 v36, v2, v41, v36 op_sel:[0,1,0] op_sel_hi:[1,1,0]
	buffer_load_dword v41, off, s[28:31], 0 offset:60 ; 4-byte Folded Reload
	v_fma_mix_f32 v36, v24, v42, v36 op_sel_hi:[1,1,0]
	v_fma_mix_f32 v36, v1, v42, v36 op_sel:[0,1,0] op_sel_hi:[1,1,0]
	v_fma_mix_f32 v36, v25, v43, v36 op_sel_hi:[1,1,0]
	v_fma_mix_f32 v36, v15, v43, v36 op_sel:[0,1,0] op_sel_hi:[1,1,0]
	;; [unrolled: 2-line block ×3, first 2 shown]
	v_fma_mixlo_f16 v36, v36, v30, 0 op_sel:[0,1,0] op_sel_hi:[0,1,0]
	buffer_store_dword v34, off, s[28:31], 0 offset:112 ; 4-byte Folded Spill
	s_waitcnt vmcnt(2)
	v_add_f16_e32 v26, v9, v26
	v_mov_b32_e32 v9, s2
	s_add_i32 s2, s2, 64
	s_cmp_ge_i32 s24, s25
	s_waitcnt vmcnt(1)
	v_add_f16_e32 v34, v41, v36
	buffer_store_dword v34, off, s[28:31], 0 offset:116 ; 4-byte Folded Spill
	buffer_load_dword v34, off, s[28:31], 0 offset:64 ; 4-byte Folded Reload
	ds_read_b128 v[41:44], v9 offset:800
	s_waitcnt lgkmcnt(0)
	v_fma_mix_f32 v36, v19, v41, 0 op_sel_hi:[1,1,0]
	v_fma_mix_f32 v36, v7, v41, v36 op_sel:[0,1,0] op_sel_hi:[1,1,0]
	v_fma_mix_f32 v36, v16, v42, v36 op_sel_hi:[1,1,0]
	v_fma_mix_f32 v36, v17, v42, v36 op_sel:[0,1,0] op_sel_hi:[1,1,0]
	;; [unrolled: 2-line block ×4, first 2 shown]
	v_fma_mixlo_f16 v36, v36, v29, 0 op_sel_hi:[0,1,0]
	s_waitcnt vmcnt(0)
	v_add_f16_e32 v34, v34, v36
	buffer_store_dword v34, off, s[28:31], 0 offset:52 ; 4-byte Folded Spill
	buffer_load_dword v34, off, s[28:31], 0 offset:68 ; 4-byte Folded Reload
	v_fma_mix_f32 v36, v48, v41, 0 op_sel_hi:[1,1,0]
	v_fma_mix_f32 v36, v49, v41, v36 op_sel:[0,1,0] op_sel_hi:[1,1,0]
	v_fma_mix_f32 v36, v50, v42, v36 op_sel_hi:[1,1,0]
	v_fma_mix_f32 v36, v13, v42, v36 op_sel:[0,1,0] op_sel_hi:[1,1,0]
	;; [unrolled: 2-line block ×4, first 2 shown]
	v_fma_mixlo_f16 v36, v36, v29, 0 op_sel:[0,1,0] op_sel_hi:[0,1,0]
	s_waitcnt vmcnt(0)
	v_add_f16_e32 v34, v34, v36
	buffer_store_dword v34, off, s[28:31], 0 offset:56 ; 4-byte Folded Spill
	buffer_load_dword v34, off, s[28:31], 0 offset:72 ; 4-byte Folded Reload
	v_fma_mix_f32 v36, v55, v41, 0 op_sel_hi:[1,1,0]
	v_fma_mix_f32 v36, v56, v41, v36 op_sel:[0,1,0] op_sel_hi:[1,1,0]
	v_fma_mix_f32 v36, v57, v42, v36 op_sel_hi:[1,1,0]
	v_fma_mix_f32 v36, v14, v42, v36 op_sel:[0,1,0] op_sel_hi:[1,1,0]
	;; [unrolled: 2-line block ×4, first 2 shown]
	v_fma_mixlo_f16 v36, v36, v30, 0 op_sel_hi:[0,1,0]
	s_waitcnt vmcnt(0)
	v_add_f16_e32 v34, v34, v36
	buffer_store_dword v34, off, s[28:31], 0 offset:44 ; 4-byte Folded Spill
	buffer_load_dword v34, off, s[28:31], 0 offset:76 ; 4-byte Folded Reload
	v_fma_mix_f32 v36, v3, v41, 0 op_sel_hi:[1,1,0]
	v_fma_mix_f32 v36, v2, v41, v36 op_sel:[0,1,0] op_sel_hi:[1,1,0]
	v_fma_mix_f32 v36, v24, v42, v36 op_sel_hi:[1,1,0]
	v_fma_mix_f32 v36, v1, v42, v36 op_sel:[0,1,0] op_sel_hi:[1,1,0]
	;; [unrolled: 2-line block ×4, first 2 shown]
	v_fma_mixlo_f16 v36, v36, v30, 0 op_sel:[0,1,0] op_sel_hi:[0,1,0]
	ds_read_b128 v[41:44], v9 offset:1056
	s_waitcnt vmcnt(0)
	v_add_f16_e32 v34, v34, v36
	buffer_store_dword v34, off, s[28:31], 0 offset:48 ; 4-byte Folded Spill
	buffer_load_dword v34, off, s[28:31], 0 offset:96 ; 4-byte Folded Reload
	s_waitcnt lgkmcnt(0)
	v_fma_mix_f32 v36, v19, v41, 0 op_sel_hi:[1,1,0]
	v_fma_mix_f32 v36, v7, v41, v36 op_sel:[0,1,0] op_sel_hi:[1,1,0]
	v_fma_mix_f32 v36, v16, v42, v36 op_sel_hi:[1,1,0]
	v_fma_mix_f32 v36, v17, v42, v36 op_sel:[0,1,0] op_sel_hi:[1,1,0]
	;; [unrolled: 2-line block ×4, first 2 shown]
	v_fma_mixlo_f16 v36, v36, v29, 0 op_sel_hi:[0,1,0]
	s_waitcnt vmcnt(0)
	v_add_f16_e32 v34, v34, v36
	buffer_store_dword v34, off, s[28:31], 0 offset:36 ; 4-byte Folded Spill
	buffer_load_dword v34, off, s[28:31], 0 offset:100 ; 4-byte Folded Reload
	v_fma_mix_f32 v36, v48, v41, 0 op_sel_hi:[1,1,0]
	v_fma_mix_f32 v36, v49, v41, v36 op_sel:[0,1,0] op_sel_hi:[1,1,0]
	v_fma_mix_f32 v36, v50, v42, v36 op_sel_hi:[1,1,0]
	v_fma_mix_f32 v36, v13, v42, v36 op_sel:[0,1,0] op_sel_hi:[1,1,0]
	;; [unrolled: 2-line block ×4, first 2 shown]
	v_fma_mixlo_f16 v36, v36, v29, 0 op_sel:[0,1,0] op_sel_hi:[0,1,0]
	s_waitcnt vmcnt(0)
	v_add_f16_e32 v34, v34, v36
	buffer_store_dword v34, off, s[28:31], 0 offset:40 ; 4-byte Folded Spill
	buffer_load_dword v34, off, s[28:31], 0 offset:104 ; 4-byte Folded Reload
	v_fma_mix_f32 v36, v55, v41, 0 op_sel_hi:[1,1,0]
	v_fma_mix_f32 v36, v56, v41, v36 op_sel:[0,1,0] op_sel_hi:[1,1,0]
	v_fma_mix_f32 v36, v57, v42, v36 op_sel_hi:[1,1,0]
	v_fma_mix_f32 v36, v14, v42, v36 op_sel:[0,1,0] op_sel_hi:[1,1,0]
	;; [unrolled: 2-line block ×4, first 2 shown]
	v_fma_mixlo_f16 v36, v36, v30, 0 op_sel_hi:[0,1,0]
	s_waitcnt vmcnt(0)
	v_add_f16_e32 v34, v34, v36
	v_fma_mix_f32 v36, v3, v41, 0 op_sel_hi:[1,1,0]
	v_fma_mix_f32 v36, v2, v41, v36 op_sel:[0,1,0] op_sel_hi:[1,1,0]
	buffer_load_dword v41, off, s[28:31], 0 offset:108 ; 4-byte Folded Reload
	v_fma_mix_f32 v36, v24, v42, v36 op_sel_hi:[1,1,0]
	buffer_store_dword v34, off, s[28:31], 0 offset:60 ; 4-byte Folded Spill
	buffer_load_dword v34, off, s[28:31], 0 offset:80 ; 4-byte Folded Reload
	v_fma_mix_f32 v36, v1, v42, v36 op_sel:[0,1,0] op_sel_hi:[1,1,0]
	v_fma_mix_f32 v36, v25, v43, v36 op_sel_hi:[1,1,0]
	v_fma_mix_f32 v36, v15, v43, v36 op_sel:[0,1,0] op_sel_hi:[1,1,0]
	v_fma_mix_f32 v36, v0, v44, v36 op_sel_hi:[1,1,0]
	v_fma_mix_f32 v36, v18, v44, v36 op_sel:[0,1,0] op_sel_hi:[1,1,0]
	v_fma_mixlo_f16 v36, v36, v30, 0 op_sel:[0,1,0] op_sel_hi:[0,1,0]
	s_waitcnt vmcnt(2)
	v_add_f16_e32 v36, v41, v36
	ds_read_b128 v[41:44], v9 offset:1312
	buffer_store_dword v36, off, s[28:31], 0 offset:32 ; 4-byte Folded Spill
	s_waitcnt lgkmcnt(0)
	v_fma_mix_f32 v36, v19, v41, 0 op_sel_hi:[1,1,0]
	v_fma_mix_f32 v36, v7, v41, v36 op_sel:[0,1,0] op_sel_hi:[1,1,0]
	v_fma_mix_f32 v36, v16, v42, v36 op_sel_hi:[1,1,0]
	v_fma_mix_f32 v36, v17, v42, v36 op_sel:[0,1,0] op_sel_hi:[1,1,0]
	;; [unrolled: 2-line block ×4, first 2 shown]
	v_fma_mixlo_f16 v36, v36, v29, 0 op_sel_hi:[0,1,0]
	s_waitcnt vmcnt(1)
	v_add_f16_e32 v36, v34, v36
	buffer_load_dword v34, off, s[28:31], 0 offset:84 ; 4-byte Folded Reload
	s_nop 0
	buffer_store_dword v36, off, s[28:31], 0 offset:24 ; 4-byte Folded Spill
	v_fma_mix_f32 v36, v48, v41, 0 op_sel_hi:[1,1,0]
	v_fma_mix_f32 v36, v49, v41, v36 op_sel:[0,1,0] op_sel_hi:[1,1,0]
	v_fma_mix_f32 v36, v50, v42, v36 op_sel_hi:[1,1,0]
	v_fma_mix_f32 v36, v13, v42, v36 op_sel:[0,1,0] op_sel_hi:[1,1,0]
	;; [unrolled: 2-line block ×4, first 2 shown]
	v_fma_mixlo_f16 v36, v36, v29, 0 op_sel:[0,1,0] op_sel_hi:[0,1,0]
	s_waitcnt vmcnt(1)
	v_add_f16_e32 v36, v34, v36
	buffer_load_dword v34, off, s[28:31], 0 offset:88 ; 4-byte Folded Reload
	s_nop 0
	buffer_store_dword v36, off, s[28:31], 0 offset:28 ; 4-byte Folded Spill
	v_fma_mix_f32 v36, v55, v41, 0 op_sel_hi:[1,1,0]
	v_fma_mix_f32 v36, v56, v41, v36 op_sel:[0,1,0] op_sel_hi:[1,1,0]
	v_fma_mix_f32 v36, v57, v42, v36 op_sel_hi:[1,1,0]
	v_fma_mix_f32 v36, v14, v42, v36 op_sel:[0,1,0] op_sel_hi:[1,1,0]
	;; [unrolled: 2-line block ×4, first 2 shown]
	v_fma_mixlo_f16 v36, v36, v30, 0 op_sel_hi:[0,1,0]
	s_waitcnt vmcnt(1)
	v_add_f16_e32 v36, v34, v36
	buffer_store_dword v36, off, s[28:31], 0 offset:16 ; 4-byte Folded Spill
	v_fma_mix_f32 v36, v3, v41, 0 op_sel_hi:[1,1,0]
	v_fma_mix_f32 v36, v2, v41, v36 op_sel:[0,1,0] op_sel_hi:[1,1,0]
	v_fma_mix_f32 v36, v24, v42, v36 op_sel_hi:[1,1,0]
	v_fma_mix_f32 v36, v1, v42, v36 op_sel:[0,1,0] op_sel_hi:[1,1,0]
	;; [unrolled: 2-line block ×4, first 2 shown]
	ds_read_b128 v[41:44], v9 offset:1568
	buffer_load_dword v34, off, s[28:31], 0 offset:92 ; 4-byte Folded Reload
	v_fma_mixlo_f16 v36, v36, v30, 0 op_sel:[0,1,0] op_sel_hi:[0,1,0]
	s_waitcnt lgkmcnt(0)
	v_fma_mix_f32 v19, v19, v41, 0 op_sel_hi:[1,1,0]
	v_fma_mix_f32 v7, v7, v41, v19 op_sel:[0,1,0] op_sel_hi:[1,1,0]
	v_fma_mix_f32 v7, v16, v42, v7 op_sel_hi:[1,1,0]
	v_fma_mix_f32 v7, v17, v42, v7 op_sel:[0,1,0] op_sel_hi:[1,1,0]
	v_fma_mix_f32 v7, v12, v43, v7 op_sel_hi:[1,1,0]
	buffer_load_dword v12, off, s[28:31], 0 offset:124 ; 4-byte Folded Reload
	v_fma_mix_f32 v7, v45, v43, v7 op_sel:[0,1,0] op_sel_hi:[1,1,0]
	v_fma_mix_f32 v7, v46, v44, v7 op_sel_hi:[1,1,0]
	v_fma_mix_f32 v7, v47, v44, v7 op_sel:[0,1,0] op_sel_hi:[1,1,0]
	v_fma_mixlo_f16 v7, v7, v29, 0 op_sel_hi:[0,1,0]
	v_fma_mix_f32 v3, v3, v41, 0 op_sel_hi:[1,1,0]
	v_fma_mix_f32 v2, v2, v41, v3 op_sel:[0,1,0] op_sel_hi:[1,1,0]
	v_fma_mix_f32 v2, v24, v42, v2 op_sel_hi:[1,1,0]
	v_fma_mix_f32 v1, v1, v42, v2 op_sel:[0,1,0] op_sel_hi:[1,1,0]
	;; [unrolled: 2-line block ×4, first 2 shown]
	v_fma_mixlo_f16 v0, v0, v30, 0 op_sel:[0,1,0] op_sel_hi:[0,1,0]
	v_add_f16_e32 v24, v40, v0
	s_waitcnt vmcnt(0)
	v_add_f16_e32 v7, v12, v7
	buffer_store_dword v7, off, s[28:31], 0 offset:12 ; 4-byte Folded Spill
	v_fma_mix_f32 v7, v48, v41, 0 op_sel_hi:[1,1,0]
	v_fma_mix_f32 v7, v49, v41, v7 op_sel:[0,1,0] op_sel_hi:[1,1,0]
	v_fma_mix_f32 v7, v50, v42, v7 op_sel_hi:[1,1,0]
	v_fma_mix_f32 v7, v13, v42, v7 op_sel:[0,1,0] op_sel_hi:[1,1,0]
	;; [unrolled: 2-line block ×4, first 2 shown]
	v_fma_mixlo_f16 v7, v7, v29, 0 op_sel:[0,1,0] op_sel_hi:[0,1,0]
	v_add_f16_e32 v7, v38, v7
	buffer_store_dword v7, off, s[28:31], 0 offset:8 ; 4-byte Folded Spill
	v_fma_mix_f32 v7, v55, v41, 0 op_sel_hi:[1,1,0]
	v_fma_mix_f32 v7, v56, v41, v7 op_sel:[0,1,0] op_sel_hi:[1,1,0]
	v_fma_mix_f32 v7, v57, v42, v7 op_sel_hi:[1,1,0]
	v_fma_mix_f32 v7, v14, v42, v7 op_sel:[0,1,0] op_sel_hi:[1,1,0]
	;; [unrolled: 2-line block ×4, first 2 shown]
	v_fma_mixlo_f16 v4, v4, v30, 0 op_sel_hi:[0,1,0]
	v_add_f16_e32 v4, v39, v4
	buffer_store_dword v4, off, s[28:31], 0 offset:4 ; 4-byte Folded Spill
	v_add_co_u32_e32 v4, vcc, s0, v20
	v_addc_co_u32_e32 v5, vcc, v21, v37, vcc
	global_load_dwordx4 v[0:3], v[4:5], off
	v_add_co_u32_e32 v4, vcc, s0, v4
	v_addc_co_u32_e32 v5, vcc, v5, v37, vcc
	global_load_dwordx4 v[16:19], v[4:5], off
	v_mov_b32_e32 v14, v37
	s_waitcnt vmcnt(1)
	v_sub_u32_sdwa v7, v0, v32 dst_sel:DWORD dst_unused:UNUSED_PAD src0_sel:BYTE_0 src1_sel:DWORD
	v_cvt_f32_i32_e32 v7, v7
	v_cvt_f16_f32_e32 v10, v7
	v_sub_u32_sdwa v7, v0, v32 dst_sel:DWORD dst_unused:UNUSED_PAD src0_sel:BYTE_1 src1_sel:DWORD
	v_cvt_f32_i32_e32 v7, v7
	v_cvt_f16_f32_e32 v15, v7
	v_sub_u32_sdwa v7, v0, v32 dst_sel:DWORD dst_unused:UNUSED_PAD src0_sel:BYTE_2 src1_sel:DWORD
	v_sub_u32_sdwa v0, v0, v32 dst_sel:DWORD dst_unused:UNUSED_PAD src0_sel:BYTE_3 src1_sel:DWORD
	v_cvt_f32_i32_e32 v0, v0
	v_cvt_f32_i32_e32 v7, v7
	v_cvt_f16_f32_e32 v13, v0
	s_waitcnt vmcnt(0)
	v_sub_u32_sdwa v0, v16, v32 dst_sel:DWORD dst_unused:UNUSED_PAD src0_sel:BYTE_0 src1_sel:DWORD
	v_cvt_f32_i32_e32 v0, v0
	v_cvt_f16_f32_e32 v12, v7
	buffer_load_dword v7, off, s[28:31], 0 offset:120 ; 4-byte Folded Reload
	v_add_f16_e32 v36, v34, v36
	v_cvt_f16_f32_e32 v20, v0
	v_sub_u32_sdwa v0, v16, v32 dst_sel:DWORD dst_unused:UNUSED_PAD src0_sel:BYTE_1 src1_sel:DWORD
	v_cvt_f32_i32_e32 v0, v0
	buffer_store_dword v36, off, s[28:31], 0 offset:20 ; 4-byte Folded Spill
	v_cvt_f16_f32_e32 v36, v0
	v_sub_u32_sdwa v0, v16, v32 dst_sel:DWORD dst_unused:UNUSED_PAD src0_sel:BYTE_2 src1_sel:DWORD
	v_cvt_f32_i32_e32 v0, v0
	v_cvt_f16_f32_e32 v37, v0
	v_sub_u32_sdwa v0, v16, v32 dst_sel:DWORD dst_unused:UNUSED_PAD src0_sel:BYTE_3 src1_sel:DWORD
	v_cvt_f32_i32_e32 v0, v0
	buffer_load_dword v32, off, s[28:31], 0 offset:28 ; 4-byte Folded Reload
	v_cvt_f16_f32_e32 v38, v0
	v_sub_u32_sdwa v0, v1, v31 dst_sel:DWORD dst_unused:UNUSED_PAD src0_sel:BYTE_0 src1_sel:DWORD
	v_cvt_f32_i32_e32 v0, v0
	v_cvt_f16_f32_e32 v21, v0
	v_sub_u32_sdwa v0, v1, v31 dst_sel:DWORD dst_unused:UNUSED_PAD src0_sel:BYTE_1 src1_sel:DWORD
	v_cvt_f32_i32_e32 v0, v0
	v_cvt_f16_f32_e32 v39, v0
	v_sub_u32_sdwa v0, v1, v31 dst_sel:DWORD dst_unused:UNUSED_PAD src0_sel:BYTE_2 src1_sel:DWORD
	v_cvt_f32_i32_e32 v0, v0
	v_cvt_f16_f32_e32 v40, v0
	v_sub_u32_sdwa v0, v1, v31 dst_sel:DWORD dst_unused:UNUSED_PAD src0_sel:BYTE_3 src1_sel:DWORD
	v_cvt_f32_i32_e32 v0, v0
	v_fma_mix_f32 v1, v21, v59, 0 op_sel_hi:[1,1,0]
	v_fma_mix_f32 v1, v39, v59, v1 op_sel:[0,1,0] op_sel_hi:[1,1,0]
	v_fma_mix_f32 v1, v40, v60, v1 op_sel_hi:[1,1,0]
	v_cvt_f16_f32_e32 v41, v0
	v_sub_u32_sdwa v0, v17, v31 dst_sel:DWORD dst_unused:UNUSED_PAD src0_sel:BYTE_0 src1_sel:DWORD
	v_cvt_f32_i32_e32 v0, v0
	v_fma_mix_f32 v1, v41, v60, v1 op_sel:[0,1,0] op_sel_hi:[1,1,0]
	v_cvt_f16_f32_e32 v42, v0
	v_sub_u32_sdwa v0, v17, v31 dst_sel:DWORD dst_unused:UNUSED_PAD src0_sel:BYTE_1 src1_sel:DWORD
	v_cvt_f32_i32_e32 v0, v0
	v_fma_mix_f32 v1, v42, v61, v1 op_sel_hi:[1,1,0]
	v_cvt_f16_f32_e32 v43, v0
	v_sub_u32_sdwa v0, v17, v31 dst_sel:DWORD dst_unused:UNUSED_PAD src0_sel:BYTE_2 src1_sel:DWORD
	v_cvt_f32_i32_e32 v0, v0
	v_fma_mix_f32 v1, v43, v61, v1 op_sel:[0,1,0] op_sel_hi:[1,1,0]
	v_cvt_f16_f32_e32 v44, v0
	v_sub_u32_sdwa v0, v17, v31 dst_sel:DWORD dst_unused:UNUSED_PAD src0_sel:BYTE_3 src1_sel:DWORD
	v_cvt_f32_i32_e32 v0, v0
	v_fma_mix_f32 v1, v44, v62, v1 op_sel_hi:[1,1,0]
	v_cvt_f16_f32_e32 v46, v0
	v_sub_u32_sdwa v0, v2, v28 dst_sel:DWORD dst_unused:UNUSED_PAD src0_sel:BYTE_0 src1_sel:DWORD
	v_cvt_f32_i32_e32 v0, v0
	v_fma_mix_f32 v1, v46, v62, v1 op_sel:[0,1,0] op_sel_hi:[1,1,0]
	v_fma_mixlo_f16 v1, v1, v29, 0 op_sel:[0,1,0] op_sel_hi:[0,1,0]
	v_cvt_f16_f32_e32 v16, v0
	v_sub_u32_sdwa v0, v2, v28 dst_sel:DWORD dst_unused:UNUSED_PAD src0_sel:BYTE_1 src1_sel:DWORD
	v_cvt_f32_i32_e32 v0, v0
	v_add_f16_e32 v1, v11, v1
	v_cvt_f16_f32_e32 v45, v0
	v_sub_u32_sdwa v0, v2, v28 dst_sel:DWORD dst_unused:UNUSED_PAD src0_sel:BYTE_2 src1_sel:DWORD
	v_cvt_f32_i32_e32 v0, v0
	v_cvt_f16_f32_e32 v47, v0
	v_sub_u32_sdwa v0, v2, v28 dst_sel:DWORD dst_unused:UNUSED_PAD src0_sel:BYTE_3 src1_sel:DWORD
	v_cvt_f32_i32_e32 v0, v0
	v_cvt_f16_f32_e32 v48, v0
	v_sub_u32_sdwa v0, v18, v28 dst_sel:DWORD dst_unused:UNUSED_PAD src0_sel:BYTE_0 src1_sel:DWORD
	v_cvt_f32_i32_e32 v0, v0
	v_cvt_f16_f32_e32 v49, v0
	v_sub_u32_sdwa v0, v18, v28 dst_sel:DWORD dst_unused:UNUSED_PAD src0_sel:BYTE_1 src1_sel:DWORD
	v_cvt_f32_i32_e32 v0, v0
	v_cvt_f16_f32_e32 v50, v0
	v_sub_u32_sdwa v0, v18, v28 dst_sel:DWORD dst_unused:UNUSED_PAD src0_sel:BYTE_2 src1_sel:DWORD
	v_cvt_f32_i32_e32 v0, v0
	v_cvt_f16_f32_e32 v51, v0
	v_sub_u32_sdwa v0, v18, v28 dst_sel:DWORD dst_unused:UNUSED_PAD src0_sel:BYTE_3 src1_sel:DWORD
	v_cvt_f32_i32_e32 v0, v0
	buffer_load_dword v28, off, s[28:31], 0 offset:40 ; 4-byte Folded Reload
	v_cvt_f16_f32_e32 v52, v0
	v_sub_u32_sdwa v0, v3, v22 dst_sel:DWORD dst_unused:UNUSED_PAD src0_sel:BYTE_0 src1_sel:DWORD
	v_cvt_f32_i32_e32 v0, v0
	v_cvt_f16_f32_e32 v18, v0
	v_sub_u32_sdwa v0, v3, v22 dst_sel:DWORD dst_unused:UNUSED_PAD src0_sel:BYTE_1 src1_sel:DWORD
	v_cvt_f32_i32_e32 v0, v0
	v_cvt_f16_f32_e32 v53, v0
	v_sub_u32_sdwa v0, v3, v22 dst_sel:DWORD dst_unused:UNUSED_PAD src0_sel:BYTE_2 src1_sel:DWORD
	v_cvt_f32_i32_e32 v0, v0
	v_cvt_f16_f32_e32 v54, v0
	v_sub_u32_sdwa v0, v3, v22 dst_sel:DWORD dst_unused:UNUSED_PAD src0_sel:BYTE_3 src1_sel:DWORD
	v_cvt_f32_i32_e32 v0, v0
	v_cvt_f16_f32_e32 v55, v0
	v_sub_u32_sdwa v0, v19, v22 dst_sel:DWORD dst_unused:UNUSED_PAD src0_sel:BYTE_0 src1_sel:DWORD
	v_cvt_f32_i32_e32 v0, v0
	v_cvt_f16_f32_e32 v56, v0
	v_sub_u32_sdwa v0, v19, v22 dst_sel:DWORD dst_unused:UNUSED_PAD src0_sel:BYTE_1 src1_sel:DWORD
	v_cvt_f32_i32_e32 v0, v0
	v_cvt_f16_f32_e32 v57, v0
	v_sub_u32_sdwa v0, v19, v22 dst_sel:DWORD dst_unused:UNUSED_PAD src0_sel:BYTE_2 src1_sel:DWORD
	v_cvt_f32_i32_e32 v0, v0
	v_cvt_f16_f32_e32 v58, v0
	v_sub_u32_sdwa v0, v19, v22 dst_sel:DWORD dst_unused:UNUSED_PAD src0_sel:BYTE_3 src1_sel:DWORD
	v_cvt_f32_i32_e32 v0, v0
	v_cvt_f16_f32_e32 v19, v0
	v_fma_mix_f32 v0, v10, v59, 0 op_sel_hi:[1,1,0]
	v_fma_mix_f32 v0, v15, v59, v0 op_sel:[0,1,0] op_sel_hi:[1,1,0]
	v_fma_mix_f32 v0, v12, v60, v0 op_sel_hi:[1,1,0]
	v_fma_mix_f32 v0, v13, v60, v0 op_sel:[0,1,0] op_sel_hi:[1,1,0]
	;; [unrolled: 2-line block ×4, first 2 shown]
	v_fma_mixlo_f16 v0, v0, v29, 0 op_sel_hi:[0,1,0]
	v_add_f16_e32 v0, v8, v0
	v_pack_b32_f16 v8, v0, v1
	v_fma_mix_f32 v0, v16, v59, 0 op_sel_hi:[1,1,0]
	v_fma_mix_f32 v1, v18, v59, 0 op_sel_hi:[1,1,0]
	v_fma_mix_f32 v0, v45, v59, v0 op_sel:[0,1,0] op_sel_hi:[1,1,0]
	v_fma_mix_f32 v1, v53, v59, v1 op_sel:[0,1,0] op_sel_hi:[1,1,0]
	v_fma_mix_f32 v0, v47, v60, v0 op_sel_hi:[1,1,0]
	v_fma_mix_f32 v1, v54, v60, v1 op_sel_hi:[1,1,0]
	v_fma_mix_f32 v0, v48, v60, v0 op_sel:[0,1,0] op_sel_hi:[1,1,0]
	v_fma_mix_f32 v1, v55, v60, v1 op_sel:[0,1,0] op_sel_hi:[1,1,0]
	;; [unrolled: 4-line block ×4, first 2 shown]
	v_fma_mixlo_f16 v0, v0, v30, 0 op_sel_hi:[0,1,0]
	v_fma_mixlo_f16 v1, v1, v30, 0 op_sel:[0,1,0] op_sel_hi:[0,1,0]
	v_add_f16_e32 v0, v6, v0
	v_add_f16_e32 v1, v35, v1
	v_pack_b32_f16 v17, v0, v1
	ds_read_b128 v[0:3], v9 offset:304
	s_waitcnt lgkmcnt(0)
	v_fma_mix_f32 v6, v10, v0, 0 op_sel_hi:[1,1,0]
	v_fma_mix_f32 v6, v15, v0, v6 op_sel:[0,1,0] op_sel_hi:[1,1,0]
	v_fma_mix_f32 v6, v12, v1, v6 op_sel_hi:[1,1,0]
	v_fma_mix_f32 v6, v13, v1, v6 op_sel:[0,1,0] op_sel_hi:[1,1,0]
	;; [unrolled: 2-line block ×4, first 2 shown]
	v_fma_mixlo_f16 v6, v6, v29, 0 op_sel_hi:[0,1,0]
	s_waitcnt vmcnt(3)
	v_add_f16_e32 v6, v7, v6
	v_fma_mix_f32 v7, v21, v0, 0 op_sel_hi:[1,1,0]
	v_fma_mix_f32 v7, v39, v0, v7 op_sel:[0,1,0] op_sel_hi:[1,1,0]
	v_fma_mix_f32 v7, v40, v1, v7 op_sel_hi:[1,1,0]
	v_fma_mix_f32 v7, v41, v1, v7 op_sel:[0,1,0] op_sel_hi:[1,1,0]
	;; [unrolled: 2-line block ×4, first 2 shown]
	v_fma_mixlo_f16 v7, v7, v29, 0 op_sel:[0,1,0] op_sel_hi:[0,1,0]
	v_add_f16_e32 v7, v33, v7
	v_pack_b32_f16 v22, v6, v7
	v_fma_mix_f32 v6, v16, v0, 0 op_sel_hi:[1,1,0]
	v_fma_mix_f32 v7, v18, v0, 0 op_sel_hi:[1,1,0]
	v_fma_mix_f32 v6, v45, v0, v6 op_sel:[0,1,0] op_sel_hi:[1,1,0]
	v_fma_mix_f32 v0, v53, v0, v7 op_sel:[0,1,0] op_sel_hi:[1,1,0]
	v_fma_mix_f32 v6, v47, v1, v6 op_sel_hi:[1,1,0]
	v_fma_mix_f32 v0, v54, v1, v0 op_sel_hi:[1,1,0]
	v_fma_mix_f32 v6, v48, v1, v6 op_sel:[0,1,0] op_sel_hi:[1,1,0]
	v_fma_mix_f32 v0, v55, v1, v0 op_sel:[0,1,0] op_sel_hi:[1,1,0]
	v_fma_mix_f32 v6, v49, v2, v6 op_sel_hi:[1,1,0]
	v_fma_mix_f32 v0, v56, v2, v0 op_sel_hi:[1,1,0]
	v_fma_mix_f32 v6, v50, v2, v6 op_sel:[0,1,0] op_sel_hi:[1,1,0]
	v_fma_mix_f32 v0, v57, v2, v0 op_sel:[0,1,0] op_sel_hi:[1,1,0]
	v_fma_mix_f32 v6, v51, v3, v6 op_sel_hi:[1,1,0]
	v_fma_mix_f32 v0, v58, v3, v0 op_sel_hi:[1,1,0]
	v_fma_mix_f32 v6, v52, v3, v6 op_sel:[0,1,0] op_sel_hi:[1,1,0]
	v_fma_mix_f32 v0, v19, v3, v0 op_sel:[0,1,0] op_sel_hi:[1,1,0]
	v_fma_mixlo_f16 v6, v6, v30, 0 op_sel_hi:[0,1,0]
	v_fma_mixlo_f16 v0, v0, v30, 0 op_sel:[0,1,0] op_sel_hi:[0,1,0]
	v_add_f16_e32 v6, v23, v6
	v_add_f16_e32 v0, v26, v0
	v_pack_b32_f16 v11, v6, v0
	ds_read_b128 v[0:3], v9 offset:560
	buffer_load_dword v26, off, s[28:31], 0 offset:56 ; 4-byte Folded Reload
	s_waitcnt lgkmcnt(0)
	v_fma_mix_f32 v6, v10, v0, 0 op_sel_hi:[1,1,0]
	v_fma_mix_f32 v7, v21, v0, 0 op_sel_hi:[1,1,0]
	v_fma_mix_f32 v6, v15, v0, v6 op_sel:[0,1,0] op_sel_hi:[1,1,0]
	v_fma_mix_f32 v7, v39, v0, v7 op_sel:[0,1,0] op_sel_hi:[1,1,0]
	v_fma_mix_f32 v6, v12, v1, v6 op_sel_hi:[1,1,0]
	v_fma_mix_f32 v7, v40, v1, v7 op_sel_hi:[1,1,0]
	v_fma_mix_f32 v6, v13, v1, v6 op_sel:[0,1,0] op_sel_hi:[1,1,0]
	v_fma_mix_f32 v7, v41, v1, v7 op_sel:[0,1,0] op_sel_hi:[1,1,0]
	v_fma_mix_f32 v6, v20, v2, v6 op_sel_hi:[1,1,0]
	v_fma_mix_f32 v7, v42, v2, v7 op_sel_hi:[1,1,0]
	v_fma_mix_f32 v6, v36, v2, v6 op_sel:[0,1,0] op_sel_hi:[1,1,0]
	v_fma_mix_f32 v7, v43, v2, v7 op_sel:[0,1,0] op_sel_hi:[1,1,0]
	v_fma_mix_f32 v6, v37, v3, v6 op_sel_hi:[1,1,0]
	v_fma_mix_f32 v7, v44, v3, v7 op_sel_hi:[1,1,0]
	v_fma_mix_f32 v6, v38, v3, v6 op_sel:[0,1,0] op_sel_hi:[1,1,0]
	v_fma_mix_f32 v7, v46, v3, v7 op_sel:[0,1,0] op_sel_hi:[1,1,0]
	v_fma_mixlo_f16 v6, v6, v29, 0 op_sel_hi:[0,1,0]
	v_fma_mixlo_f16 v7, v7, v29, 0 op_sel:[0,1,0] op_sel_hi:[0,1,0]
	v_add_f16_e32 v6, v63, v6
	v_add_f16_e32 v7, v27, v7
	v_pack_b32_f16 v25, v6, v7
	buffer_load_dword v7, off, s[28:31], 0 offset:112 ; 4-byte Folded Reload
	v_fma_mix_f32 v6, v16, v0, 0 op_sel_hi:[1,1,0]
	v_fma_mix_f32 v6, v45, v0, v6 op_sel:[0,1,0] op_sel_hi:[1,1,0]
	v_fma_mix_f32 v6, v47, v1, v6 op_sel_hi:[1,1,0]
	v_fma_mix_f32 v6, v48, v1, v6 op_sel:[0,1,0] op_sel_hi:[1,1,0]
	v_fma_mix_f32 v6, v49, v2, v6 op_sel_hi:[1,1,0]
	v_fma_mix_f32 v6, v50, v2, v6 op_sel:[0,1,0] op_sel_hi:[1,1,0]
	v_fma_mix_f32 v6, v51, v3, v6 op_sel_hi:[1,1,0]
	v_fma_mix_f32 v6, v52, v3, v6 op_sel:[0,1,0] op_sel_hi:[1,1,0]
	v_fma_mixlo_f16 v6, v6, v30, 0 op_sel_hi:[0,1,0]
	s_waitcnt vmcnt(0)
	v_add_f16_e32 v6, v7, v6
	v_fma_mix_f32 v7, v18, v0, 0 op_sel_hi:[1,1,0]
	v_fma_mix_f32 v0, v53, v0, v7 op_sel:[0,1,0] op_sel_hi:[1,1,0]
	v_fma_mix_f32 v0, v54, v1, v0 op_sel_hi:[1,1,0]
	v_fma_mix_f32 v0, v55, v1, v0 op_sel:[0,1,0] op_sel_hi:[1,1,0]
	buffer_load_dword v1, off, s[28:31], 0 offset:116 ; 4-byte Folded Reload
	buffer_load_dword v7, off, s[28:31], 0 offset:52 ; 4-byte Folded Reload
	v_fma_mix_f32 v0, v56, v2, v0 op_sel_hi:[1,1,0]
	v_fma_mix_f32 v0, v57, v2, v0 op_sel:[0,1,0] op_sel_hi:[1,1,0]
	v_fma_mix_f32 v0, v58, v3, v0 op_sel_hi:[1,1,0]
	v_fma_mix_f32 v0, v19, v3, v0 op_sel:[0,1,0] op_sel_hi:[1,1,0]
	v_fma_mixlo_f16 v0, v0, v30, 0 op_sel:[0,1,0] op_sel_hi:[0,1,0]
	s_waitcnt vmcnt(1)
	v_add_f16_e32 v0, v1, v0
	v_pack_b32_f16 v23, v6, v0
	ds_read_b128 v[0:3], v9 offset:816
	s_waitcnt lgkmcnt(0)
	v_fma_mix_f32 v6, v10, v0, 0 op_sel_hi:[1,1,0]
	v_fma_mix_f32 v6, v15, v0, v6 op_sel:[0,1,0] op_sel_hi:[1,1,0]
	v_fma_mix_f32 v6, v12, v1, v6 op_sel_hi:[1,1,0]
	v_fma_mix_f32 v6, v13, v1, v6 op_sel:[0,1,0] op_sel_hi:[1,1,0]
	v_fma_mix_f32 v6, v20, v2, v6 op_sel_hi:[1,1,0]
	v_fma_mix_f32 v6, v36, v2, v6 op_sel:[0,1,0] op_sel_hi:[1,1,0]
	v_fma_mix_f32 v6, v37, v3, v6 op_sel_hi:[1,1,0]
	v_fma_mix_f32 v6, v38, v3, v6 op_sel:[0,1,0] op_sel_hi:[1,1,0]
	v_fma_mixlo_f16 v6, v6, v29, 0 op_sel_hi:[0,1,0]
	s_waitcnt vmcnt(0)
	v_add_f16_e32 v6, v7, v6
	v_fma_mix_f32 v7, v21, v0, 0 op_sel_hi:[1,1,0]
	v_fma_mix_f32 v7, v39, v0, v7 op_sel:[0,1,0] op_sel_hi:[1,1,0]
	v_fma_mix_f32 v7, v40, v1, v7 op_sel_hi:[1,1,0]
	v_fma_mix_f32 v7, v41, v1, v7 op_sel:[0,1,0] op_sel_hi:[1,1,0]
	v_fma_mix_f32 v7, v42, v2, v7 op_sel_hi:[1,1,0]
	v_fma_mix_f32 v7, v43, v2, v7 op_sel:[0,1,0] op_sel_hi:[1,1,0]
	v_fma_mix_f32 v7, v44, v3, v7 op_sel_hi:[1,1,0]
	v_fma_mix_f32 v7, v46, v3, v7 op_sel:[0,1,0] op_sel_hi:[1,1,0]
	v_fma_mixlo_f16 v7, v7, v29, 0 op_sel:[0,1,0] op_sel_hi:[0,1,0]
	v_add_f16_e32 v7, v26, v7
	v_pack_b32_f16 v27, v6, v7
	buffer_load_dword v7, off, s[28:31], 0 offset:44 ; 4-byte Folded Reload
	v_fma_mix_f32 v6, v16, v0, 0 op_sel_hi:[1,1,0]
	v_fma_mix_f32 v6, v45, v0, v6 op_sel:[0,1,0] op_sel_hi:[1,1,0]
	v_fma_mix_f32 v6, v47, v1, v6 op_sel_hi:[1,1,0]
	v_fma_mix_f32 v6, v48, v1, v6 op_sel:[0,1,0] op_sel_hi:[1,1,0]
	v_fma_mix_f32 v6, v49, v2, v6 op_sel_hi:[1,1,0]
	v_fma_mix_f32 v6, v50, v2, v6 op_sel:[0,1,0] op_sel_hi:[1,1,0]
	v_fma_mix_f32 v6, v51, v3, v6 op_sel_hi:[1,1,0]
	v_fma_mix_f32 v6, v52, v3, v6 op_sel:[0,1,0] op_sel_hi:[1,1,0]
	v_fma_mixlo_f16 v6, v6, v30, 0 op_sel_hi:[0,1,0]
	s_waitcnt vmcnt(0)
	v_add_f16_e32 v6, v7, v6
	v_fma_mix_f32 v7, v18, v0, 0 op_sel_hi:[1,1,0]
	v_fma_mix_f32 v0, v53, v0, v7 op_sel:[0,1,0] op_sel_hi:[1,1,0]
	v_fma_mix_f32 v0, v54, v1, v0 op_sel_hi:[1,1,0]
	v_fma_mix_f32 v0, v55, v1, v0 op_sel:[0,1,0] op_sel_hi:[1,1,0]
	buffer_load_dword v1, off, s[28:31], 0 offset:48 ; 4-byte Folded Reload
	buffer_load_dword v7, off, s[28:31], 0 offset:36 ; 4-byte Folded Reload
	v_fma_mix_f32 v0, v56, v2, v0 op_sel_hi:[1,1,0]
	v_fma_mix_f32 v0, v57, v2, v0 op_sel:[0,1,0] op_sel_hi:[1,1,0]
	v_fma_mix_f32 v0, v58, v3, v0 op_sel_hi:[1,1,0]
	v_fma_mix_f32 v0, v19, v3, v0 op_sel:[0,1,0] op_sel_hi:[1,1,0]
	v_fma_mixlo_f16 v0, v0, v30, 0 op_sel:[0,1,0] op_sel_hi:[0,1,0]
	s_waitcnt vmcnt(1)
	v_add_f16_e32 v0, v1, v0
	v_pack_b32_f16 v26, v6, v0
	ds_read_b128 v[0:3], v9 offset:1072
	s_waitcnt lgkmcnt(0)
	v_fma_mix_f32 v6, v10, v0, 0 op_sel_hi:[1,1,0]
	v_fma_mix_f32 v6, v15, v0, v6 op_sel:[0,1,0] op_sel_hi:[1,1,0]
	v_fma_mix_f32 v6, v12, v1, v6 op_sel_hi:[1,1,0]
	v_fma_mix_f32 v6, v13, v1, v6 op_sel:[0,1,0] op_sel_hi:[1,1,0]
	v_fma_mix_f32 v6, v20, v2, v6 op_sel_hi:[1,1,0]
	v_fma_mix_f32 v6, v36, v2, v6 op_sel:[0,1,0] op_sel_hi:[1,1,0]
	v_fma_mix_f32 v6, v37, v3, v6 op_sel_hi:[1,1,0]
	v_fma_mix_f32 v6, v38, v3, v6 op_sel:[0,1,0] op_sel_hi:[1,1,0]
	v_fma_mixlo_f16 v6, v6, v29, 0 op_sel_hi:[0,1,0]
	s_waitcnt vmcnt(0)
	v_add_f16_e32 v6, v7, v6
	v_fma_mix_f32 v7, v21, v0, 0 op_sel_hi:[1,1,0]
	v_fma_mix_f32 v7, v39, v0, v7 op_sel:[0,1,0] op_sel_hi:[1,1,0]
	v_fma_mix_f32 v7, v40, v1, v7 op_sel_hi:[1,1,0]
	v_fma_mix_f32 v7, v41, v1, v7 op_sel:[0,1,0] op_sel_hi:[1,1,0]
	v_fma_mix_f32 v7, v42, v2, v7 op_sel_hi:[1,1,0]
	v_fma_mix_f32 v7, v43, v2, v7 op_sel:[0,1,0] op_sel_hi:[1,1,0]
	v_fma_mix_f32 v7, v44, v3, v7 op_sel_hi:[1,1,0]
	v_fma_mix_f32 v7, v46, v3, v7 op_sel:[0,1,0] op_sel_hi:[1,1,0]
	v_fma_mixlo_f16 v7, v7, v29, 0 op_sel:[0,1,0] op_sel_hi:[0,1,0]
	;; [unrolled: 50-line block ×3, first 2 shown]
	v_add_f16_e32 v7, v32, v7
	v_pack_b32_f16 v33, v6, v7
	buffer_load_dword v7, off, s[28:31], 0 offset:16 ; 4-byte Folded Reload
	v_fma_mix_f32 v6, v16, v0, 0 op_sel_hi:[1,1,0]
	v_fma_mix_f32 v6, v45, v0, v6 op_sel:[0,1,0] op_sel_hi:[1,1,0]
	v_fma_mix_f32 v6, v47, v1, v6 op_sel_hi:[1,1,0]
	v_fma_mix_f32 v6, v48, v1, v6 op_sel:[0,1,0] op_sel_hi:[1,1,0]
	;; [unrolled: 2-line block ×4, first 2 shown]
	v_fma_mixlo_f16 v6, v6, v30, 0 op_sel_hi:[0,1,0]
	s_waitcnt vmcnt(0)
	v_add_f16_e32 v6, v7, v6
	v_fma_mix_f32 v7, v18, v0, 0 op_sel_hi:[1,1,0]
	v_fma_mix_f32 v0, v53, v0, v7 op_sel:[0,1,0] op_sel_hi:[1,1,0]
	v_fma_mix_f32 v0, v54, v1, v0 op_sel_hi:[1,1,0]
	v_fma_mix_f32 v0, v55, v1, v0 op_sel:[0,1,0] op_sel_hi:[1,1,0]
	buffer_load_dword v1, off, s[28:31], 0 offset:20 ; 4-byte Folded Reload
	buffer_load_dword v7, off, s[28:31], 0 offset:12 ; 4-byte Folded Reload
	v_fma_mix_f32 v0, v56, v2, v0 op_sel_hi:[1,1,0]
	v_fma_mix_f32 v0, v57, v2, v0 op_sel:[0,1,0] op_sel_hi:[1,1,0]
	v_fma_mix_f32 v0, v58, v3, v0 op_sel_hi:[1,1,0]
	v_fma_mix_f32 v0, v19, v3, v0 op_sel:[0,1,0] op_sel_hi:[1,1,0]
	v_fma_mixlo_f16 v0, v0, v30, 0 op_sel:[0,1,0] op_sel_hi:[0,1,0]
	s_waitcnt vmcnt(1)
	v_add_f16_e32 v0, v1, v0
	v_pack_b32_f16 v32, v6, v0
	ds_read_b128 v[0:3], v9 offset:1584
	buffer_load_dword v9, off, s[28:31], 0 offset:8 ; 4-byte Folded Reload
	s_waitcnt lgkmcnt(0)
	v_fma_mix_f32 v6, v10, v0, 0 op_sel_hi:[1,1,0]
	v_fma_mix_f32 v6, v15, v0, v6 op_sel:[0,1,0] op_sel_hi:[1,1,0]
	v_fma_mix_f32 v6, v12, v1, v6 op_sel_hi:[1,1,0]
	v_fma_mix_f32 v6, v13, v1, v6 op_sel:[0,1,0] op_sel_hi:[1,1,0]
	;; [unrolled: 2-line block ×4, first 2 shown]
	v_fma_mixlo_f16 v6, v6, v29, 0 op_sel_hi:[0,1,0]
	s_waitcnt vmcnt(1)
	v_add_f16_e32 v6, v7, v6
	v_fma_mix_f32 v7, v21, v0, 0 op_sel_hi:[1,1,0]
	v_fma_mix_f32 v7, v39, v0, v7 op_sel:[0,1,0] op_sel_hi:[1,1,0]
	v_fma_mix_f32 v7, v40, v1, v7 op_sel_hi:[1,1,0]
	v_fma_mix_f32 v7, v41, v1, v7 op_sel:[0,1,0] op_sel_hi:[1,1,0]
	;; [unrolled: 2-line block ×4, first 2 shown]
	v_fma_mixlo_f16 v7, v7, v29, 0 op_sel:[0,1,0] op_sel_hi:[0,1,0]
	s_waitcnt vmcnt(0)
	v_add_f16_e32 v7, v9, v7
	v_pack_b32_f16 v9, v6, v7
	buffer_load_dword v7, off, s[28:31], 0 offset:4 ; 4-byte Folded Reload
	v_fma_mix_f32 v6, v16, v0, 0 op_sel_hi:[1,1,0]
	v_fma_mix_f32 v6, v45, v0, v6 op_sel:[0,1,0] op_sel_hi:[1,1,0]
	v_fma_mix_f32 v6, v47, v1, v6 op_sel_hi:[1,1,0]
	v_fma_mix_f32 v6, v48, v1, v6 op_sel:[0,1,0] op_sel_hi:[1,1,0]
	v_fma_mix_f32 v6, v49, v2, v6 op_sel_hi:[1,1,0]
	v_fma_mix_f32 v6, v50, v2, v6 op_sel:[0,1,0] op_sel_hi:[1,1,0]
	v_fma_mix_f32 v6, v51, v3, v6 op_sel_hi:[1,1,0]
	v_fma_mix_f32 v6, v52, v3, v6 op_sel:[0,1,0] op_sel_hi:[1,1,0]
	v_fma_mixlo_f16 v6, v6, v30, 0 op_sel_hi:[0,1,0]
	s_waitcnt vmcnt(0)
	v_add_f16_e32 v6, v7, v6
	v_fma_mix_f32 v7, v18, v0, 0 op_sel_hi:[1,1,0]
	v_fma_mix_f32 v0, v53, v0, v7 op_sel:[0,1,0] op_sel_hi:[1,1,0]
	v_fma_mix_f32 v0, v54, v1, v0 op_sel_hi:[1,1,0]
	v_fma_mix_f32 v0, v55, v1, v0 op_sel:[0,1,0] op_sel_hi:[1,1,0]
	;; [unrolled: 2-line block ×4, first 2 shown]
	v_fma_mixlo_f16 v0, v0, v30, 0 op_sel:[0,1,0] op_sel_hi:[0,1,0]
	v_add_f16_e32 v0, v24, v0
	v_pack_b32_f16 v6, v6, v0
	v_add_co_u32_e32 v0, vcc, s0, v4
	v_addc_co_u32_e32 v1, vcc, v5, v14, vcc
	s_cbranch_scc1 .LBB42_23
; %bb.22:                               ;   in Loop: Header=BB42_19 Depth=1
	buffer_store_dword v6, off, s[28:31], 0 offset:44 ; 4-byte Folded Spill
	buffer_load_dword v3, off, s[28:31], 0 offset:132 ; 4-byte Folded Reload
	buffer_load_dword v5, off, s[28:31], 0 offset:136 ; 4-byte Folded Reload
	s_nop 0
	buffer_load_dword v6, off, s[28:31], 0 offset:140 ; 4-byte Folded Reload
	buffer_load_dword v4, off, s[28:31], 0 offset:144 ; 4-byte Folded Reload
	s_branch .LBB42_19
.LBB42_23:
	buffer_load_dword v0, off, s[28:31], 0 offset:152 ; 4-byte Folded Reload
	buffer_load_dword v1, off, s[28:31], 0 offset:156 ; 4-byte Folded Reload
	s_mul_i32 s7, s7, s16
	v_mov_b32_e32 v3, s15
	s_mov_b64 s[0:1], 0
	s_waitcnt vmcnt(1)
	v_add_u32_e32 v0, s7, v0
	s_waitcnt vmcnt(0)
	v_ashrrev_i32_e32 v1, 31, v0
	v_lshlrev_b64 v[1:2], 1, v[0:1]
	v_add_co_u32_e32 v1, vcc, s14, v1
	v_addc_co_u32_e32 v2, vcc, v3, v2, vcc
	global_load_dword v4, v[1:2], off
.LBB42_24:                              ; =>This Inner Loop Header: Depth=1
	s_waitcnt vmcnt(0)
	v_pk_add_f16 v3, v8, v4
	global_atomic_cmpswap v3, v[1:2], v[3:4], off glc
	s_waitcnt vmcnt(0)
	v_cmp_eq_u32_e32 vcc, v4, v3
	s_or_b64 s[0:1], vcc, s[0:1]
	v_mov_b32_e32 v4, v3
	s_andn2_b64 exec, exec, s[0:1]
	s_cbranch_execnz .LBB42_24
; %bb.25:
	s_or_b64 exec, exec, s[0:1]
	global_load_dword v4, v[1:2], off offset:4
	s_mov_b64 s[0:1], 0
.LBB42_26:                              ; =>This Inner Loop Header: Depth=1
	s_waitcnt vmcnt(0)
	v_pk_add_f16 v3, v17, v4
	global_atomic_cmpswap v3, v[1:2], v[3:4], off offset:4 glc
	s_waitcnt vmcnt(0)
	v_cmp_eq_u32_e32 vcc, v4, v3
	s_or_b64 s[0:1], vcc, s[0:1]
	v_mov_b32_e32 v4, v3
	s_andn2_b64 exec, exec, s[0:1]
	s_cbranch_execnz .LBB42_26
; %bb.27:
	s_or_b64 exec, exec, s[0:1]
	v_add_u32_e32 v0, s16, v0
	v_ashrrev_i32_e32 v1, 31, v0
	v_lshlrev_b64 v[1:2], 1, v[0:1]
	v_mov_b32_e32 v3, s15
	v_add_co_u32_e32 v1, vcc, s14, v1
	v_addc_co_u32_e32 v2, vcc, v3, v2, vcc
	global_load_dword v4, v[1:2], off
	s_mov_b64 s[0:1], 0
.LBB42_28:                              ; =>This Inner Loop Header: Depth=1
	s_waitcnt vmcnt(0)
	v_pk_add_f16 v3, v22, v4
	global_atomic_cmpswap v3, v[1:2], v[3:4], off glc
	s_waitcnt vmcnt(0)
	v_cmp_eq_u32_e32 vcc, v4, v3
	s_or_b64 s[0:1], vcc, s[0:1]
	v_mov_b32_e32 v4, v3
	s_andn2_b64 exec, exec, s[0:1]
	s_cbranch_execnz .LBB42_28
; %bb.29:
	s_or_b64 exec, exec, s[0:1]
	global_load_dword v4, v[1:2], off offset:4
	s_mov_b64 s[0:1], 0
.LBB42_30:                              ; =>This Inner Loop Header: Depth=1
	s_waitcnt vmcnt(0)
	v_pk_add_f16 v3, v11, v4
	global_atomic_cmpswap v3, v[1:2], v[3:4], off offset:4 glc
	s_waitcnt vmcnt(0)
	v_cmp_eq_u32_e32 vcc, v4, v3
	s_or_b64 s[0:1], vcc, s[0:1]
	v_mov_b32_e32 v4, v3
	s_andn2_b64 exec, exec, s[0:1]
	s_cbranch_execnz .LBB42_30
; %bb.31:
	s_or_b64 exec, exec, s[0:1]
	v_add_u32_e32 v0, s16, v0
	v_ashrrev_i32_e32 v1, 31, v0
	v_lshlrev_b64 v[1:2], 1, v[0:1]
	v_mov_b32_e32 v3, s15
	v_add_co_u32_e32 v1, vcc, s14, v1
	v_addc_co_u32_e32 v2, vcc, v3, v2, vcc
	global_load_dword v4, v[1:2], off
	s_mov_b64 s[0:1], 0
	;; [unrolled: 34-line block ×6, first 2 shown]
.LBB42_48:                              ; =>This Inner Loop Header: Depth=1
	s_waitcnt vmcnt(0)
	v_pk_add_f16 v2, v9, v3
	global_atomic_cmpswap v2, v[0:1], v[2:3], off glc
	s_waitcnt vmcnt(0)
	v_cmp_eq_u32_e32 vcc, v3, v2
	s_or_b64 s[0:1], vcc, s[0:1]
	v_mov_b32_e32 v3, v2
	s_andn2_b64 exec, exec, s[0:1]
	s_cbranch_execnz .LBB42_48
; %bb.49:
	s_or_b64 exec, exec, s[0:1]
	global_load_dword v3, v[0:1], off offset:4
	s_mov_b64 s[0:1], 0
.LBB42_50:                              ; =>This Inner Loop Header: Depth=1
	s_waitcnt vmcnt(0)
	v_pk_add_f16 v2, v6, v3
	global_atomic_cmpswap v2, v[0:1], v[2:3], off offset:4 glc
	s_waitcnt vmcnt(0)
	v_cmp_eq_u32_e32 vcc, v3, v2
	s_or_b64 s[0:1], vcc, s[0:1]
	v_mov_b32_e32 v3, v2
	s_andn2_b64 exec, exec, s[0:1]
	s_cbranch_execnz .LBB42_50
.LBB42_51:
	s_endpgm
	.section	.rodata,"a",@progbits
	.p2align	6, 0x0
	.amdhsa_kernel _ZN4vllm4gptq33gemm_half_q_half_gptq_8bit_kernelILb1ELi7EEEvPK6__halfPKjS6_S4_PS2_iiiibPKi
		.amdhsa_group_segment_fixed_size 1792
		.amdhsa_private_segment_fixed_size 168
		.amdhsa_kernarg_size 72
		.amdhsa_user_sgpr_count 6
		.amdhsa_user_sgpr_private_segment_buffer 1
		.amdhsa_user_sgpr_dispatch_ptr 0
		.amdhsa_user_sgpr_queue_ptr 0
		.amdhsa_user_sgpr_kernarg_segment_ptr 1
		.amdhsa_user_sgpr_dispatch_id 0
		.amdhsa_user_sgpr_flat_scratch_init 0
		.amdhsa_user_sgpr_private_segment_size 0
		.amdhsa_uses_dynamic_stack 0
		.amdhsa_system_sgpr_private_segment_wavefront_offset 1
		.amdhsa_system_sgpr_workgroup_id_x 1
		.amdhsa_system_sgpr_workgroup_id_y 1
		.amdhsa_system_sgpr_workgroup_id_z 1
		.amdhsa_system_sgpr_workgroup_info 0
		.amdhsa_system_vgpr_workitem_id 0
		.amdhsa_next_free_vgpr 64
		.amdhsa_next_free_sgpr 61
		.amdhsa_reserve_vcc 1
		.amdhsa_reserve_flat_scratch 0
		.amdhsa_float_round_mode_32 0
		.amdhsa_float_round_mode_16_64 0
		.amdhsa_float_denorm_mode_32 3
		.amdhsa_float_denorm_mode_16_64 3
		.amdhsa_dx10_clamp 1
		.amdhsa_ieee_mode 1
		.amdhsa_fp16_overflow 0
		.amdhsa_exception_fp_ieee_invalid_op 0
		.amdhsa_exception_fp_denorm_src 0
		.amdhsa_exception_fp_ieee_div_zero 0
		.amdhsa_exception_fp_ieee_overflow 0
		.amdhsa_exception_fp_ieee_underflow 0
		.amdhsa_exception_fp_ieee_inexact 0
		.amdhsa_exception_int_div_zero 0
	.end_amdhsa_kernel
	.section	.text._ZN4vllm4gptq33gemm_half_q_half_gptq_8bit_kernelILb1ELi7EEEvPK6__halfPKjS6_S4_PS2_iiiibPKi,"axG",@progbits,_ZN4vllm4gptq33gemm_half_q_half_gptq_8bit_kernelILb1ELi7EEEvPK6__halfPKjS6_S4_PS2_iiiibPKi,comdat
.Lfunc_end42:
	.size	_ZN4vllm4gptq33gemm_half_q_half_gptq_8bit_kernelILb1ELi7EEEvPK6__halfPKjS6_S4_PS2_iiiibPKi, .Lfunc_end42-_ZN4vllm4gptq33gemm_half_q_half_gptq_8bit_kernelILb1ELi7EEEvPK6__halfPKjS6_S4_PS2_iiiibPKi
                                        ; -- End function
	.set _ZN4vllm4gptq33gemm_half_q_half_gptq_8bit_kernelILb1ELi7EEEvPK6__halfPKjS6_S4_PS2_iiiibPKi.num_vgpr, 64
	.set _ZN4vllm4gptq33gemm_half_q_half_gptq_8bit_kernelILb1ELi7EEEvPK6__halfPKjS6_S4_PS2_iiiibPKi.num_agpr, 0
	.set _ZN4vllm4gptq33gemm_half_q_half_gptq_8bit_kernelILb1ELi7EEEvPK6__halfPKjS6_S4_PS2_iiiibPKi.numbered_sgpr, 32
	.set _ZN4vllm4gptq33gemm_half_q_half_gptq_8bit_kernelILb1ELi7EEEvPK6__halfPKjS6_S4_PS2_iiiibPKi.num_named_barrier, 0
	.set _ZN4vllm4gptq33gemm_half_q_half_gptq_8bit_kernelILb1ELi7EEEvPK6__halfPKjS6_S4_PS2_iiiibPKi.private_seg_size, 168
	.set _ZN4vllm4gptq33gemm_half_q_half_gptq_8bit_kernelILb1ELi7EEEvPK6__halfPKjS6_S4_PS2_iiiibPKi.uses_vcc, 1
	.set _ZN4vllm4gptq33gemm_half_q_half_gptq_8bit_kernelILb1ELi7EEEvPK6__halfPKjS6_S4_PS2_iiiibPKi.uses_flat_scratch, 0
	.set _ZN4vllm4gptq33gemm_half_q_half_gptq_8bit_kernelILb1ELi7EEEvPK6__halfPKjS6_S4_PS2_iiiibPKi.has_dyn_sized_stack, 0
	.set _ZN4vllm4gptq33gemm_half_q_half_gptq_8bit_kernelILb1ELi7EEEvPK6__halfPKjS6_S4_PS2_iiiibPKi.has_recursion, 0
	.set _ZN4vllm4gptq33gemm_half_q_half_gptq_8bit_kernelILb1ELi7EEEvPK6__halfPKjS6_S4_PS2_iiiibPKi.has_indirect_call, 0
	.section	.AMDGPU.csdata,"",@progbits
; Kernel info:
; codeLenInByte = 15716
; TotalNumSgprs: 36
; NumVgprs: 64
; ScratchSize: 168
; MemoryBound: 0
; FloatMode: 240
; IeeeMode: 1
; LDSByteSize: 1792 bytes/workgroup (compile time only)
; SGPRBlocks: 8
; VGPRBlocks: 15
; NumSGPRsForWavesPerEU: 65
; NumVGPRsForWavesPerEU: 64
; Occupancy: 4
; WaveLimiterHint : 0
; COMPUTE_PGM_RSRC2:SCRATCH_EN: 1
; COMPUTE_PGM_RSRC2:USER_SGPR: 6
; COMPUTE_PGM_RSRC2:TRAP_HANDLER: 0
; COMPUTE_PGM_RSRC2:TGID_X_EN: 1
; COMPUTE_PGM_RSRC2:TGID_Y_EN: 1
; COMPUTE_PGM_RSRC2:TGID_Z_EN: 1
; COMPUTE_PGM_RSRC2:TIDIG_COMP_CNT: 0
	.section	.text._ZN4vllm4gptq33gemm_half_q_half_gptq_2bit_kernelILb1ELi8EEEvPK6__halfPKjS6_S4_PS2_iiiibPKi,"axG",@progbits,_ZN4vllm4gptq33gemm_half_q_half_gptq_2bit_kernelILb1ELi8EEEvPK6__halfPKjS6_S4_PS2_iiiibPKi,comdat
	.protected	_ZN4vllm4gptq33gemm_half_q_half_gptq_2bit_kernelILb1ELi8EEEvPK6__halfPKjS6_S4_PS2_iiiibPKi ; -- Begin function _ZN4vllm4gptq33gemm_half_q_half_gptq_2bit_kernelILb1ELi8EEEvPK6__halfPKjS6_S4_PS2_iiiibPKi
	.globl	_ZN4vllm4gptq33gemm_half_q_half_gptq_2bit_kernelILb1ELi8EEEvPK6__halfPKjS6_S4_PS2_iiiibPKi
	.p2align	8
	.type	_ZN4vllm4gptq33gemm_half_q_half_gptq_2bit_kernelILb1ELi8EEEvPK6__halfPKjS6_S4_PS2_iiiibPKi,@function
_ZN4vllm4gptq33gemm_half_q_half_gptq_2bit_kernelILb1ELi8EEEvPK6__halfPKjS6_S4_PS2_iiiibPKi: ; @_ZN4vllm4gptq33gemm_half_q_half_gptq_2bit_kernelILb1ELi8EEEvPK6__halfPKjS6_S4_PS2_iiiibPKi
; %bb.0:
	s_mov_b64 s[30:31], s[2:3]
	s_load_dwordx4 s[16:19], s[4:5], 0x2c
	s_mov_b64 s[28:29], s[0:1]
	s_add_u32 s28, s28, s9
	s_addc_u32 s29, s29, 0
	s_lshl_b32 s24, s8, 7
	s_add_i32 s0, s24, 0x80
	v_cvt_f64_u32_e32 v[1:2], s0
	s_waitcnt lgkmcnt(0)
	v_cvt_f64_i32_e32 v[3:4], s17
	s_load_dwordx8 s[8:15], s[4:5], 0x8
	s_lshl_b32 s7, s7, 3
	v_min_f64 v[1:2], v[1:2], v[3:4]
	v_cvt_i32_f64_e32 v2, v[1:2]
	v_add_u32_e32 v1, s24, v0
	v_readfirstlane_b32 s25, v2
	v_cmp_lt_u32_e32 vcc, v1, v2
	s_and_saveexec_b64 s[2:3], vcc
	s_cbranch_execz .LBB43_18
; %bb.1:
	s_load_dwordx2 s[0:1], s[4:5], 0x40
	s_load_dwordx2 s[20:21], s[4:5], 0x0
	v_mov_b32_e32 v2, 0
	v_lshlrev_b64 v[3:4], 2, v[1:2]
	s_waitcnt lgkmcnt(0)
	v_mov_b32_e32 v5, s1
	v_add_co_u32_e32 v3, vcc, s0, v3
	s_cmp_lg_u64 s[0:1], 0
	v_addc_co_u32_e32 v4, vcc, v5, v4, vcc
	v_mov_b32_e32 v6, v2
	s_cselect_b64 s[4:5], -1, 0
	s_cmp_eq_u64 s[0:1], 0
	v_mov_b32_e32 v5, v1
	s_cbranch_scc1 .LBB43_3
; %bb.2:
	global_load_dword v5, v[3:4], off
	s_waitcnt vmcnt(0)
	v_ashrrev_i32_e32 v6, 31, v5
.LBB43_3:
	s_mul_i32 s22, s7, s17
	s_ashr_i32 s23, s22, 31
	s_lshl_b64 s[0:1], s[22:23], 1
	s_add_u32 s0, s20, s0
	v_lshlrev_b64 v[5:6], 1, v[5:6]
	s_addc_u32 s1, s21, s1
	v_mov_b32_e32 v7, s1
	v_add_co_u32_e32 v5, vcc, s0, v5
	v_addc_co_u32_e32 v6, vcc, v7, v6, vcc
	global_load_ushort v5, v[5:6], off
	v_lshlrev_b32_e32 v7, 1, v0
	v_cndmask_b32_e64 v6, 0, 1, s[4:5]
	v_cmp_ne_u32_e64 s[0:1], 1, v6
	s_andn2_b64 vcc, exec, s[4:5]
	s_waitcnt vmcnt(0)
	ds_write_b16 v7, v5
	v_mov_b32_e32 v6, v2
	v_mov_b32_e32 v5, v1
	s_cbranch_vccnz .LBB43_5
; %bb.4:
	global_load_dword v5, v[3:4], off
	s_waitcnt vmcnt(0)
	v_ashrrev_i32_e32 v6, 31, v5
.LBB43_5:
	s_add_i32 s4, s22, s17
	s_ashr_i32 s5, s4, 31
	s_lshl_b64 s[22:23], s[4:5], 1
	s_add_u32 s5, s20, s22
	v_lshlrev_b64 v[5:6], 1, v[5:6]
	s_addc_u32 s22, s21, s23
	v_mov_b32_e32 v8, s22
	v_add_co_u32_e32 v5, vcc, s5, v5
	v_addc_co_u32_e32 v6, vcc, v8, v6, vcc
	global_load_ushort v5, v[5:6], off
	s_and_b64 vcc, exec, s[0:1]
	s_waitcnt vmcnt(0)
	ds_write_b16 v7, v5 offset:256
	v_mov_b32_e32 v6, v2
	v_mov_b32_e32 v5, v1
	s_cbranch_vccnz .LBB43_7
; %bb.6:
	global_load_dword v5, v[3:4], off
	s_waitcnt vmcnt(0)
	v_ashrrev_i32_e32 v6, 31, v5
.LBB43_7:
	s_add_i32 s4, s4, s17
	s_ashr_i32 s5, s4, 31
	s_lshl_b64 s[22:23], s[4:5], 1
	s_add_u32 s5, s20, s22
	v_lshlrev_b64 v[5:6], 1, v[5:6]
	s_addc_u32 s22, s21, s23
	v_mov_b32_e32 v8, s22
	v_add_co_u32_e32 v5, vcc, s5, v5
	v_addc_co_u32_e32 v6, vcc, v8, v6, vcc
	global_load_ushort v5, v[5:6], off
	s_and_b64 vcc, exec, s[0:1]
	s_waitcnt vmcnt(0)
	ds_write_b16 v7, v5 offset:512
	;; [unrolled: 21-line block ×6, first 2 shown]
	s_cbranch_vccnz .LBB43_17
; %bb.16:
	global_load_dword v1, v[3:4], off
	s_waitcnt vmcnt(0)
	v_ashrrev_i32_e32 v2, 31, v1
.LBB43_17:
	s_add_i32 s0, s4, s17
	s_ashr_i32 s1, s0, 31
	s_lshl_b64 s[0:1], s[0:1], 1
	s_add_u32 s0, s20, s0
	v_lshlrev_b64 v[1:2], 1, v[1:2]
	s_addc_u32 s1, s21, s1
	v_mov_b32_e32 v3, s1
	v_add_co_u32_e32 v1, vcc, s0, v1
	v_addc_co_u32_e32 v2, vcc, v3, v2, vcc
	global_load_ushort v1, v[1:2], off
	s_waitcnt vmcnt(0)
	ds_write_b16 v7, v1 offset:1792
.LBB43_18:
	s_or_b64 exec, exec, s[2:3]
	v_lshlrev_b32_e32 v1, 2, v0
	v_lshl_add_u32 v2, s6, 9, v1
	v_mov_b32_e32 v1, v2
	buffer_store_dword v1, off, s[28:31], 0 offset:140 ; 4-byte Folded Spill
	s_nop 0
	buffer_store_dword v2, off, s[28:31], 0 offset:144 ; 4-byte Folded Spill
	v_cmp_gt_i32_e32 vcc, s16, v2
	s_and_saveexec_b64 s[0:1], vcc
	s_cbranch_execz .LBB43_57
; %bb.19:
	s_abs_i32 s0, s18
	v_cvt_f32_u32_e32 v1, s0
	s_mov_b32 s2, 0
	v_mov_b32_e32 v29, 0
	v_mov_b32_e32 v27, 0
	v_rcp_iflag_f32_e32 v1, v1
	v_mov_b32_e32 v26, 0
	v_mov_b32_e32 v25, 0
	s_cmp_ge_i32 s24, s25
	v_mul_f32_e32 v1, 0x4f7ffffe, v1
	v_cvt_u32_f32_e32 v1, v1
	v_mov_b32_e32 v24, 0
	v_mov_b32_e32 v23, 0
	;; [unrolled: 1-line block ×3, first 2 shown]
	v_readfirstlane_b32 s1, v1
	v_mov_b32_e32 v12, 0
	v_mov_b32_e32 v19, 0
	;; [unrolled: 1-line block ×9, first 2 shown]
	s_waitcnt vmcnt(0) lgkmcnt(0)
	s_barrier
	s_cbranch_scc1 .LBB43_25
; %bb.20:
	buffer_load_dword v2, off, s[28:31], 0 offset:140 ; 4-byte Folded Reload
	buffer_load_dword v3, off, s[28:31], 0 offset:144 ; 4-byte Folded Reload
	s_sub_i32 s6, 0, s0
	s_mul_i32 s6, s6, s1
	s_mul_hi_u32 s6, s1, s6
	s_abs_i32 s5, s17
	s_add_i32 s1, s1, s6
	s_ashr_i32 s3, s17, 31
	s_ashr_i32 s4, s18, 31
	s_mul_hi_u32 s1, s5, s1
	s_xor_b32 s3, s3, s4
	s_mul_i32 s4, s1, s0
	s_sub_i32 s4, s5, s4
	s_add_i32 s5, s1, 1
	s_sub_i32 s6, s4, s0
	s_cmp_ge_u32 s4, s0
	s_cselect_b32 s1, s5, s1
	s_cselect_b32 s4, s6, s4
	s_add_i32 s5, s1, 1
	s_cmp_ge_u32 s4, s0
	s_cselect_b32 s0, s5, s1
	s_xor_b32 s0, s0, s3
	s_sub_i32 s3, s0, s3
	v_cvt_f32_u32_e32 v1, s3
	s_bitcmp1_b32 s19, 0
	s_cselect_b64 s[0:1], -1, 0
	s_sub_i32 s4, 0, s3
	v_rcp_iflag_f32_e32 v1, v1
	s_xor_b64 s[0:1], s[0:1], -1
	v_mov_b32_e32 v5, s11
	v_mov_b32_e32 v8, 0
	v_mul_f32_e32 v1, 0x4f7ffffe, v1
	v_cvt_u32_f32_e32 v1, v1
	s_movk_i32 s18, 0x2c00
	s_movk_i32 s19, 0x2400
	s_mov_b32 s20, 0x7060302
	v_readfirstlane_b32 s5, v1
	s_mul_i32 s4, s4, s5
	s_mul_hi_u32 s4, s5, s4
	s_add_i32 s5, s5, s4
	s_mul_hi_u32 s4, s24, s5
	s_mul_i32 s5, s4, s3
	s_sub_i32 s5, s24, s5
	s_add_i32 s6, s4, 1
	s_sub_i32 s17, s5, s3
	s_cmp_ge_u32 s5, s3
	s_cselect_b32 s4, s6, s4
	s_cselect_b32 s5, s17, s5
	s_add_i32 s6, s4, 1
	s_cmp_ge_u32 s5, s3
	s_cselect_b32 s4, s6, s4
	s_mul_i32 s5, s4, s16
	s_ashr_i32 s6, s5, 31
	s_lshr_b32 s6, s6, 28
	s_add_i32 s21, s3, s24
	s_ashr_i32 s17, s16, 31
	v_mov_b32_e32 v15, 0
	v_mov_b32_e32 v9, 0
	;; [unrolled: 1-line block ×15, first 2 shown]
	s_waitcnt vmcnt(1)
	v_mov_b32_e32 v13, v2
	v_ashrrev_i32_e32 v14, 31, v13
	v_lshrrev_b32_e32 v2, 28, v14
	v_add_u32_e32 v2, v13, v2
	v_add_u32_e32 v1, s5, v13
	s_add_i32 s5, s5, s6
	s_waitcnt vmcnt(0)
	v_ashrrev_i32_e32 v3, 4, v2
	s_ashr_i32 s5, s5, 4
	buffer_store_dword v3, off, s[28:31], 0 offset:148 ; 4-byte Folded Spill
	v_add_u32_e32 v3, s5, v3
	v_ashrrev_i32_e32 v4, 31, v3
	v_lshlrev_b64 v[3:4], 2, v[3:4]
	v_ashrrev_i32_e32 v2, 31, v1
	v_add_co_u32_e32 v3, vcc, s10, v3
	v_addc_co_u32_e32 v4, vcc, v5, v4, vcc
	v_lshlrev_b64 v[1:2], 1, v[1:2]
	global_load_dword v7, v[3:4], off
	v_mov_b32_e32 v3, s13
	v_add_co_u32_e32 v1, vcc, s12, v1
	v_addc_co_u32_e32 v2, vcc, v3, v2, vcc
	global_load_dwordx2 v[3:4], v[1:2], off
	v_cndmask_b32_e64 v5, 0, 1, s[0:1]
	s_lshr_b32 s0, s24, 4
	s_mul_i32 s0, s16, s0
	v_lshlrev_b32_e32 v2, 3, v0
	v_mov_b32_e32 v0, v13
	s_ashr_i32 s1, s0, 31
	buffer_store_dword v0, off, s[28:31], 0 offset:140 ; 4-byte Folded Spill
	s_nop 0
	buffer_store_dword v1, off, s[28:31], 0 offset:144 ; 4-byte Folded Spill
	s_lshl_b64 s[0:1], s[0:1], 2
	v_lshlrev_b64 v[0:1], 2, v[13:14]
	s_add_u32 s8, s8, s0
	s_addc_u32 s9, s9, s1
	buffer_store_dword v5, off, s[28:31], 0 offset:136 ; 4-byte Folded Spill
	v_mov_b32_e32 v5, s9
	v_add_co_u32_e32 v0, vcc, s8, v0
	v_addc_co_u32_e32 v1, vcc, v5, v1, vcc
	v_and_b32_e32 v16, 24, v2
	v_add_co_u32_e32 v5, vcc, 8, v0
	v_addc_co_u32_e32 v6, vcc, 0, v1, vcc
	s_mov_b32 s5, 0x10001
	s_movk_i32 s6, 0x3400
	s_lshl_b64 s[0:1], s[16:17], 2
	buffer_store_dword v16, off, s[28:31], 0 offset:152 ; 4-byte Folded Spill
	s_waitcnt vmcnt(5)
	v_lshrrev_b32_e32 v0, v2, v7
	v_bfe_u32 v1, v7, v16, 2
	buffer_store_dword v1, off, s[28:31], 0 offset:120 ; 4-byte Folded Spill
	v_bfe_u32 v1, v0, 6, 2
	buffer_store_dword v1, off, s[28:31], 0 offset:124 ; 4-byte Folded Spill
	v_bfe_u32 v1, v0, 4, 2
	v_bfe_u32 v0, v0, 2, 2
	buffer_store_dword v1, off, s[28:31], 0 offset:128 ; 4-byte Folded Spill
	buffer_store_dword v0, off, s[28:31], 0 offset:132 ; 4-byte Folded Spill
	s_branch .LBB43_23
.LBB43_21:                              ;   in Loop: Header=BB43_23 Depth=1
	buffer_load_dword v0, off, s[28:31], 0 offset:148 ; 4-byte Folded Reload
	s_add_i32 s4, s4, 1
	s_mul_i32 s8, s4, s16
	s_ashr_i32 s9, s8, 31
	s_lshr_b32 s9, s9, 28
	s_add_i32 s9, s8, s9
	s_ashr_i32 s9, s9, 4
	v_mov_b32_e32 v2, s11
	s_waitcnt vmcnt(18)
	v_mov_b32_e32 v3, s13
	s_add_i32 s21, s21, s3
	s_waitcnt vmcnt(0)
	v_add_u32_e32 v0, s9, v0
	v_ashrrev_i32_e32 v1, 31, v0
	v_lshlrev_b64 v[0:1], 2, v[0:1]
	v_add_co_u32_e32 v0, vcc, s10, v0
	v_addc_co_u32_e32 v1, vcc, v2, v1, vcc
	global_load_dword v2, v[0:1], off
	s_nop 0
	buffer_load_dword v0, off, s[28:31], 0 offset:140 ; 4-byte Folded Reload
	buffer_load_dword v1, off, s[28:31], 0 offset:144 ; 4-byte Folded Reload
	s_waitcnt vmcnt(1)
	v_add_u32_e32 v0, s8, v0
	s_waitcnt vmcnt(0)
	v_ashrrev_i32_e32 v1, 31, v0
	v_lshlrev_b64 v[0:1], 1, v[0:1]
	v_add_co_u32_e32 v0, vcc, s12, v0
	v_addc_co_u32_e32 v1, vcc, v3, v1, vcc
	global_load_dwordx2 v[3:4], v[0:1], off
	s_nop 0
	buffer_load_dword v1, off, s[28:31], 0 offset:152 ; 4-byte Folded Reload
	s_waitcnt vmcnt(0)
	v_lshrrev_b32_e32 v0, v1, v2
	v_bfe_u32 v1, v2, v1, 2
	v_bfe_u32 v9, v0, 2, 2
	;; [unrolled: 1-line block ×4, first 2 shown]
.LBB43_22:                              ;   in Loop: Header=BB43_23 Depth=1
	buffer_load_dword v7, off, s[28:31], 0 offset:136 ; 4-byte Folded Reload
	global_load_dwordx4 v[11:14], v[5:6], off offset:-8
	v_mov_b32_e32 v33, 0xe400e400
	s_waitcnt vmcnt(5)
	buffer_store_dword v1, off, s[28:31], 0 offset:120 ; 4-byte Folded Spill
	s_waitcnt vmcnt(3)
	buffer_store_dword v9, off, s[28:31], 0 offset:132 ; 4-byte Folded Spill
	buffer_store_dword v2, off, s[28:31], 0 offset:128 ; 4-byte Folded Spill
	;; [unrolled: 1-line block ×3, first 2 shown]
	v_mov_b32_e32 v49, s2
	s_add_i32 s8, s2, 0x400
	s_add_i32 s24, s24, 16
	v_add_co_u32_e32 v5, vcc, s0, v5
	ds_read2_b32 v[50:51], v49 offset0:128 offset1:129
	s_waitcnt vmcnt(5)
	v_add_u32_e32 v0, v1, v7
	v_add_u32_e32 v1, v9, v7
	;; [unrolled: 1-line block ×4, first 2 shown]
	s_waitcnt vmcnt(4)
	v_and_b32_e32 v20, 0x30003, v11
	v_and_b32_e32 v21, 0xc000c, v11
	v_and_b32_e32 v7, 0x300030, v11
	v_and_b32_e32 v8, 0xc000c0, v11
	v_lshrrev_b32_e32 v44, 8, v11
	v_and_b32_e32 v31, 0x30003, v13
	v_and_b32_e32 v34, 0xc000c, v13
	v_and_b32_e32 v17, 0x300030, v13
	v_and_b32_e32 v18, 0xc000c0, v13
	v_lshrrev_b32_e32 v11, 8, v13
	;; [unrolled: 5-line block ×3, first 2 shown]
	v_cvt_f32_u32_e32 v14, v0
	v_mad_u32_u24 v58, v0, s5, v33
	v_cvt_f32_u32_e32 v0, v1
	v_mad_u32_u24 v55, v1, s5, v33
	;; [unrolled: 2-line block ×3, first 2 shown]
	v_cvt_f32_u32_e32 v2, v9
	v_cvt_f16_f32_e32 v36, v14
	v_mad_u32_u24 v48, v9, s5, v33
	v_cvt_f16_f32_e32 v33, v0
	v_cvt_f16_f32_e32 v9, v1
	;; [unrolled: 1-line block ×3, first 2 shown]
	v_sub_f16_e32 v1, 0xdc00, v36
	v_mul_u32_u24_e32 v61, 0x10001, v1
	v_sub_f16_e32 v1, 0xdc00, v33
	v_mul_u32_u24_e32 v60, 0x10001, v1
	;; [unrolled: 2-line block ×4, first 2 shown]
	v_or_b32_e32 v1, 0x64006400, v20
	v_or_b32_e32 v2, 0x64006400, v21
	v_and_b32_e32 v28, 0x30003, v12
	v_and_b32_e32 v30, 0xc000c, v12
	v_pk_add_f16 v20, v58, v1
	v_pk_fma_f16 v21, v2, s6, v61 op_sel_hi:[1,0,1]
	ds_read2_b32 v[1:2], v49 offset1:1
	v_or_b32_e32 v14, 0x64006400, v28
	v_or_b32_e32 v28, 0x64006400, v30
	;; [unrolled: 1-line block ×4, first 2 shown]
	v_pk_add_f16 v40, v22, v30
	v_pk_fma_f16 v42, v31, s6, v59 op_sel_hi:[1,0,1]
	ds_read2_b32 v[30:31], v49 offset0:64 offset1:65
	v_or_b32_e32 v13, 0x64006400, v13
	v_pk_add_f16 v37, v55, v14
	v_or_b32_e32 v34, 0x64006400, v35
	v_pk_fma_f16 v39, v28, s6, v60 op_sel_hi:[1,0,1]
	v_pk_add_f16 v43, v48, v13
	s_waitcnt lgkmcnt(1)
	v_pk_fma_f16 v14, v37, v1, 0
	v_pk_fma_f16 v45, v34, s6, v57 op_sel_hi:[1,0,1]
	v_pk_fma_f16 v13, v20, v1, 0
	v_pk_fma_f16 v46, v39, v2, v14
	;; [unrolled: 1-line block ×7, first 2 shown]
	s_waitcnt lgkmcnt(0)
	v_pk_fma_f16 v2, v20, v30, 0
	v_pk_fma_f16 v38, v21, v31, v2
	;; [unrolled: 1-line block ×16, first 2 shown]
	ds_read2_b32 v[50:51], v49 offset0:192 offset1:193
	v_and_b32_e32 v15, 0x300030, v12
	v_and_b32_e32 v16, 0xc000c0, v12
	v_or_b32_e32 v7, 0x64006400, v7
	v_lshrrev_b32_e32 v12, 8, v12
	s_waitcnt lgkmcnt(0)
	v_pk_fma_f16 v31, v20, v50, 0
	v_pk_fma_f16 v31, v21, v51, v31
	buffer_store_dword v31, off, s[28:31], 0 offset:108 ; 4-byte Folded Spill
	v_pk_fma_f16 v31, v37, v50, 0
	v_pk_fma_f16 v52, v40, v50, 0
	;; [unrolled: 1-line block ×4, first 2 shown]
	buffer_store_dword v50, off, s[28:31], 0 offset:116 ; 4-byte Folded Spill
	v_mov_b32_e32 v50, s8
	v_pk_fma_f16 v31, v39, v51, v31
	v_pk_fma_f16 v52, v42, v51, v52
	ds_read2_b32 v[50:51], v50 offset1:1
	buffer_store_dword v52, off, s[28:31], 0 offset:112 ; 4-byte Folded Spill
	s_add_i32 s8, s2, 0x500
	s_waitcnt lgkmcnt(0)
	v_pk_fma_f16 v52, v20, v50, 0
	v_pk_fma_f16 v52, v21, v51, v52
	buffer_store_dword v52, off, s[28:31], 0 offset:84 ; 4-byte Folded Spill
	v_pk_fma_f16 v52, v37, v50, 0
	v_pk_fma_f16 v52, v39, v51, v52
	buffer_store_dword v52, off, s[28:31], 0 offset:88 ; 4-byte Folded Spill
	v_pk_fma_f16 v52, v40, v50, 0
	v_pk_fma_f16 v50, v43, v50, 0
	v_pk_fma_f16 v50, v45, v51, v50
	buffer_store_dword v50, off, s[28:31], 0 offset:96 ; 4-byte Folded Spill
	v_mov_b32_e32 v50, s8
	v_pk_fma_f16 v52, v42, v51, v52
	ds_read2_b32 v[50:51], v50 offset1:1
	buffer_store_dword v52, off, s[28:31], 0 offset:92 ; 4-byte Folded Spill
	s_add_i32 s8, s2, 0x600
	s_waitcnt lgkmcnt(0)
	v_pk_fma_f16 v52, v20, v50, 0
	v_pk_fma_f16 v52, v21, v51, v52
	buffer_store_dword v52, off, s[28:31], 0 offset:68 ; 4-byte Folded Spill
	v_pk_fma_f16 v52, v37, v50, 0
	v_pk_fma_f16 v52, v39, v51, v52
	buffer_store_dword v52, off, s[28:31], 0 offset:72 ; 4-byte Folded Spill
	v_pk_fma_f16 v52, v40, v50, 0
	v_pk_fma_f16 v50, v43, v50, 0
	v_pk_fma_f16 v50, v45, v51, v50
	buffer_store_dword v50, off, s[28:31], 0 offset:80 ; 4-byte Folded Spill
	v_mov_b32_e32 v50, s8
	;; [unrolled: 16-line block ×3, first 2 shown]
	v_pk_fma_f16 v52, v42, v51, v52
	ds_read2_b32 v[50:51], v50 offset1:1
	buffer_store_dword v52, off, s[28:31], 0 offset:60 ; 4-byte Folded Spill
	s_add_i32 s8, s2, 0x408
	s_waitcnt lgkmcnt(0)
	v_pk_fma_f16 v20, v20, v50, 0
	v_pk_fma_f16 v20, v21, v51, v20
	buffer_store_dword v20, off, s[28:31], 0 offset:48 ; 4-byte Folded Spill
	v_pk_fma_f16 v20, v37, v50, 0
	v_pk_fma_f16 v20, v39, v51, v20
	buffer_store_dword v20, off, s[28:31], 0 offset:44 ; 4-byte Folded Spill
	;; [unrolled: 3-line block ×4, first 2 shown]
	v_sub_f16_e32 v20, 0xd400, v36
	v_mul_u32_u24_e32 v63, 0x10001, v20
	v_sub_f16_e32 v20, 0xd400, v33
	v_sub_f16_e32 v21, 0xcc00, v36
	v_mul_u32_u24_e32 v62, 0x10001, v20
	v_sub_f16_e32 v20, 0xd400, v9
	v_sub_f16_e32 v9, 0xcc00, v9
	v_mul_u32_u24_e32 v54, 0x10001, v21
	v_sub_f16_e32 v21, 0xcc00, v33
	v_mul_u32_u24_e32 v51, 0x10001, v9
	v_sub_f16_e32 v9, 0xd400, v0
	v_mul_u32_u24_e32 v52, 0x10001, v21
	v_mul_u32_u24_e32 v50, 0x10001, v9
	v_or_b32_e32 v9, 0x64006400, v8
	v_pk_fma_f16 v8, v7, s18, v63 op_sel_hi:[1,0,1]
	v_or_b32_e32 v7, 0x64006400, v15
	v_or_b32_e32 v15, 0x64006400, v16
	v_sub_f16_e32 v0, 0xcc00, v0
	v_pk_fma_f16 v43, v15, s19, v52 op_sel_hi:[1,0,1]
	v_or_b32_e32 v15, 0x64006400, v18
	v_mul_u32_u24_e32 v0, 0x10001, v0
	v_pk_fma_f16 v40, v15, s19, v51 op_sel_hi:[1,0,1]
	v_or_b32_e32 v15, 0x64006400, v32
	v_pk_fma_f16 v37, v15, s19, v0 op_sel_hi:[1,0,1]
	ds_read2_b32 v[15:16], v49 offset0:2 offset1:3
	v_mul_u32_u24_e32 v53, 0x10001, v20
	v_pk_fma_f16 v42, v7, s18, v62 op_sel_hi:[1,0,1]
	v_or_b32_e32 v7, 0x64006400, v17
	v_pk_fma_f16 v39, v7, s18, v53 op_sel_hi:[1,0,1]
	v_or_b32_e32 v7, 0x64006400, v19
	v_pk_fma_f16 v9, v9, s19, v54 op_sel_hi:[1,0,1]
	v_pk_fma_f16 v36, v7, s18, v50 op_sel_hi:[1,0,1]
	ds_read2_b32 v[17:18], v49 offset0:4 offset1:5
	s_waitcnt lgkmcnt(1)
	v_pk_fma_f16 v7, v8, v15, v13
	v_pk_fma_f16 v19, v9, v16, v7
	v_pk_fma_f16 v7, v42, v15, v46
	v_and_b32_e32 v13, 0xc000c, v44
	v_pk_fma_f16 v20, v43, v16, v7
	v_pk_fma_f16 v7, v39, v15, v47
	;; [unrolled: 1-line block ×3, first 2 shown]
	v_or_b32_e32 v13, 0x64006400, v13
	v_pk_fma_f16 v21, v40, v16, v7
	v_pk_fma_f16 v1, v37, v16, v1
	v_pk_fma_f16 v16, v13, s6, v61 op_sel_hi:[1,0,1]
	v_and_b32_e32 v13, 0x30003, v12
	v_or_b32_e32 v13, 0x64006400, v13
	v_and_b32_e32 v7, 0x30003, v44
	v_pk_add_f16 v46, v55, v13
	v_and_b32_e32 v13, 0xc000c, v12
	v_and_b32_e32 v15, 0x30003, v10
	v_or_b32_e32 v7, 0x64006400, v7
	v_or_b32_e32 v13, 0x64006400, v13
	;; [unrolled: 1-line block ×3, first 2 shown]
	v_pk_add_f16 v7, v58, v7
	v_pk_fma_f16 v47, v13, s6, v60 op_sel_hi:[1,0,1]
	v_and_b32_e32 v13, 0x30003, v11
	v_pk_add_f16 v58, v48, v15
	v_and_b32_e32 v15, 0xc000c, v10
	v_or_b32_e32 v13, 0x64006400, v13
	v_or_b32_e32 v15, 0x64006400, v15
	v_pk_add_f16 v61, v22, v13
	v_pk_fma_f16 v57, v15, s6, v57 op_sel_hi:[1,0,1]
	s_waitcnt lgkmcnt(0)
	v_pk_fma_f16 v1, v58, v17, v1
	v_pk_fma_f16 v15, v7, v17, v19
	v_pk_fma_f16 v19, v46, v17, v20
	v_pk_fma_f16 v20, v61, v17, v21
	v_pk_fma_f16 v17, v57, v18, v1
	v_and_b32_e32 v1, 0x300030, v44
	v_or_b32_e32 v1, 0x64006400, v1
	v_pk_fma_f16 v63, v1, s18, v63 op_sel_hi:[1,0,1]
	v_and_b32_e32 v1, 0xc000c0, v44
	v_or_b32_e32 v1, 0x64006400, v1
	v_pk_fma_f16 v32, v1, s19, v54 op_sel_hi:[1,0,1]
	;; [unrolled: 3-line block ×8, first 2 shown]
	ds_read2_b32 v[0:1], v49 offset0:6 offset1:7
	v_and_b32_e32 v13, 0xc000c, v11
	v_or_b32_e32 v13, 0x64006400, v13
	v_pk_fma_f16 v15, v16, v18, v15
	v_pk_fma_f16 v13, v13, s6, v59 op_sel_hi:[1,0,1]
	v_pk_fma_f16 v19, v47, v18, v19
	s_waitcnt lgkmcnt(0)
	v_pk_fma_f16 v10, v63, v0, v15
	v_pk_fma_f16 v20, v13, v18, v20
	;; [unrolled: 1-line block ×9, first 2 shown]
	buffer_store_dword v0, off, s[28:31], 0 offset:104 ; 4-byte Folded Spill
	ds_read2_b32 v[0:1], v49 offset0:66 offset1:67
	buffer_store_dword v10, off, s[28:31], 0 offset:100 ; 4-byte Folded Spill
	buffer_load_dword v17, off, s[28:31], 0 offset:112 ; 4-byte Folded Reload
	buffer_load_dword v18, off, s[28:31], 0 offset:116 ; 4-byte Folded Reload
	;; [unrolled: 1-line block ×3, first 2 shown]
	s_waitcnt lgkmcnt(0)
	v_pk_fma_f16 v10, v8, v0, v38
	v_pk_fma_f16 v11, v42, v0, v41
	;; [unrolled: 1-line block ×8, first 2 shown]
	ds_read2_b32 v[0:1], v49 offset0:68 offset1:69
	buffer_load_dword v38, off, s[28:31], 0 offset:60 ; 4-byte Folded Reload
	buffer_load_dword v41, off, s[28:31], 0 offset:64 ; 4-byte Folded Reload
	s_waitcnt lgkmcnt(0)
	v_pk_fma_f16 v10, v7, v0, v10
	v_pk_fma_f16 v11, v46, v0, v11
	v_pk_fma_f16 v2, v61, v0, v2
	v_pk_fma_f16 v0, v58, v0, v12
	v_pk_fma_f16 v10, v16, v1, v10
	v_pk_fma_f16 v11, v47, v1, v11
	v_pk_fma_f16 v2, v13, v1, v2
	v_pk_fma_f16 v12, v57, v1, v0
	ds_read2_b32 v[0:1], v49 offset0:70 offset1:71
	s_waitcnt lgkmcnt(0)
	v_pk_fma_f16 v10, v63, v0, v10
	v_pk_fma_f16 v33, v32, v1, v10
	v_pk_fma_f16 v10, v54, v0, v11
	v_pk_fma_f16 v2, v48, v0, v2
	v_pk_fma_f16 v0, v44, v0, v12
	v_pk_fma_f16 v45, v52, v1, v10
	v_pk_fma_f16 v59, v51, v1, v2
	v_pk_fma_f16 v60, v50, v1, v0
	ds_read2_b32 v[0:1], v49 offset0:130 offset1:131
	;; [unrolled: 10-line block ×4, first 2 shown]
	s_waitcnt lgkmcnt(0)
	v_pk_fma_f16 v0, v63, v1, v14
	v_pk_fma_f16 v14, v32, v2, v0
	;; [unrolled: 1-line block ×8, first 2 shown]
	buffer_load_dword v1, off, s[28:31], 0 offset:108 ; 4-byte Folded Reload
	ds_read2_b32 v[10:11], v49 offset0:194 offset1:195
	s_waitcnt lgkmcnt(0)
	v_pk_fma_f16 v12, v42, v10, v31
	s_waitcnt vmcnt(5)
	v_pk_fma_f16 v17, v39, v10, v17
	v_pk_fma_f16 v12, v43, v11, v12
	;; [unrolled: 1-line block ×3, first 2 shown]
	s_waitcnt vmcnt(0)
	v_pk_fma_f16 v1, v8, v10, v1
	v_pk_fma_f16 v10, v36, v10, v18
	;; [unrolled: 1-line block ×4, first 2 shown]
	ds_read2_b32 v[10:11], v49 offset0:196 offset1:197
	s_waitcnt lgkmcnt(0)
	v_pk_fma_f16 v1, v7, v10, v1
	v_pk_fma_f16 v12, v46, v10, v12
	;; [unrolled: 1-line block ×8, first 2 shown]
	ds_read2_b32 v[10:11], v49 offset0:198 offset1:199
	s_waitcnt lgkmcnt(0)
	v_pk_fma_f16 v1, v63, v10, v1
	v_pk_fma_f16 v49, v32, v11, v1
	;; [unrolled: 1-line block ×6, first 2 shown]
	buffer_load_dword v12, off, s[28:31], 0 offset:84 ; 4-byte Folded Reload
	buffer_load_dword v18, off, s[28:31], 0 offset:88 ; 4-byte Folded Reload
	;; [unrolled: 1-line block ×3, first 2 shown]
	v_pk_fma_f16 v30, v50, v11, v10
	v_mov_b32_e32 v10, s8
	v_pk_fma_f16 v1, v51, v11, v1
	ds_read2_b32 v[10:11], v10 offset1:1
	s_add_i32 s8, s2, 0x410
	s_waitcnt vmcnt(2) lgkmcnt(0)
	v_pk_fma_f16 v12, v8, v10, v12
	s_waitcnt vmcnt(1)
	v_pk_fma_f16 v18, v42, v10, v18
	s_waitcnt vmcnt(0)
	v_pk_fma_f16 v19, v39, v10, v19
	v_pk_fma_f16 v10, v36, v10, v20
	;; [unrolled: 1-line block ×3, first 2 shown]
	v_mov_b32_e32 v10, s8
	v_pk_fma_f16 v12, v9, v11, v12
	v_pk_fma_f16 v18, v43, v11, v18
	;; [unrolled: 1-line block ×3, first 2 shown]
	ds_read2_b32 v[10:11], v10 offset1:1
	s_add_i32 s8, s2, 0x418
	s_waitcnt lgkmcnt(0)
	v_pk_fma_f16 v18, v46, v10, v18
	v_pk_fma_f16 v12, v7, v10, v12
	;; [unrolled: 1-line block ×6, first 2 shown]
	v_mov_b32_e32 v10, s8
	v_pk_fma_f16 v12, v16, v11, v12
	v_pk_fma_f16 v22, v13, v11, v18
	ds_read2_b32 v[10:11], v10 offset1:1
	s_add_i32 s8, s2, 0x508
	s_waitcnt lgkmcnt(0)
	v_pk_fma_f16 v12, v63, v10, v12
	v_pk_fma_f16 v18, v32, v11, v12
	;; [unrolled: 1-line block ×7, first 2 shown]
	buffer_load_dword v12, off, s[28:31], 0 offset:68 ; 4-byte Folded Reload
	buffer_load_dword v20, off, s[28:31], 0 offset:72 ; 4-byte Folded Reload
	;; [unrolled: 1-line block ×4, first 2 shown]
	v_pk_fma_f16 v31, v50, v11, v10
	v_mov_b32_e32 v10, s8
	ds_read2_b32 v[10:11], v10 offset1:1
	s_add_i32 s8, s2, 0x510
	s_waitcnt vmcnt(3) lgkmcnt(0)
	v_pk_fma_f16 v12, v8, v10, v12
	s_waitcnt vmcnt(2)
	v_pk_fma_f16 v20, v42, v10, v20
	s_waitcnt vmcnt(1)
	;; [unrolled: 2-line block ×3, first 2 shown]
	v_pk_fma_f16 v10, v36, v10, v22
	v_pk_fma_f16 v22, v37, v11, v10
	v_mov_b32_e32 v10, s8
	v_pk_fma_f16 v12, v9, v11, v12
	v_pk_fma_f16 v20, v43, v11, v20
	;; [unrolled: 1-line block ×3, first 2 shown]
	ds_read2_b32 v[10:11], v10 offset1:1
	s_add_i32 s8, s2, 0x518
	s_waitcnt lgkmcnt(0)
	v_pk_fma_f16 v20, v46, v10, v20
	v_pk_fma_f16 v12, v7, v10, v12
	;; [unrolled: 1-line block ×6, first 2 shown]
	v_mov_b32_e32 v10, s8
	v_pk_fma_f16 v12, v16, v11, v12
	v_pk_fma_f16 v35, v13, v11, v20
	ds_read2_b32 v[10:11], v10 offset1:1
	s_add_i32 s8, s2, 0x608
	s_waitcnt lgkmcnt(0)
	v_pk_fma_f16 v12, v63, v10, v12
	v_pk_fma_f16 v20, v32, v11, v12
	;; [unrolled: 1-line block ×7, first 2 shown]
	buffer_load_dword v12, off, s[28:31], 0 offset:52 ; 4-byte Folded Reload
	buffer_load_dword v22, off, s[28:31], 0 offset:56 ; 4-byte Folded Reload
	v_pk_fma_f16 v35, v50, v11, v10
	v_mov_b32_e32 v10, s8
	ds_read2_b32 v[10:11], v10 offset1:1
	s_add_i32 s8, s2, 0x610
	s_waitcnt lgkmcnt(0)
	v_pk_fma_f16 v38, v39, v10, v38
	v_pk_fma_f16 v38, v40, v11, v38
	s_waitcnt vmcnt(1)
	v_pk_fma_f16 v12, v8, v10, v12
	s_waitcnt vmcnt(0)
	v_pk_fma_f16 v22, v42, v10, v22
	v_pk_fma_f16 v10, v36, v10, v41
	;; [unrolled: 1-line block ×3, first 2 shown]
	v_mov_b32_e32 v10, s8
	v_pk_fma_f16 v12, v9, v11, v12
	v_pk_fma_f16 v22, v43, v11, v22
	ds_read2_b32 v[10:11], v10 offset1:1
	s_add_i32 s8, s2, 0x618
	s_waitcnt lgkmcnt(0)
	v_pk_fma_f16 v22, v46, v10, v22
	v_pk_fma_f16 v12, v7, v10, v12
	;; [unrolled: 1-line block ×6, first 2 shown]
	v_mov_b32_e32 v10, s8
	v_pk_fma_f16 v12, v16, v11, v12
	v_pk_fma_f16 v38, v13, v11, v22
	ds_read2_b32 v[10:11], v10 offset1:1
	s_add_i32 s8, s2, 0x708
	s_waitcnt lgkmcnt(0)
	v_pk_fma_f16 v12, v63, v10, v12
	v_pk_fma_f16 v22, v32, v11, v12
	;; [unrolled: 1-line block ×7, first 2 shown]
	v_mov_b32_e32 v10, s8
	v_pk_fma_f16 v38, v51, v11, v12
	ds_read2_b32 v[11:12], v10 offset1:1
	buffer_load_dword v10, off, s[28:31], 0 offset:48 ; 4-byte Folded Reload
	s_add_i32 s8, s2, 0x710
	s_waitcnt vmcnt(0) lgkmcnt(0)
	v_pk_fma_f16 v8, v8, v11, v10
	v_pk_fma_f16 v8, v9, v12, v8
	v_mov_b32_e32 v9, s8
	ds_read2_b32 v[9:10], v9 offset1:1
	s_add_i32 s8, s2, 0x718
	s_add_i32 s2, s2, 32
	s_cmp_ge_i32 s24, s25
	s_waitcnt lgkmcnt(0)
	v_pk_fma_f16 v7, v7, v9, v8
	v_pk_fma_f16 v16, v16, v10, v7
	v_mov_b32_e32 v7, s8
	ds_read2_b32 v[7:8], v7 offset1:1
	s_waitcnt lgkmcnt(0)
	v_pk_fma_f16 v16, v63, v7, v16
	v_pk_fma_f16 v16, v32, v8, v16
	buffer_load_dword v32, off, s[28:31], 0 offset:44 ; 4-byte Folded Reload
	s_waitcnt vmcnt(0)
	v_pk_fma_f16 v32, v42, v11, v32
	v_pk_fma_f16 v32, v43, v12, v32
	v_pack_b32_f16 v42, v53, v62
	v_perm_b32 v43, v62, v53, s20
	v_pk_add_f16 v42, v42, v43
	v_pk_fma_f16 v29, v42, v3, v29
	v_pack_b32_f16 v42, v33, v45
	v_perm_b32 v33, v45, v33, s20
	v_pk_add_f16 v33, v42, v33
	;; [unrolled: 4-line block ×4, first 2 shown]
	v_pk_fma_f16 v56, v14, v3, v56
	v_pack_b32_f16 v14, v18, v19
	v_perm_b32 v15, v19, v18, s20
	buffer_load_dword v19, off, s[28:31], 0 offset:28 ; 4-byte Folded Reload
	buffer_load_dword v18, off, s[28:31], 0 offset:20 ; 4-byte Folded Reload
	buffer_load_dword v17, off, s[28:31], 0 offset:12 ; 4-byte Folded Reload
	v_pk_add_f16 v14, v14, v15
	v_pk_fma_f16 v32, v46, v9, v32
	v_perm_b32 v15, v21, v20, s20
	v_pk_fma_f16 v32, v47, v10, v32
	v_pk_fma_f16 v32, v54, v7, v32
	;; [unrolled: 1-line block ×3, first 2 shown]
	s_waitcnt vmcnt(2)
	v_pk_fma_f16 v19, v14, v3, v19
	v_pack_b32_f16 v14, v20, v21
	v_pk_add_f16 v14, v14, v15
	s_waitcnt vmcnt(1)
	v_pk_fma_f16 v18, v14, v3, v18
	v_pack_b32_f16 v14, v22, v55
	v_perm_b32 v15, v55, v22, s20
	v_pk_add_f16 v14, v14, v15
	s_waitcnt vmcnt(0)
	v_pk_fma_f16 v17, v14, v3, v17
	v_pack_b32_f16 v14, v16, v32
	v_perm_b32 v15, v32, v16, s20
	v_pk_add_f16 v14, v14, v15
	buffer_load_dword v15, off, s[28:31], 0 offset:4 ; 4-byte Folded Reload
	s_waitcnt vmcnt(0)
	v_pk_fma_f16 v15, v14, v3, v15
	buffer_load_dword v14, off, s[28:31], 0 offset:40 ; 4-byte Folded Reload
	s_waitcnt vmcnt(0)
	v_pk_fma_f16 v14, v39, v11, v14
	v_pk_fma_f16 v14, v40, v12, v14
	;; [unrolled: 1-line block ×4, first 2 shown]
	buffer_load_dword v14, off, s[28:31], 0 offset:36 ; 4-byte Folded Reload
	v_pk_fma_f16 v13, v48, v7, v13
	v_pk_fma_f16 v13, v51, v8, v13
	s_waitcnt vmcnt(0)
	v_pk_fma_f16 v11, v36, v11, v14
	v_pk_fma_f16 v11, v37, v12, v11
	;; [unrolled: 1-line block ×5, first 2 shown]
	buffer_load_dword v9, off, s[28:31], 0 offset:100 ; 4-byte Folded Reload
	buffer_load_dword v10, off, s[28:31], 0 offset:104 ; 4-byte Folded Reload
	;; [unrolled: 1-line block ×4, first 2 shown]
	v_pk_fma_f16 v7, v50, v8, v7
	s_waitcnt vmcnt(2)
	v_pack_b32_f16 v8, v9, v10
	v_perm_b32 v9, v10, v9, s20
	v_pk_add_f16 v8, v8, v9
	buffer_load_dword v10, off, s[28:31], 0 offset:16 ; 4-byte Folded Reload
	v_pk_fma_f16 v27, v8, v4, v27
	v_pack_b32_f16 v8, v59, v60
	v_perm_b32 v9, v60, v59, s20
	v_pk_add_f16 v8, v8, v9
	buffer_load_dword v9, off, s[28:31], 0 offset:8 ; 4-byte Folded Reload
	v_pk_fma_f16 v25, v8, v4, v25
	v_pack_b32_f16 v8, v0, v2
	v_perm_b32 v0, v2, v0, s20
	v_pk_add_f16 v0, v8, v0
	buffer_load_dword v8, off, s[28:31], 0  ; 4-byte Folded Reload
	v_pk_fma_f16 v23, v0, v4, v23
	v_pack_b32_f16 v0, v1, v30
	v_perm_b32 v1, v30, v1, s20
	v_pk_add_f16 v0, v0, v1
	s_waitcnt vmcnt(4)
	v_pk_fma_f16 v12, v0, v4, v12
	v_pack_b32_f16 v0, v28, v31
	v_perm_b32 v1, v31, v28, s20
	v_pk_add_f16 v0, v0, v1
	s_waitcnt vmcnt(3)
	v_pk_fma_f16 v11, v0, v4, v11
	v_pack_b32_f16 v0, v34, v35
	v_perm_b32 v1, v35, v34, s20
	v_pk_add_f16 v0, v0, v1
	v_perm_b32 v1, v41, v38, s20
	s_waitcnt vmcnt(2)
	v_pk_fma_f16 v10, v0, v4, v10
	v_pack_b32_f16 v0, v38, v41
	v_pk_add_f16 v0, v0, v1
	v_perm_b32 v1, v7, v13, s20
	s_waitcnt vmcnt(1)
	v_pk_fma_f16 v9, v0, v4, v9
	v_pack_b32_f16 v0, v13, v7
	v_pk_add_f16 v0, v0, v1
	s_waitcnt vmcnt(0)
	v_pk_fma_f16 v8, v0, v4, v8
	v_mov_b32_e32 v0, s1
	v_addc_co_u32_e32 v6, vcc, v6, v0, vcc
	s_cbranch_scc1 .LBB43_25
.LBB43_23:                              ; =>This Inner Loop Header: Depth=1
	s_cmp_lg_u32 s24, s21
	buffer_store_dword v8, off, s[28:31], 0 ; 4-byte Folded Spill
	buffer_store_dword v15, off, s[28:31], 0 offset:4 ; 4-byte Folded Spill
	buffer_store_dword v9, off, s[28:31], 0 offset:8 ; 4-byte Folded Spill
	;; [unrolled: 1-line block ×8, first 2 shown]
	s_cbranch_scc0 .LBB43_21
; %bb.24:                               ;   in Loop: Header=BB43_23 Depth=1
	buffer_load_dword v1, off, s[28:31], 0 offset:120 ; 4-byte Folded Reload
	buffer_load_dword v8, off, s[28:31], 0 offset:124 ; 4-byte Folded Reload
	;; [unrolled: 1-line block ×4, first 2 shown]
	s_branch .LBB43_22
.LBB43_25:
	buffer_load_dword v0, off, s[28:31], 0 offset:140 ; 4-byte Folded Reload
	buffer_load_dword v1, off, s[28:31], 0 offset:144 ; 4-byte Folded Reload
	s_mul_i32 s7, s7, s16
	v_mov_b32_e32 v3, s15
	s_mov_b64 s[0:1], 0
	s_waitcnt vmcnt(1)
	v_add_u32_e32 v0, s7, v0
	s_waitcnt vmcnt(0)
	v_ashrrev_i32_e32 v1, 31, v0
	v_lshlrev_b64 v[1:2], 1, v[0:1]
	v_add_co_u32_e32 v1, vcc, s14, v1
	v_addc_co_u32_e32 v2, vcc, v3, v2, vcc
	global_load_dword v4, v[1:2], off
.LBB43_26:                              ; =>This Inner Loop Header: Depth=1
	s_waitcnt vmcnt(0)
	v_pk_add_f16 v3, v29, v4
	global_atomic_cmpswap v3, v[1:2], v[3:4], off glc
	s_waitcnt vmcnt(0)
	v_cmp_eq_u32_e32 vcc, v4, v3
	s_or_b64 s[0:1], vcc, s[0:1]
	v_mov_b32_e32 v4, v3
	s_andn2_b64 exec, exec, s[0:1]
	s_cbranch_execnz .LBB43_26
; %bb.27:
	s_or_b64 exec, exec, s[0:1]
	global_load_dword v4, v[1:2], off offset:4
	s_mov_b64 s[0:1], 0
.LBB43_28:                              ; =>This Inner Loop Header: Depth=1
	s_waitcnt vmcnt(0)
	v_pk_add_f16 v3, v27, v4
	global_atomic_cmpswap v3, v[1:2], v[3:4], off offset:4 glc
	s_waitcnt vmcnt(0)
	v_cmp_eq_u32_e32 vcc, v4, v3
	s_or_b64 s[0:1], vcc, s[0:1]
	v_mov_b32_e32 v4, v3
	s_andn2_b64 exec, exec, s[0:1]
	s_cbranch_execnz .LBB43_28
; %bb.29:
	s_or_b64 exec, exec, s[0:1]
	v_add_u32_e32 v0, s16, v0
	v_ashrrev_i32_e32 v1, 31, v0
	v_lshlrev_b64 v[1:2], 1, v[0:1]
	v_mov_b32_e32 v3, s15
	v_add_co_u32_e32 v1, vcc, s14, v1
	v_addc_co_u32_e32 v2, vcc, v3, v2, vcc
	global_load_dword v4, v[1:2], off
	s_mov_b64 s[0:1], 0
.LBB43_30:                              ; =>This Inner Loop Header: Depth=1
	s_waitcnt vmcnt(0)
	v_pk_add_f16 v3, v26, v4
	global_atomic_cmpswap v3, v[1:2], v[3:4], off glc
	s_waitcnt vmcnt(0)
	v_cmp_eq_u32_e32 vcc, v4, v3
	s_or_b64 s[0:1], vcc, s[0:1]
	v_mov_b32_e32 v4, v3
	s_andn2_b64 exec, exec, s[0:1]
	s_cbranch_execnz .LBB43_30
; %bb.31:
	s_or_b64 exec, exec, s[0:1]
	global_load_dword v4, v[1:2], off offset:4
	s_mov_b64 s[0:1], 0
.LBB43_32:                              ; =>This Inner Loop Header: Depth=1
	s_waitcnt vmcnt(0)
	v_pk_add_f16 v3, v25, v4
	global_atomic_cmpswap v3, v[1:2], v[3:4], off offset:4 glc
	s_waitcnt vmcnt(0)
	v_cmp_eq_u32_e32 vcc, v4, v3
	s_or_b64 s[0:1], vcc, s[0:1]
	v_mov_b32_e32 v4, v3
	s_andn2_b64 exec, exec, s[0:1]
	s_cbranch_execnz .LBB43_32
; %bb.33:
	s_or_b64 exec, exec, s[0:1]
	v_add_u32_e32 v0, s16, v0
	v_ashrrev_i32_e32 v1, 31, v0
	v_lshlrev_b64 v[1:2], 1, v[0:1]
	v_mov_b32_e32 v3, s15
	v_add_co_u32_e32 v1, vcc, s14, v1
	v_addc_co_u32_e32 v2, vcc, v3, v2, vcc
	global_load_dword v4, v[1:2], off
	s_mov_b64 s[0:1], 0
	;; [unrolled: 34-line block ×7, first 2 shown]
.LBB43_54:                              ; =>This Inner Loop Header: Depth=1
	s_waitcnt vmcnt(0)
	v_pk_add_f16 v2, v15, v3
	global_atomic_cmpswap v2, v[0:1], v[2:3], off glc
	s_waitcnt vmcnt(0)
	v_cmp_eq_u32_e32 vcc, v3, v2
	s_or_b64 s[0:1], vcc, s[0:1]
	v_mov_b32_e32 v3, v2
	s_andn2_b64 exec, exec, s[0:1]
	s_cbranch_execnz .LBB43_54
; %bb.55:
	s_or_b64 exec, exec, s[0:1]
	global_load_dword v3, v[0:1], off offset:4
	s_mov_b64 s[0:1], 0
.LBB43_56:                              ; =>This Inner Loop Header: Depth=1
	s_waitcnt vmcnt(0)
	v_pk_add_f16 v2, v8, v3
	global_atomic_cmpswap v2, v[0:1], v[2:3], off offset:4 glc
	s_waitcnt vmcnt(0)
	v_cmp_eq_u32_e32 vcc, v3, v2
	s_or_b64 s[0:1], vcc, s[0:1]
	v_mov_b32_e32 v3, v2
	s_andn2_b64 exec, exec, s[0:1]
	s_cbranch_execnz .LBB43_56
.LBB43_57:
	s_endpgm
	.section	.rodata,"a",@progbits
	.p2align	6, 0x0
	.amdhsa_kernel _ZN4vllm4gptq33gemm_half_q_half_gptq_2bit_kernelILb1ELi8EEEvPK6__halfPKjS6_S4_PS2_iiiibPKi
		.amdhsa_group_segment_fixed_size 2048
		.amdhsa_private_segment_fixed_size 160
		.amdhsa_kernarg_size 72
		.amdhsa_user_sgpr_count 6
		.amdhsa_user_sgpr_private_segment_buffer 1
		.amdhsa_user_sgpr_dispatch_ptr 0
		.amdhsa_user_sgpr_queue_ptr 0
		.amdhsa_user_sgpr_kernarg_segment_ptr 1
		.amdhsa_user_sgpr_dispatch_id 0
		.amdhsa_user_sgpr_flat_scratch_init 0
		.amdhsa_user_sgpr_private_segment_size 0
		.amdhsa_uses_dynamic_stack 0
		.amdhsa_system_sgpr_private_segment_wavefront_offset 1
		.amdhsa_system_sgpr_workgroup_id_x 1
		.amdhsa_system_sgpr_workgroup_id_y 1
		.amdhsa_system_sgpr_workgroup_id_z 1
		.amdhsa_system_sgpr_workgroup_info 0
		.amdhsa_system_vgpr_workitem_id 0
		.amdhsa_next_free_vgpr 64
		.amdhsa_next_free_sgpr 61
		.amdhsa_reserve_vcc 1
		.amdhsa_reserve_flat_scratch 0
		.amdhsa_float_round_mode_32 0
		.amdhsa_float_round_mode_16_64 0
		.amdhsa_float_denorm_mode_32 3
		.amdhsa_float_denorm_mode_16_64 3
		.amdhsa_dx10_clamp 1
		.amdhsa_ieee_mode 1
		.amdhsa_fp16_overflow 0
		.amdhsa_exception_fp_ieee_invalid_op 0
		.amdhsa_exception_fp_denorm_src 0
		.amdhsa_exception_fp_ieee_div_zero 0
		.amdhsa_exception_fp_ieee_overflow 0
		.amdhsa_exception_fp_ieee_underflow 0
		.amdhsa_exception_fp_ieee_inexact 0
		.amdhsa_exception_int_div_zero 0
	.end_amdhsa_kernel
	.section	.text._ZN4vllm4gptq33gemm_half_q_half_gptq_2bit_kernelILb1ELi8EEEvPK6__halfPKjS6_S4_PS2_iiiibPKi,"axG",@progbits,_ZN4vllm4gptq33gemm_half_q_half_gptq_2bit_kernelILb1ELi8EEEvPK6__halfPKjS6_S4_PS2_iiiibPKi,comdat
.Lfunc_end43:
	.size	_ZN4vllm4gptq33gemm_half_q_half_gptq_2bit_kernelILb1ELi8EEEvPK6__halfPKjS6_S4_PS2_iiiibPKi, .Lfunc_end43-_ZN4vllm4gptq33gemm_half_q_half_gptq_2bit_kernelILb1ELi8EEEvPK6__halfPKjS6_S4_PS2_iiiibPKi
                                        ; -- End function
	.set _ZN4vllm4gptq33gemm_half_q_half_gptq_2bit_kernelILb1ELi8EEEvPK6__halfPKjS6_S4_PS2_iiiibPKi.num_vgpr, 64
	.set _ZN4vllm4gptq33gemm_half_q_half_gptq_2bit_kernelILb1ELi8EEEvPK6__halfPKjS6_S4_PS2_iiiibPKi.num_agpr, 0
	.set _ZN4vllm4gptq33gemm_half_q_half_gptq_2bit_kernelILb1ELi8EEEvPK6__halfPKjS6_S4_PS2_iiiibPKi.numbered_sgpr, 32
	.set _ZN4vllm4gptq33gemm_half_q_half_gptq_2bit_kernelILb1ELi8EEEvPK6__halfPKjS6_S4_PS2_iiiibPKi.num_named_barrier, 0
	.set _ZN4vllm4gptq33gemm_half_q_half_gptq_2bit_kernelILb1ELi8EEEvPK6__halfPKjS6_S4_PS2_iiiibPKi.private_seg_size, 160
	.set _ZN4vllm4gptq33gemm_half_q_half_gptq_2bit_kernelILb1ELi8EEEvPK6__halfPKjS6_S4_PS2_iiiibPKi.uses_vcc, 1
	.set _ZN4vllm4gptq33gemm_half_q_half_gptq_2bit_kernelILb1ELi8EEEvPK6__halfPKjS6_S4_PS2_iiiibPKi.uses_flat_scratch, 0
	.set _ZN4vllm4gptq33gemm_half_q_half_gptq_2bit_kernelILb1ELi8EEEvPK6__halfPKjS6_S4_PS2_iiiibPKi.has_dyn_sized_stack, 0
	.set _ZN4vllm4gptq33gemm_half_q_half_gptq_2bit_kernelILb1ELi8EEEvPK6__halfPKjS6_S4_PS2_iiiibPKi.has_recursion, 0
	.set _ZN4vllm4gptq33gemm_half_q_half_gptq_2bit_kernelILb1ELi8EEEvPK6__halfPKjS6_S4_PS2_iiiibPKi.has_indirect_call, 0
	.section	.AMDGPU.csdata,"",@progbits
; Kernel info:
; codeLenInByte = 7980
; TotalNumSgprs: 36
; NumVgprs: 64
; ScratchSize: 160
; MemoryBound: 0
; FloatMode: 240
; IeeeMode: 1
; LDSByteSize: 2048 bytes/workgroup (compile time only)
; SGPRBlocks: 8
; VGPRBlocks: 15
; NumSGPRsForWavesPerEU: 65
; NumVGPRsForWavesPerEU: 64
; Occupancy: 4
; WaveLimiterHint : 0
; COMPUTE_PGM_RSRC2:SCRATCH_EN: 1
; COMPUTE_PGM_RSRC2:USER_SGPR: 6
; COMPUTE_PGM_RSRC2:TRAP_HANDLER: 0
; COMPUTE_PGM_RSRC2:TGID_X_EN: 1
; COMPUTE_PGM_RSRC2:TGID_Y_EN: 1
; COMPUTE_PGM_RSRC2:TGID_Z_EN: 1
; COMPUTE_PGM_RSRC2:TIDIG_COMP_CNT: 0
	.section	.text._ZN4vllm4gptq33gemm_half_q_half_gptq_3bit_kernelILb1ELi8EEEvPK6__halfPKjS6_S4_PS2_iiiibPKi,"axG",@progbits,_ZN4vllm4gptq33gemm_half_q_half_gptq_3bit_kernelILb1ELi8EEEvPK6__halfPKjS6_S4_PS2_iiiibPKi,comdat
	.protected	_ZN4vllm4gptq33gemm_half_q_half_gptq_3bit_kernelILb1ELi8EEEvPK6__halfPKjS6_S4_PS2_iiiibPKi ; -- Begin function _ZN4vllm4gptq33gemm_half_q_half_gptq_3bit_kernelILb1ELi8EEEvPK6__halfPKjS6_S4_PS2_iiiibPKi
	.globl	_ZN4vllm4gptq33gemm_half_q_half_gptq_3bit_kernelILb1ELi8EEEvPK6__halfPKjS6_S4_PS2_iiiibPKi
	.p2align	8
	.type	_ZN4vllm4gptq33gemm_half_q_half_gptq_3bit_kernelILb1ELi8EEEvPK6__halfPKjS6_S4_PS2_iiiibPKi,@function
_ZN4vllm4gptq33gemm_half_q_half_gptq_3bit_kernelILb1ELi8EEEvPK6__halfPKjS6_S4_PS2_iiiibPKi: ; @_ZN4vllm4gptq33gemm_half_q_half_gptq_3bit_kernelILb1ELi8EEEvPK6__halfPKjS6_S4_PS2_iiiibPKi
; %bb.0:
	s_mov_b64 s[42:43], s[2:3]
	s_load_dwordx4 s[16:19], s[4:5], 0x2c
	s_mov_b64 s[40:41], s[0:1]
	s_add_u32 s40, s40, s9
	s_addc_u32 s41, s41, 0
	s_lshl_b32 s25, s8, 7
	s_add_i32 s0, s25, 0x80
	v_cvt_f64_u32_e32 v[1:2], s0
	s_waitcnt lgkmcnt(0)
	v_cvt_f64_i32_e32 v[3:4], s17
	s_load_dwordx8 s[8:15], s[4:5], 0x8
	s_lshl_b32 s24, s7, 3
	v_min_f64 v[1:2], v[1:2], v[3:4]
	v_cvt_i32_f64_e32 v2, v[1:2]
	v_add_u32_e32 v1, s25, v0
	v_readfirstlane_b32 s26, v2
	v_cmp_lt_u32_e32 vcc, v1, v2
	s_and_saveexec_b64 s[2:3], vcc
	s_cbranch_execz .LBB44_18
; %bb.1:
	s_load_dwordx2 s[0:1], s[4:5], 0x40
	s_load_dwordx2 s[20:21], s[4:5], 0x0
	v_mov_b32_e32 v2, 0
	v_lshlrev_b64 v[3:4], 2, v[1:2]
	s_waitcnt lgkmcnt(0)
	v_mov_b32_e32 v5, s1
	v_add_co_u32_e32 v3, vcc, s0, v3
	s_cmp_lg_u64 s[0:1], 0
	v_addc_co_u32_e32 v4, vcc, v5, v4, vcc
	v_mov_b32_e32 v6, v2
	s_cselect_b64 s[4:5], -1, 0
	s_cmp_eq_u64 s[0:1], 0
	v_mov_b32_e32 v5, v1
	s_cbranch_scc1 .LBB44_3
; %bb.2:
	global_load_dword v5, v[3:4], off
	s_waitcnt vmcnt(0)
	v_ashrrev_i32_e32 v6, 31, v5
.LBB44_3:
	s_mul_i32 s22, s24, s17
	s_ashr_i32 s23, s22, 31
	s_lshl_b64 s[0:1], s[22:23], 1
	s_add_u32 s0, s20, s0
	v_lshlrev_b64 v[5:6], 1, v[5:6]
	s_addc_u32 s1, s21, s1
	v_mov_b32_e32 v7, s1
	v_add_co_u32_e32 v5, vcc, s0, v5
	v_addc_co_u32_e32 v6, vcc, v7, v6, vcc
	global_load_ushort v5, v[5:6], off
	v_lshlrev_b32_e32 v7, 1, v0
	v_cndmask_b32_e64 v6, 0, 1, s[4:5]
	v_cmp_ne_u32_e64 s[0:1], 1, v6
	s_andn2_b64 vcc, exec, s[4:5]
	s_waitcnt vmcnt(0)
	ds_write_b16 v7, v5
	v_mov_b32_e32 v6, v2
	v_mov_b32_e32 v5, v1
	s_cbranch_vccnz .LBB44_5
; %bb.4:
	global_load_dword v5, v[3:4], off
	s_waitcnt vmcnt(0)
	v_ashrrev_i32_e32 v6, 31, v5
.LBB44_5:
	s_add_i32 s4, s22, s17
	s_ashr_i32 s5, s4, 31
	s_lshl_b64 s[22:23], s[4:5], 1
	s_add_u32 s5, s20, s22
	v_lshlrev_b64 v[5:6], 1, v[5:6]
	s_addc_u32 s7, s21, s23
	v_mov_b32_e32 v8, s7
	v_add_co_u32_e32 v5, vcc, s5, v5
	v_addc_co_u32_e32 v6, vcc, v8, v6, vcc
	global_load_ushort v5, v[5:6], off
	s_and_b64 vcc, exec, s[0:1]
	s_waitcnt vmcnt(0)
	ds_write_b16 v7, v5 offset:256
	v_mov_b32_e32 v6, v2
	v_mov_b32_e32 v5, v1
	s_cbranch_vccnz .LBB44_7
; %bb.6:
	global_load_dword v5, v[3:4], off
	s_waitcnt vmcnt(0)
	v_ashrrev_i32_e32 v6, 31, v5
.LBB44_7:
	s_add_i32 s4, s4, s17
	s_ashr_i32 s5, s4, 31
	s_lshl_b64 s[22:23], s[4:5], 1
	s_add_u32 s5, s20, s22
	v_lshlrev_b64 v[5:6], 1, v[5:6]
	s_addc_u32 s7, s21, s23
	v_mov_b32_e32 v8, s7
	v_add_co_u32_e32 v5, vcc, s5, v5
	v_addc_co_u32_e32 v6, vcc, v8, v6, vcc
	global_load_ushort v5, v[5:6], off
	s_and_b64 vcc, exec, s[0:1]
	s_waitcnt vmcnt(0)
	ds_write_b16 v7, v5 offset:512
	;; [unrolled: 21-line block ×6, first 2 shown]
	s_cbranch_vccnz .LBB44_17
; %bb.16:
	global_load_dword v1, v[3:4], off
	s_waitcnt vmcnt(0)
	v_ashrrev_i32_e32 v2, 31, v1
.LBB44_17:
	s_add_i32 s0, s4, s17
	s_ashr_i32 s1, s0, 31
	s_lshl_b64 s[0:1], s[0:1], 1
	s_add_u32 s0, s20, s0
	v_lshlrev_b64 v[1:2], 1, v[1:2]
	s_addc_u32 s1, s21, s1
	v_mov_b32_e32 v3, s1
	v_add_co_u32_e32 v1, vcc, s0, v1
	v_addc_co_u32_e32 v2, vcc, v3, v2, vcc
	global_load_ushort v1, v[1:2], off
	s_waitcnt vmcnt(0)
	ds_write_b16 v7, v1 offset:1792
.LBB44_18:
	s_or_b64 exec, exec, s[2:3]
	v_lshlrev_b32_e32 v0, 2, v0
	v_lshl_add_u32 v2, s6, 9, v0
	v_mov_b32_e32 v1, v2
	buffer_store_dword v1, off, s[40:43], 0 offset:300 ; 4-byte Folded Spill
	s_nop 0
	buffer_store_dword v2, off, s[40:43], 0 offset:304 ; 4-byte Folded Spill
	v_cmp_gt_i32_e32 vcc, s16, v2
	s_and_saveexec_b64 s[0:1], vcc
	s_cbranch_execz .LBB44_88
; %bb.19:
	s_abs_i32 s0, s18
	v_cvt_f32_u32_e32 v1, s0
	s_sub_i32 s3, 0, s0
	s_abs_i32 s2, s17
	s_xor_b32 s1, s17, s18
	v_rcp_iflag_f32_e32 v1, v1
	s_ashr_i32 s1, s1, 31
	v_and_b32_e32 v0, 28, v0
	v_cmp_lt_u32_e32 vcc, 4, v0
	v_mul_f32_e32 v1, 0x4f7ffffe, v1
	v_cvt_u32_f32_e32 v1, v1
	s_waitcnt vmcnt(0) lgkmcnt(0)
	s_barrier
	v_readfirstlane_b32 s4, v1
	s_mul_i32 s3, s3, s4
	s_mul_hi_u32 s3, s4, s3
	s_add_i32 s4, s4, s3
	s_mul_hi_u32 s3, s2, s4
	s_mul_i32 s4, s3, s0
	s_sub_i32 s2, s2, s4
	s_add_i32 s5, s3, 1
	s_sub_i32 s4, s2, s0
	s_cmp_ge_u32 s2, s0
	s_cselect_b32 s3, s5, s3
	s_cselect_b32 s2, s4, s2
	s_add_i32 s4, s3, 1
	s_cmp_ge_u32 s2, s0
	s_cselect_b32 s0, s4, s3
	s_xor_b32 s0, s0, s1
	s_sub_i32 s27, s0, s1
	v_cvt_f32_u32_e32 v1, s27
	s_sub_i32 s0, 0, s27
                                        ; implicit-def: $vgpr3
	v_rcp_iflag_f32_e32 v1, v1
	v_mul_f32_e32 v1, 0x4f7ffffe, v1
	v_cvt_u32_f32_e32 v1, v1
	v_readfirstlane_b32 s1, v1
	s_mul_i32 s0, s0, s1
	s_mul_hi_u32 s0, s1, s0
	s_add_i32 s1, s1, s0
	s_mul_hi_u32 s0, s25, s1
	s_mul_i32 s1, s0, s27
	s_sub_i32 s1, s25, s1
	s_add_i32 s2, s0, 1
	s_sub_i32 s3, s1, s27
	s_cmp_ge_u32 s1, s27
	s_cselect_b32 s0, s2, s0
	s_cselect_b32 s1, s3, s1
	s_add_i32 s2, s0, 1
	s_cmp_ge_u32 s1, s27
	s_cselect_b32 s28, s2, s0
                                        ; implicit-def: $vgpr1
	s_and_saveexec_b64 s[0:1], vcc
	s_xor_b64 s[2:3], exec, s[0:1]
	s_cbranch_execz .LBB44_33
; %bb.20:
	v_cmp_ne_u32_e64 s[0:1], 8, v0
                                        ; implicit-def: $vgpr3
                                        ; implicit-def: $vgpr1
	s_and_saveexec_b64 s[4:5], s[0:1]
	s_xor_b64 s[4:5], exec, s[4:5]
	s_cbranch_execz .LBB44_30
; %bb.21:
	v_cmp_lt_u32_e64 s[0:1], 16, v0
                                        ; implicit-def: $vgpr3
                                        ; implicit-def: $vgpr1
	s_and_saveexec_b64 s[6:7], s[0:1]
	s_xor_b64 s[6:7], exec, s[6:7]
	s_cbranch_execz .LBB44_27
; %bb.22:
	buffer_load_dword v1, off, s[40:43], 0 offset:300 ; 4-byte Folded Reload
	buffer_load_dword v2, off, s[40:43], 0 offset:304 ; 4-byte Folded Reload
	s_mul_i32 s17, s28, s16
	s_ashr_i32 s0, s17, 31
	s_lshr_b32 s0, s0, 27
	s_add_i32 s0, s17, s0
	s_ashr_i32 s0, s0, 5
	v_mov_b32_e32 v3, s11
	s_waitcnt vmcnt(1)
	v_lshl_add_u32 v1, v1, 1, v1
	s_waitcnt vmcnt(0)
	v_ashrrev_i32_e32 v2, 31, v1
	v_lshrrev_b32_e32 v2, 27, v2
	v_add_u32_e32 v1, v1, v2
	v_ashrrev_i32_e32 v1, 5, v1
	v_mad_u64_u32 v[1:2], s[0:1], s0, 3, v[1:2]
	v_ashrrev_i32_e32 v2, 31, v1
	v_lshlrev_b64 v[1:2], 2, v[1:2]
	v_add_co_u32_e64 v1, s[0:1], s10, v1
	v_addc_co_u32_e64 v2, s[0:1], v3, v2, s[0:1]
	global_load_dword v4, v[1:2], off
	v_cmp_ne_u32_e64 s[0:1], 20, v0
                                        ; implicit-def: $vgpr3
	s_and_saveexec_b64 s[20:21], s[0:1]
	s_xor_b64 s[0:1], exec, s[20:21]
	s_cbranch_execz .LBB44_24
; %bb.23:
	v_not_b32_e32 v1, 63
	v_mad_u32_u24 v1, v0, 3, v1
	s_waitcnt vmcnt(0)
	v_lshrrev_b32_e32 v3, v1, v4
                                        ; implicit-def: $vgpr1_vgpr2
                                        ; implicit-def: $vgpr4
.LBB44_24:
	s_andn2_saveexec_b64 s[0:1], s[0:1]
	s_cbranch_execz .LBB44_26
; %bb.25:
	global_load_dword v1, v[1:2], off offset:4
	s_waitcnt vmcnt(0)
	v_alignbit_b32 v1, v1, v4, 28
	v_and_b32_e32 v3, 0xfff, v1
.LBB44_26:
	s_or_b64 exec, exec, s[0:1]
	v_mov_b32_e32 v1, s17
.LBB44_27:
	s_andn2_saveexec_b64 s[6:7], s[6:7]
	s_cbranch_execz .LBB44_29
; %bb.28:
	buffer_load_dword v1, off, s[40:43], 0 offset:300 ; 4-byte Folded Reload
	buffer_load_dword v2, off, s[40:43], 0 offset:304 ; 4-byte Folded Reload
	s_mul_i32 s17, s28, s16
	s_ashr_i32 s0, s17, 31
	s_lshr_b32 s0, s0, 27
	s_add_i32 s0, s17, s0
	s_ashr_i32 s0, s0, 5
	v_mov_b32_e32 v3, s11
	s_waitcnt vmcnt(1)
	v_lshl_add_u32 v1, v1, 1, v1
	s_waitcnt vmcnt(0)
	v_ashrrev_i32_e32 v2, 31, v1
	v_lshrrev_b32_e32 v2, 27, v2
	v_add_u32_e32 v1, v1, v2
	v_ashrrev_i32_e32 v1, 5, v1
	v_mad_u64_u32 v[1:2], s[0:1], s0, 3, v[1:2]
	v_ashrrev_i32_e32 v2, 31, v1
	v_lshlrev_b64 v[1:2], 2, v[1:2]
	v_add_co_u32_e64 v1, s[0:1], s10, v1
	v_addc_co_u32_e64 v2, s[0:1], v3, v2, s[0:1]
	global_load_dword v1, v[1:2], off
	v_not_b32_e32 v2, 31
	v_mad_u32_u24 v2, v0, 3, v2
	s_waitcnt vmcnt(0)
	v_lshrrev_b32_e32 v3, v2, v1
	v_mov_b32_e32 v1, s17
.LBB44_29:
	s_or_b64 exec, exec, s[6:7]
.LBB44_30:
	s_andn2_saveexec_b64 s[4:5], s[4:5]
	s_cbranch_execz .LBB44_32
; %bb.31:
	buffer_load_dword v1, off, s[40:43], 0 offset:300 ; 4-byte Folded Reload
	buffer_load_dword v2, off, s[40:43], 0 offset:304 ; 4-byte Folded Reload
	s_mul_i32 s6, s28, s16
	s_ashr_i32 s0, s6, 31
	s_lshr_b32 s0, s0, 27
	s_add_i32 s0, s6, s0
	s_ashr_i32 s0, s0, 5
	v_mov_b32_e32 v3, s11
	s_waitcnt vmcnt(1)
	v_lshl_add_u32 v1, v1, 1, v1
	s_waitcnt vmcnt(0)
	v_ashrrev_i32_e32 v2, 31, v1
	v_lshrrev_b32_e32 v2, 27, v2
	v_add_u32_e32 v1, v1, v2
	v_ashrrev_i32_e32 v1, 5, v1
	v_mad_u64_u32 v[1:2], s[0:1], s0, 3, v[1:2]
	v_ashrrev_i32_e32 v2, 31, v1
	v_lshlrev_b64 v[1:2], 2, v[1:2]
	v_add_co_u32_e64 v1, s[0:1], s10, v1
	v_addc_co_u32_e64 v2, s[0:1], v3, v2, s[0:1]
	global_load_dwordx2 v[1:2], v[1:2], off
	s_mov_b32 s0, 0x2010007
	s_waitcnt vmcnt(0)
	v_perm_b32 v1, v1, v2, s0
	v_and_b32_e32 v3, 0xfff, v1
	v_mov_b32_e32 v1, s6
.LBB44_32:
	s_or_b64 exec, exec, s[4:5]
.LBB44_33:
	s_or_saveexec_b64 s[2:3], s[2:3]
	buffer_load_dword v4, off, s[40:43], 0 offset:300 ; 4-byte Folded Reload
	buffer_load_dword v5, off, s[40:43], 0 offset:304 ; 4-byte Folded Reload
	s_waitcnt vmcnt(0)
	v_mul_u32_u24_e32 v5, 3, v0
	buffer_store_dword v5, off, s[40:43], 0 offset:316 ; 4-byte Folded Spill
	v_lshl_add_u32 v2, v4, 1, v4
	v_ashrrev_i32_e32 v4, 31, v2
	s_xor_b64 exec, exec, s[2:3]
	s_cbranch_execz .LBB44_35
; %bb.34:
	s_mul_i32 s4, s28, s16
	s_ashr_i32 s0, s4, 31
	s_lshr_b32 s0, s0, 27
	v_lshrrev_b32_e32 v1, 27, v4
	s_add_i32 s0, s4, s0
	v_add_u32_e32 v1, v2, v1
	s_ashr_i32 s0, s0, 5
	v_ashrrev_i32_e32 v1, 5, v1
	v_mad_u64_u32 v[5:6], s[0:1], s0, 3, v[1:2]
	v_mov_b32_e32 v1, s11
	v_mul_u32_u24_e32 v3, 3, v0
	v_ashrrev_i32_e32 v6, 31, v5
	v_lshlrev_b64 v[5:6], 2, v[5:6]
	v_add_co_u32_e64 v5, s[0:1], s10, v5
	v_addc_co_u32_e64 v6, s[0:1], v1, v6, s[0:1]
	global_load_dword v1, v[5:6], off
	s_waitcnt vmcnt(0)
	v_lshrrev_b32_e32 v3, v3, v1
	v_mov_b32_e32 v1, s4
.LBB44_35:
	s_or_b64 exec, exec, s[2:3]
	s_mov_b32 s29, 0
	v_mov_b32_e32 v29, 0
	s_cmp_ge_i32 s25, s26
	v_mov_b32_e32 v20, 0
	v_mov_b32_e32 v28, 0
	;; [unrolled: 1-line block ×15, first 2 shown]
	s_cbranch_scc1 .LBB44_56
; %bb.36:
	buffer_load_dword v5, off, s[40:43], 0 offset:300 ; 4-byte Folded Reload
	buffer_load_dword v6, off, s[40:43], 0 offset:304 ; 4-byte Folded Reload
	s_add_i32 s30, s27, s25
	v_cmp_lt_u32_e64 s[2:3], 16, v0
	v_cmp_ne_u32_e64 s[4:5], 20, v0
	s_mul_hi_i32 s31, s16, 12
	s_mul_i32 s33, s16, 12
	s_mov_b32 s34, 0x10001
	s_mov_b32 s35, 0x64006400
	s_movk_i32 s36, 0x3000
	s_movk_i32 s37, 0x2400
	s_mov_b32 s38, 0x7060302
	v_mov_b32_e32 v13, 0
	v_mov_b32_e32 v16, 0
	;; [unrolled: 1-line block ×14, first 2 shown]
	s_waitcnt vmcnt(1)
	v_mov_b32_e32 v7, v5
	v_add_u32_e32 v5, v1, v7
	s_waitcnt vmcnt(0)
	v_ashrrev_i32_e32 v6, 31, v5
	v_lshlrev_b64 v[5:6], 1, v[5:6]
	v_mov_b32_e32 v1, s13
	v_add_co_u32_e64 v5, s[0:1], s12, v5
	v_addc_co_u32_e64 v6, s[0:1], v1, v6, s[0:1]
	global_load_dwordx2 v[5:6], v[5:6], off
	s_lshr_b32 s0, s25, 5
	s_mul_i32 s0, s0, s16
	s_mul_i32 s6, s0, 3
	s_ashr_i32 s7, s6, 31
	s_bitcmp1_b32 s19, 0
	s_cselect_b64 s[0:1], -1, 0
	s_xor_b64 s[0:1], s[0:1], -1
	v_cndmask_b32_e64 v1, 0, 1, s[0:1]
	v_cmp_ne_u32_e64 s[0:1], 8, v0
	v_ashrrev_i32_e32 v8, 31, v7
	s_ashr_i32 s17, s16, 31
	s_lshl_b64 s[6:7], s[6:7], 2
	s_add_u32 s6, s8, s6
	s_addc_u32 s7, s9, s7
	s_lshl_b64 s[8:9], s[16:17], 2
	s_mov_b32 s17, 0x2010007
	s_waitcnt vmcnt(0)
	buffer_store_dword v5, off, s[40:43], 0 offset:272 ; 4-byte Folded Spill
	s_nop 0
	buffer_store_dword v6, off, s[40:43], 0 offset:276 ; 4-byte Folded Spill
	buffer_store_dword v1, off, s[40:43], 0 offset:296 ; 4-byte Folded Spill
	v_bfe_u32 v1, v3, 9, 3
	buffer_store_dword v1, off, s[40:43], 0 offset:280 ; 4-byte Folded Spill
	v_bfe_u32 v1, v3, 6, 3
	;; [unrolled: 2-line block ×3, first 2 shown]
	buffer_store_dword v1, off, s[40:43], 0 offset:288 ; 4-byte Folded Spill
	v_and_b32_e32 v1, 7, v3
	buffer_store_dword v1, off, s[40:43], 0 offset:292 ; 4-byte Folded Spill
	v_lshrrev_b32_e32 v1, 27, v4
	v_add_u32_e32 v1, v2, v1
	v_ashrrev_i32_e32 v1, 5, v1
	buffer_store_dword v1, off, s[40:43], 0 offset:308 ; 4-byte Folded Spill
	s_nop 0
	buffer_store_dword v2, off, s[40:43], 0 offset:312 ; 4-byte Folded Spill
	v_not_b32_e32 v1, 63
	v_mad_u32_u24 v1, v0, 3, v1
	buffer_store_dword v1, off, s[40:43], 0 offset:324 ; 4-byte Folded Spill
	v_not_b32_e32 v1, 31
	v_mad_u32_u24 v0, v0, 3, v1
	buffer_store_dword v0, off, s[40:43], 0 offset:320 ; 4-byte Folded Spill
	v_mov_b32_e32 v0, v7
	buffer_store_dword v0, off, s[40:43], 0 offset:300 ; 4-byte Folded Spill
	s_nop 0
	buffer_store_dword v1, off, s[40:43], 0 offset:304 ; 4-byte Folded Spill
	v_lshlrev_b64 v[0:1], 2, v[7:8]
	v_mov_b32_e32 v2, s7
	v_add_co_u32_e64 v14, s[6:7], s6, v0
	v_addc_co_u32_e64 v15, s[6:7], v2, v1, s[6:7]
	v_mov_b32_e32 v7, 0
	v_mov_b32_e32 v8, 0
	s_branch .LBB44_39
.LBB44_37:                              ;   in Loop: Header=BB44_39 Depth=1
	s_or_b64 exec, exec, s[6:7]
	buffer_load_dword v1, off, s[40:43], 0 offset:300 ; 4-byte Folded Reload
	buffer_load_dword v2, off, s[40:43], 0 offset:304 ; 4-byte Folded Reload
	v_mov_b32_e32 v3, s13
	s_add_i32 s30, s30, s27
	s_waitcnt vmcnt(1)
	v_add_u32_e32 v1, s39, v1
	s_waitcnt vmcnt(0)
	v_ashrrev_i32_e32 v2, 31, v1
	v_lshlrev_b64 v[1:2], 1, v[1:2]
	v_add_co_u32_e64 v1, s[6:7], s12, v1
	v_addc_co_u32_e64 v2, s[6:7], v3, v2, s[6:7]
	global_load_dwordx2 v[1:2], v[1:2], off
	s_waitcnt vmcnt(0)
	buffer_store_dword v1, off, s[40:43], 0 offset:272 ; 4-byte Folded Spill
	s_nop 0
	buffer_store_dword v2, off, s[40:43], 0 offset:276 ; 4-byte Folded Spill
	v_and_b32_e32 v1, 7, v0
	buffer_store_dword v1, off, s[40:43], 0 offset:292 ; 4-byte Folded Spill
	v_bfe_u32 v1, v0, 3, 3
	buffer_store_dword v1, off, s[40:43], 0 offset:288 ; 4-byte Folded Spill
	v_bfe_u32 v1, v0, 6, 3
	v_bfe_u32 v0, v0, 9, 3
	buffer_store_dword v1, off, s[40:43], 0 offset:284 ; 4-byte Folded Spill
	buffer_store_dword v0, off, s[40:43], 0 offset:280 ; 4-byte Folded Spill
.LBB44_38:                              ;   in Loop: Header=BB44_39 Depth=1
	buffer_store_dword v29, off, s[40:43], 0 offset:60 ; 4-byte Folded Spill
	buffer_store_dword v20, off, s[40:43], 0 offset:56 ; 4-byte Folded Spill
	;; [unrolled: 1-line block ×15, first 2 shown]
	buffer_store_dword v7, off, s[40:43], 0 ; 4-byte Folded Spill
	v_add_co_u32_e64 v0, s[6:7], s8, v14
	v_mov_b32_e32 v2, s9
	global_load_dwordx4 v[3:6], v[14:15], off
	v_addc_co_u32_e64 v1, s[6:7], v15, v2, s[6:7]
	buffer_store_dword v14, off, s[40:43], 0 offset:64 ; 4-byte Folded Spill
	s_nop 0
	buffer_store_dword v15, off, s[40:43], 0 offset:68 ; 4-byte Folded Spill
	global_load_dwordx4 v[15:18], v[0:1], off
	v_add_co_u32_e64 v7, s[6:7], s8, v0
	v_addc_co_u32_e64 v8, s[6:7], v1, v2, s[6:7]
	v_mov_b32_e32 v41, s29
	s_add_i32 s6, s29, 0x400
	s_add_i32 s25, s25, 32
	s_waitcnt vmcnt(3)
	v_and_b32_e32 v1, 0x70007, v3
	v_and_b32_e32 v2, 0x380038, v3
	v_lshrrev_b32_e32 v38, 6, v3
	v_lshrrev_b32_e32 v0, 15, v3
	;; [unrolled: 1-line block ×3, first 2 shown]
	buffer_store_dword v3, off, s[40:43], 0 offset:72 ; 4-byte Folded Spill
	s_waitcnt vmcnt(1)
	v_and_b32_e32 v3, 0x70007, v15
	buffer_store_dword v3, off, s[40:43], 0 offset:200 ; 4-byte Folded Spill
	v_and_b32_e32 v3, 0x380038, v15
	buffer_store_dword v3, off, s[40:43], 0 offset:188 ; 4-byte Folded Spill
	v_lshrrev_b32_e32 v3, 6, v15
	buffer_store_dword v3, off, s[40:43], 0 offset:192 ; 4-byte Folded Spill
	v_lshrrev_b32_e32 v3, 14, v15
	buffer_store_dword v3, off, s[40:43], 0 offset:100 ; 4-byte Folded Spill
	v_and_b32_e32 v3, 0x70007, v16
	buffer_store_dword v3, off, s[40:43], 0 offset:196 ; 4-byte Folded Spill
	v_and_b32_e32 v3, 0x380038, v16
	buffer_store_dword v3, off, s[40:43], 0 offset:180 ; 4-byte Folded Spill
	v_lshrrev_b32_e32 v3, 6, v16
	buffer_store_dword v3, off, s[40:43], 0 offset:184 ; 4-byte Folded Spill
	v_lshrrev_b32_e32 v3, 14, v16
	buffer_store_dword v3, off, s[40:43], 0 offset:96 ; 4-byte Folded Spill
	v_and_b32_e32 v3, 0x380038, v17
	buffer_store_dword v3, off, s[40:43], 0 offset:172 ; 4-byte Folded Spill
	v_lshrrev_b32_e32 v3, 6, v17
	buffer_store_dword v3, off, s[40:43], 0 offset:176 ; 4-byte Folded Spill
	v_lshrrev_b32_e32 v3, 14, v17
	;; [unrolled: 2-line block ×6, first 2 shown]
	v_and_b32_e32 v9, 0x70007, v4
	v_and_b32_e32 v10, 0x380038, v4
	v_lshrrev_b32_e32 v37, 6, v4
	v_and_b32_e32 v11, 0x70007, v5
	v_and_b32_e32 v12, 0x380038, v5
	v_lshrrev_b32_e32 v21, 6, v5
	buffer_store_dword v0, off, s[40:43], 0 offset:76 ; 4-byte Folded Spill
	v_and_b32_e32 v13, 0x70007, v6
	v_and_b32_e32 v14, 0x380038, v6
	v_lshrrev_b32_e32 v0, 6, v6
	buffer_store_dword v3, off, s[40:43], 0 offset:88 ; 4-byte Folded Spill
	global_load_dwordx4 v[3:6], v[7:8], off
	v_mov_b32_e32 v8, 0xe400e400
	v_and_b32_e32 v56, 0x70007, v18
	v_and_b32_e32 v55, 0x380038, v18
	v_and_b32_e32 v59, 0x70007, v17
	v_or_b32_e32 v1, 0x64006400, v1
	v_or_b32_e32 v2, 0x64006400, v2
	s_waitcnt vmcnt(0)
	v_and_b32_e32 v7, 0x70007, v3
	buffer_store_dword v7, off, s[40:43], 0 offset:136 ; 4-byte Folded Spill
	v_and_b32_e32 v7, 0x380038, v3
	buffer_store_dword v7, off, s[40:43], 0 offset:140 ; 4-byte Folded Spill
	v_lshrrev_b32_e32 v7, 6, v3
	v_lshrrev_b32_e32 v3, 13, v3
	buffer_store_dword v3, off, s[40:43], 0 offset:112 ; 4-byte Folded Spill
	v_and_b32_e32 v3, 0x70007, v4
	buffer_store_dword v3, off, s[40:43], 0 offset:144 ; 4-byte Folded Spill
	v_and_b32_e32 v3, 0x380038, v4
	buffer_store_dword v3, off, s[40:43], 0 offset:148 ; 4-byte Folded Spill
	v_lshrrev_b32_e32 v3, 6, v4
	buffer_store_dword v3, off, s[40:43], 0 offset:124 ; 4-byte Folded Spill
	v_lshrrev_b32_e32 v3, 13, v4
	buffer_store_dword v3, off, s[40:43], 0 offset:108 ; 4-byte Folded Spill
	v_and_b32_e32 v3, 0x70007, v5
	buffer_store_dword v3, off, s[40:43], 0 offset:152 ; 4-byte Folded Spill
	v_and_b32_e32 v3, 0x380038, v5
	buffer_store_dword v3, off, s[40:43], 0 offset:156 ; 4-byte Folded Spill
	v_lshrrev_b32_e32 v3, 6, v5
	buffer_store_dword v3, off, s[40:43], 0 offset:128 ; 4-byte Folded Spill
	;; [unrolled: 8-line block ×3, first 2 shown]
	v_lshrrev_b32_e32 v3, 13, v6
	buffer_store_dword v7, off, s[40:43], 0 offset:120 ; 4-byte Folded Spill
	buffer_store_dword v3, off, s[40:43], 0 offset:116 ; 4-byte Folded Spill
	buffer_load_dword v7, off, s[40:43], 0 offset:296 ; 4-byte Folded Reload
	s_nop 0
	buffer_load_dword v3, off, s[40:43], 0 offset:292 ; 4-byte Folded Reload
	s_waitcnt vmcnt(0)
	v_add_u32_e32 v3, v3, v7
	v_cvt_f32_u32_e32 v4, v3
	v_mad_u32_u24 v22, v3, s34, v8
	buffer_load_dword v3, off, s[40:43], 0 offset:288 ; 4-byte Folded Reload
	v_mov_b32_e32 v30, v22
	v_cvt_f16_f32_e32 v53, v4
	s_waitcnt vmcnt(0)
	v_add_u32_e32 v3, v3, v7
	v_cvt_f32_u32_e32 v5, v3
	v_mad_u32_u24 v20, v3, s34, v8
	buffer_load_dword v3, off, s[40:43], 0 offset:284 ; 4-byte Folded Reload
	v_mov_b32_e32 v23, v20
	v_cvt_f16_f32_e32 v28, v5
	v_mov_b32_e32 v58, v23
	buffer_store_dword v58, off, s[40:43], 0 offset:260 ; 4-byte Folded Spill
	s_waitcnt vmcnt(1)
	v_add_u32_e32 v3, v3, v7
	v_cvt_f32_u32_e32 v6, v3
	v_mad_u32_u24 v16, v3, s34, v8
	buffer_load_dword v3, off, s[40:43], 0 offset:280 ; 4-byte Folded Reload
	s_waitcnt vmcnt(0)
	v_add_u32_e32 v3, v3, v7
	v_cvt_f32_u32_e32 v7, v3
	v_mad_u32_u24 v18, v3, s34, v8
	v_cvt_f16_f32_e32 v8, v6
	v_sub_f16_e32 v3, 0xd800, v53
	v_cvt_f16_f32_e32 v7, v7
	v_mul_u32_u24_e32 v51, 0x10001, v3
	v_sub_f16_e32 v3, 0xd800, v28
	v_mul_u32_u24_e32 v15, 0x10001, v3
	v_sub_f16_e32 v3, 0xd800, v8
	;; [unrolled: 2-line block ×3, first 2 shown]
	v_mul_u32_u24_e32 v19, 0x10001, v3
	v_pk_add_f16 v3, v22, v1
	v_pk_fma_f16 v4, v2, s36, v51 op_sel_hi:[1,0,1]
	v_or_b32_e32 v1, 0x64006400, v9
	v_or_b32_e32 v2, 0x64006400, v10
	v_pk_add_f16 v5, v20, v1
	v_pk_fma_f16 v6, v2, s36, v15 op_sel_hi:[1,0,1]
	v_or_b32_e32 v1, 0x64006400, v11
	v_or_b32_e32 v2, 0x64006400, v12
	v_mov_b32_e32 v25, v15
	v_pk_add_f16 v15, v16, v1
	v_mov_b32_e32 v20, v16
	v_pk_fma_f16 v16, v2, s36, v17 op_sel_hi:[1,0,1]
	v_or_b32_e32 v1, 0x64006400, v13
	v_or_b32_e32 v2, 0x64006400, v14
	v_mov_b32_e32 v24, v17
	v_pk_add_f16 v17, v18, v1
	v_mov_b32_e32 v22, v18
	v_pk_fma_f16 v18, v2, s36, v19 op_sel_hi:[1,0,1]
	ds_read2_b32 v[1:2], v41 offset1:1
	ds_read2_b32 v[12:13], v41 offset0:128 offset1:129
	v_mov_b32_e32 v29, v19
	v_mov_b32_e32 v60, v22
	buffer_store_dword v24, off, s[40:43], 0 offset:208 ; 4-byte Folded Spill
	s_waitcnt lgkmcnt(1)
	v_pk_fma_f16 v9, v3, v1, 0
	v_pk_fma_f16 v26, v4, v2, v9
	;; [unrolled: 1-line block ×6, first 2 shown]
	ds_read2_b32 v[9:10], v41 offset0:64 offset1:65
	v_pk_fma_f16 v1, v17, v1, 0
	v_pk_fma_f16 v62, v18, v2, v1
	s_waitcnt lgkmcnt(1)
	v_pk_fma_f16 v11, v15, v12, 0
	v_pk_fma_f16 v11, v16, v13, v11
	s_waitcnt lgkmcnt(0)
	v_pk_fma_f16 v1, v3, v9, 0
	v_pk_fma_f16 v63, v4, v10, v1
	v_pk_fma_f16 v1, v5, v9, 0
	v_pk_fma_f16 v2, v6, v10, v1
	v_pk_fma_f16 v1, v15, v9, 0
	v_pk_fma_f16 v57, v16, v10, v1
	v_pk_fma_f16 v1, v17, v9, 0
	v_pk_fma_f16 v1, v18, v10, v1
	v_pk_fma_f16 v9, v3, v12, 0
	v_pk_fma_f16 v10, v5, v12, 0
	v_pk_fma_f16 v12, v17, v12, 0
	v_pk_fma_f16 v9, v4, v13, v9
	v_pk_fma_f16 v10, v6, v13, v10
	v_pk_fma_f16 v12, v18, v13, v12
	ds_read2_b32 v[13:14], v41 offset0:192 offset1:193
	v_mov_b32_e32 v54, v20
	buffer_store_dword v25, off, s[40:43], 0 offset:204 ; 4-byte Folded Spill
	buffer_store_dword v29, off, s[40:43], 0 offset:212 ; 4-byte Folded Spill
	;; [unrolled: 1-line block ×3, first 2 shown]
	s_waitcnt lgkmcnt(0)
	v_pk_fma_f16 v19, v3, v13, 0
	v_pk_fma_f16 v61, v4, v14, v19
	;; [unrolled: 1-line block ×4, first 2 shown]
	buffer_store_dword v19, off, s[40:43], 0 offset:216 ; 4-byte Folded Spill
	v_pk_fma_f16 v19, v15, v13, 0
	v_pk_fma_f16 v13, v17, v13, 0
	;; [unrolled: 1-line block ×3, first 2 shown]
	buffer_store_dword v13, off, s[40:43], 0 offset:224 ; 4-byte Folded Spill
	v_mov_b32_e32 v13, s6
	v_pk_fma_f16 v19, v16, v14, v19
	ds_read2_b32 v[13:14], v13 offset1:1
	buffer_store_dword v19, off, s[40:43], 0 offset:220 ; 4-byte Folded Spill
	s_add_i32 s6, s29, 0x500
	buffer_store_dword v54, off, s[40:43], 0 offset:264 ; 4-byte Folded Spill
	s_waitcnt lgkmcnt(0)
	v_pk_fma_f16 v19, v3, v13, 0
	v_pk_fma_f16 v19, v4, v14, v19
	buffer_store_dword v19, off, s[40:43], 0 offset:228 ; 4-byte Folded Spill
	v_pk_fma_f16 v19, v5, v13, 0
	v_pk_fma_f16 v19, v6, v14, v19
	buffer_store_dword v19, off, s[40:43], 0 offset:232 ; 4-byte Folded Spill
	v_pk_fma_f16 v19, v15, v13, 0
	v_pk_fma_f16 v13, v17, v13, 0
	;; [unrolled: 1-line block ×3, first 2 shown]
	v_mov_b32_e32 v13, s6
	v_pk_fma_f16 v43, v16, v14, v19
	ds_read2_b32 v[13:14], v13 offset1:1
	s_add_i32 s6, s29, 0x600
	s_waitcnt lgkmcnt(0)
	v_pk_fma_f16 v19, v3, v13, 0
	v_pk_fma_f16 v45, v4, v14, v19
	;; [unrolled: 1-line block ×7, first 2 shown]
	v_mov_b32_e32 v13, s6
	v_pk_fma_f16 v47, v16, v14, v19
	ds_read2_b32 v[13:14], v13 offset1:1
	s_add_i32 s6, s29, 0x700
	s_waitcnt lgkmcnt(0)
	v_pk_fma_f16 v19, v3, v13, 0
	v_pk_fma_f16 v49, v4, v14, v19
	;; [unrolled: 1-line block ×7, first 2 shown]
	buffer_store_dword v13, off, s[40:43], 0 offset:236 ; 4-byte Folded Spill
	v_mov_b32_e32 v13, s6
	v_pk_fma_f16 v52, v16, v14, v19
	ds_read2_b32 v[13:14], v13 offset1:1
	s_add_i32 s6, s29, 0x408
	s_waitcnt lgkmcnt(0)
	v_pk_fma_f16 v3, v3, v13, 0
	v_pk_fma_f16 v3, v4, v14, v3
	buffer_store_dword v3, off, s[40:43], 0 offset:240 ; 4-byte Folded Spill
	v_pk_fma_f16 v3, v5, v13, 0
	v_pk_fma_f16 v3, v6, v14, v3
	buffer_store_dword v3, off, s[40:43], 0 offset:244 ; 4-byte Folded Spill
	;; [unrolled: 3-line block ×4, first 2 shown]
	v_and_b32_e32 v3, 0x70007, v38
	v_or_b32_e32 v3, 0x64006400, v3
	v_and_b32_e32 v4, 0x380038, v38
	v_or_b32_e32 v4, 0x64006400, v4
	v_pk_add_f16 v13, v30, v3
	v_and_b32_e32 v3, 0x70007, v37
	v_pk_fma_f16 v32, v4, s36, v51 op_sel_hi:[1,0,1]
	v_or_b32_e32 v3, 0x64006400, v3
	v_and_b32_e32 v4, 0x380038, v37
	ds_read2_b32 v[14:15], v41 offset0:2 offset1:3
	ds_read2_b32 v[16:17], v41 offset0:66 offset1:67
	v_or_b32_e32 v4, 0x64006400, v4
	v_pk_add_f16 v33, v23, v3
	v_and_b32_e32 v3, 0x70007, v21
	v_pk_fma_f16 v34, v4, s36, v25 op_sel_hi:[1,0,1]
	v_or_b32_e32 v3, 0x64006400, v3
	v_and_b32_e32 v4, 0x380038, v21
	v_or_b32_e32 v4, 0x64006400, v4
	v_pk_add_f16 v35, v20, v3
	v_and_b32_e32 v3, 0x70007, v0
	v_pk_fma_f16 v36, v4, s36, v24 op_sel_hi:[1,0,1]
	v_or_b32_e32 v3, 0x64006400, v3
	v_and_b32_e32 v4, 0x380038, v0
	v_or_b32_e32 v4, 0x64006400, v4
	v_pk_add_f16 v39, v22, v3
	s_waitcnt lgkmcnt(0)
	v_pk_fma_f16 v2, v33, v16, v2
	v_pk_fma_f16 v40, v4, s36, v29 op_sel_hi:[1,0,1]
	v_pk_fma_f16 v3, v13, v14, v26
	v_pk_fma_f16 v4, v33, v14, v31
	;; [unrolled: 1-line block ×13, first 2 shown]
	ds_read2_b32 v[1:2], v41 offset0:130 offset1:131
	v_pk_fma_f16 v14, v13, v16, v63
	v_pk_fma_f16 v23, v32, v17, v14
	v_and_b32_e32 v0, 0x1c001c0, v0
	v_or_b32_e32 v0, 0x64006400, v0
	s_waitcnt lgkmcnt(0)
	v_pk_fma_f16 v9, v13, v1, v9
	v_pk_fma_f16 v10, v33, v1, v10
	;; [unrolled: 1-line block ×8, first 2 shown]
	ds_read2_b32 v[1:2], v41 offset0:194 offset1:195
	buffer_load_dword v31, off, s[40:43], 0 offset:212 ; 4-byte Folded Reload
	s_waitcnt lgkmcnt(0)
	v_pk_fma_f16 v12, v13, v1, v61
	v_pk_fma_f16 v16, v32, v2, v12
	buffer_load_dword v12, off, s[40:43], 0 offset:216 ; 4-byte Folded Reload
	s_waitcnt vmcnt(0)
	v_pk_fma_f16 v12, v33, v1, v12
	v_pk_fma_f16 v17, v34, v2, v12
	buffer_load_dword v12, off, s[40:43], 0 offset:220 ; 4-byte Folded Reload
	s_waitcnt vmcnt(0)
	;; [unrolled: 4-line block ×3, first 2 shown]
	v_pk_fma_f16 v1, v39, v1, v12
	buffer_load_dword v12, off, s[40:43], 0 offset:228 ; 4-byte Folded Reload
	v_pk_fma_f16 v19, v40, v2, v1
	v_mov_b32_e32 v1, s6
	ds_read2_b32 v[1:2], v1 offset1:1
	s_add_i32 s6, s29, 0x508
	s_waitcnt vmcnt(0) lgkmcnt(0)
	v_pk_fma_f16 v12, v13, v1, v12
	v_pk_fma_f16 v20, v32, v2, v12
	buffer_load_dword v12, off, s[40:43], 0 offset:232 ; 4-byte Folded Reload
	s_waitcnt vmcnt(0)
	v_pk_fma_f16 v12, v33, v1, v12
	v_pk_fma_f16 v25, v34, v2, v12
	;; [unrolled: 1-line block ×5, first 2 shown]
	v_mov_b32_e32 v1, s6
	v_pk_fma_f16 v27, v36, v2, v12
	ds_read2_b32 v[1:2], v1 offset1:1
	s_add_i32 s6, s29, 0x608
	s_waitcnt lgkmcnt(0)
	v_pk_fma_f16 v12, v13, v1, v45
	v_pk_fma_f16 v29, v32, v2, v12
	;; [unrolled: 1-line block ×7, first 2 shown]
	v_mov_b32_e32 v1, s6
	v_pk_fma_f16 v45, v36, v2, v12
	ds_read2_b32 v[1:2], v1 offset1:1
	s_add_i32 s6, s29, 0x708
	s_waitcnt lgkmcnt(0)
	v_pk_fma_f16 v12, v13, v1, v49
	v_pk_fma_f16 v48, v32, v2, v12
	;; [unrolled: 1-line block ×6, first 2 shown]
	buffer_load_dword v12, off, s[40:43], 0 offset:236 ; 4-byte Folded Reload
	s_waitcnt vmcnt(0)
	v_pk_fma_f16 v1, v39, v1, v12
	buffer_load_dword v12, off, s[40:43], 0 offset:240 ; 4-byte Folded Reload
	v_pk_fma_f16 v52, v40, v2, v1
	v_mov_b32_e32 v1, s6
	ds_read2_b32 v[1:2], v1 offset1:1
	s_add_i32 s6, s29, 0x410
	s_waitcnt vmcnt(0) lgkmcnt(0)
	v_pk_fma_f16 v12, v13, v1, v12
	v_pk_fma_f16 v13, v32, v2, v12
	buffer_load_dword v12, off, s[40:43], 0 offset:244 ; 4-byte Folded Reload
	s_waitcnt vmcnt(0)
	v_pk_fma_f16 v12, v33, v1, v12
	v_pk_fma_f16 v62, v34, v2, v12
	buffer_load_dword v12, off, s[40:43], 0 offset:248 ; 4-byte Folded Reload
	ds_read2_b32 v[32:33], v41 offset0:132 offset1:133
	s_waitcnt vmcnt(0)
	v_pk_fma_f16 v12, v35, v1, v12
	v_pk_fma_f16 v63, v36, v2, v12
	buffer_load_dword v12, off, s[40:43], 0 offset:252 ; 4-byte Folded Reload
	s_waitcnt vmcnt(0)
	v_pk_fma_f16 v1, v39, v1, v12
	v_pk_fma_f16 v40, v40, v2, v1
	buffer_load_dword v2, off, s[40:43], 0 offset:200 ; 4-byte Folded Reload
	v_sub_f16_e32 v1, 0xcc00, v53
	v_mov_b32_e32 v53, v30
	v_mul_u32_u24_e32 v26, 0x10001, v1
	v_sub_f16_e32 v1, 0xcc00, v28
	v_mul_u32_u24_e32 v12, 0x10001, v1
	v_sub_f16_e32 v1, 0xcc00, v8
	v_mul_u32_u24_e32 v14, 0x10001, v1
	v_sub_f16_e32 v1, 0xcc00, v7
	v_mul_u32_u24_e32 v28, 0x10001, v1
	v_and_b32_e32 v1, 0x1c001c0, v38
	v_or_b32_e32 v1, 0x64006400, v1
	buffer_store_dword v26, off, s[40:43], 0 offset:228 ; 4-byte Folded Spill
	v_pk_fma_f16 v26, v1, s37, v26 op_sel_hi:[1,0,1]
	v_and_b32_e32 v1, 0x1c001c0, v37
	v_and_b32_e32 v7, 0x1c001c0, v21
	v_or_b32_e32 v1, 0x64006400, v1
	v_or_b32_e32 v7, 0x64006400, v7
	buffer_store_dword v12, off, s[40:43], 0 offset:224 ; 4-byte Folded Spill
	v_pk_fma_f16 v1, v1, s37, v12 op_sel_hi:[1,0,1]
	v_or_b32_e32 v8, 0x64006400, v59
	v_pk_fma_f16 v12, v7, s37, v14 op_sel_hi:[1,0,1]
	v_or_b32_e32 v7, 0x64006400, v56
	buffer_store_dword v14, off, s[40:43], 0 offset:220 ; 4-byte Folded Spill
	v_pk_add_f16 v14, v54, v8
	v_pk_add_f16 v46, v60, v7
	ds_read2_b32 v[7:8], v41 offset0:4 offset1:5
	buffer_store_dword v28, off, s[40:43], 0 offset:216 ; 4-byte Folded Spill
	v_pk_fma_f16 v28, v0, s37, v28 op_sel_hi:[1,0,1]
	buffer_store_dword v53, off, s[40:43], 0 offset:256 ; 4-byte Folded Spill
	s_waitcnt lgkmcnt(0)
	v_pk_fma_f16 v0, v26, v7, v3
	v_pk_fma_f16 v3, v1, v7, v4
	;; [unrolled: 1-line block ×4, first 2 shown]
	ds_read2_b32 v[6:7], v41 offset0:68 offset1:69
	v_pk_fma_f16 v4, v14, v8, v4
	v_pk_fma_f16 v5, v46, v8, v5
	s_waitcnt vmcnt(5)
	v_or_b32_e32 v2, 0x64006400, v2
	v_pk_add_f16 v30, v53, v2
	buffer_load_dword v2, off, s[40:43], 0 offset:196 ; 4-byte Folded Reload
	v_pk_fma_f16 v0, v30, v8, v0
	s_waitcnt vmcnt(0)
	v_or_b32_e32 v2, 0x64006400, v2
	v_pk_add_f16 v2, v58, v2
	v_pk_fma_f16 v3, v2, v8, v3
	s_waitcnt lgkmcnt(0)
	v_pk_fma_f16 v8, v26, v6, v23
	v_pk_fma_f16 v21, v30, v7, v8
	;; [unrolled: 1-line block ×13, first 2 shown]
	ds_read2_b32 v[10:11], v41 offset0:196 offset1:197
	v_pk_fma_f16 v9, v14, v33, v6
	v_pk_fma_f16 v6, v28, v32, v42
	;; [unrolled: 1-line block ×3, first 2 shown]
	s_waitcnt lgkmcnt(0)
	v_pk_fma_f16 v15, v26, v10, v16
	v_pk_fma_f16 v32, v30, v11, v15
	;; [unrolled: 1-line block ×7, first 2 shown]
	v_mov_b32_e32 v10, s6
	v_pk_fma_f16 v34, v14, v11, v15
	ds_read2_b32 v[10:11], v10 offset1:1
	s_add_i32 s6, s29, 0x510
	s_waitcnt lgkmcnt(0)
	v_pk_fma_f16 v15, v26, v10, v20
	v_pk_fma_f16 v36, v30, v11, v15
	;; [unrolled: 1-line block ×7, first 2 shown]
	v_mov_b32_e32 v10, s6
	v_pk_fma_f16 v38, v14, v11, v15
	ds_read2_b32 v[10:11], v10 offset1:1
	s_add_i32 s6, s29, 0x610
	buffer_load_dword v20, off, s[40:43], 0 offset:192 ; 4-byte Folded Reload
	buffer_load_dword v25, off, s[40:43], 0 offset:176 ; 4-byte Folded Reload
	s_waitcnt lgkmcnt(0)
	v_pk_fma_f16 v15, v26, v10, v29
	v_pk_fma_f16 v42, v30, v11, v15
	;; [unrolled: 1-line block ×7, first 2 shown]
	v_mov_b32_e32 v10, s6
	v_pk_fma_f16 v45, v14, v11, v15
	ds_read2_b32 v[15:16], v10 offset1:1
	s_add_i32 s6, s29, 0x710
	buffer_load_dword v29, off, s[40:43], 0 offset:168 ; 4-byte Folded Reload
	s_waitcnt lgkmcnt(0)
	v_pk_fma_f16 v10, v26, v15, v48
	v_pk_fma_f16 v11, v1, v15, v49
	;; [unrolled: 1-line block ×5, first 2 shown]
	v_mov_b32_e32 v15, s6
	v_pk_fma_f16 v10, v30, v16, v10
	v_pk_fma_f16 v11, v2, v16, v11
	;; [unrolled: 1-line block ×3, first 2 shown]
	ds_read2_b32 v[15:16], v15 offset1:1
	s_add_i32 s6, s29, 0x418
	s_waitcnt lgkmcnt(0)
	v_pk_fma_f16 v1, v1, v15, v62
	v_pk_fma_f16 v61, v2, v16, v1
	;; [unrolled: 1-line block ×4, first 2 shown]
	buffer_store_dword v1, off, s[40:43], 0 offset:200 ; 4-byte Folded Spill
	v_pk_fma_f16 v1, v28, v15, v40
	v_pk_fma_f16 v1, v46, v16, v1
	buffer_store_dword v1, off, s[40:43], 0 offset:196 ; 4-byte Folded Spill
	buffer_load_dword v1, off, s[40:43], 0 offset:188 ; 4-byte Folded Reload
	v_pk_fma_f16 v13, v26, v15, v13
	v_mov_b32_e32 v26, v51
	buffer_load_dword v40, off, s[40:43], 0 offset:204 ; 4-byte Folded Reload
	buffer_load_dword v51, off, s[40:43], 0 offset:184 ; 4-byte Folded Reload
	v_pk_fma_f16 v50, v30, v16, v13
	ds_read2_b32 v[27:28], v41 offset0:6 offset1:7
	s_waitcnt vmcnt(2)
	v_or_b32_e32 v1, 0x64006400, v1
	v_pk_fma_f16 v12, v1, s36, v26 op_sel_hi:[1,0,1]
	buffer_load_dword v1, off, s[40:43], 0 offset:180 ; 4-byte Folded Reload
	v_and_b32_e32 v2, 0x70007, v20
	v_or_b32_e32 v2, 0x64006400, v2
	v_pk_add_f16 v13, v53, v2
	s_waitcnt vmcnt(1)
	v_and_b32_e32 v2, 0x70007, v51
	v_or_b32_e32 v2, 0x64006400, v2
	v_pk_add_f16 v15, v58, v2
	buffer_load_dword v58, off, s[40:43], 0 offset:208 ; 4-byte Folded Reload
	s_waitcnt lgkmcnt(0)
	v_pk_fma_f16 v0, v12, v27, v0
	v_pk_fma_f16 v63, v13, v28, v0
	v_and_b32_e32 v2, 0x70007, v25
	v_or_b32_e32 v2, 0x64006400, v2
	v_pk_add_f16 v30, v54, v2
	v_and_b32_e32 v2, 0x70007, v29
	v_or_b32_e32 v2, 0x64006400, v2
	v_pk_add_f16 v2, v60, v2
	s_waitcnt vmcnt(1)
	v_or_b32_e32 v1, 0x64006400, v1
	v_pk_fma_f16 v14, v1, s36, v40 op_sel_hi:[1,0,1]
	buffer_load_dword v1, off, s[40:43], 0 offset:172 ; 4-byte Folded Reload
	v_pk_fma_f16 v0, v14, v27, v3
	buffer_load_dword v3, off, s[40:43], 0 offset:200 ; 4-byte Folded Reload
	v_pk_fma_f16 v53, v15, v28, v0
	s_waitcnt vmcnt(1)
	v_or_b32_e32 v1, 0x64006400, v1
	v_pk_fma_f16 v16, v1, s36, v58 op_sel_hi:[1,0,1]
	v_or_b32_e32 v1, 0x64006400, v55
	v_pk_fma_f16 v1, v1, s36, v31 op_sel_hi:[1,0,1]
	v_pk_fma_f16 v0, v16, v27, v4
	v_pk_fma_f16 v57, v30, v28, v0
	;; [unrolled: 1-line block ×3, first 2 shown]
	ds_read2_b32 v[4:5], v41 offset0:70 offset1:71
	v_pk_fma_f16 v27, v2, v28, v0
	s_waitcnt lgkmcnt(0)
	v_pk_fma_f16 v0, v12, v4, v21
	v_pk_fma_f16 v52, v13, v5, v0
	;; [unrolled: 1-line block ×8, first 2 shown]
	ds_read2_b32 v[4:5], v41 offset0:134 offset1:135
	buffer_load_dword v21, off, s[40:43], 0 offset:228 ; 4-byte Folded Reload
	buffer_load_dword v22, off, s[40:43], 0 offset:220 ; 4-byte Folded Reload
	;; [unrolled: 1-line block ×3, first 2 shown]
	s_waitcnt lgkmcnt(0)
	v_pk_fma_f16 v0, v12, v4, v7
	v_pk_fma_f16 v60, v13, v5, v0
	;; [unrolled: 1-line block ×8, first 2 shown]
	ds_read2_b32 v[4:5], v41 offset0:198 offset1:199
	s_waitcnt lgkmcnt(0)
	v_pk_fma_f16 v0, v12, v4, v32
	v_pk_fma_f16 v32, v13, v5, v0
	v_pk_fma_f16 v0, v14, v4, v33
	v_pk_fma_f16 v33, v15, v5, v0
	v_pk_fma_f16 v0, v16, v4, v34
	v_pk_fma_f16 v34, v30, v5, v0
	v_pk_fma_f16 v0, v1, v4, v35
	v_pk_fma_f16 v35, v2, v5, v0
	v_mov_b32_e32 v0, s6
	ds_read2_b32 v[4:5], v0 offset1:1
	s_add_i32 s6, s29, 0x518
	s_waitcnt lgkmcnt(0)
	v_pk_fma_f16 v0, v12, v4, v36
	v_pk_fma_f16 v36, v13, v5, v0
	v_pk_fma_f16 v0, v14, v4, v37
	v_pk_fma_f16 v37, v15, v5, v0
	v_pk_fma_f16 v0, v16, v4, v38
	v_pk_fma_f16 v38, v30, v5, v0
	v_pk_fma_f16 v0, v1, v4, v39
	v_pk_fma_f16 v39, v2, v5, v0
	v_mov_b32_e32 v0, s6
	ds_read2_b32 v[4:5], v0 offset1:1
	s_add_i32 s6, s29, 0x618
	;; [unrolled: 12-line block ×3, first 2 shown]
	s_waitcnt lgkmcnt(0)
	v_pk_fma_f16 v0, v12, v4, v10
	v_pk_fma_f16 v19, v13, v5, v0
	;; [unrolled: 1-line block ×7, first 2 shown]
	v_mov_b32_e32 v4, s6
	ds_read2_b32 v[7:8], v4 offset1:1
	v_mov_b32_e32 v11, v26
	v_pk_fma_f16 v0, v30, v5, v0
	v_mov_b32_e32 v26, v31
	s_add_i32 s6, s29, 0x420
	s_waitcnt lgkmcnt(0)
	v_pk_fma_f16 v4, v12, v7, v50
	v_pk_fma_f16 v17, v13, v8, v4
	;; [unrolled: 1-line block ×4, first 2 shown]
	s_waitcnt vmcnt(3)
	v_pk_fma_f16 v4, v16, v7, v3
	buffer_load_dword v3, off, s[40:43], 0 offset:196 ; 4-byte Folded Reload
	buffer_load_dword v61, off, s[40:43], 0 offset:224 ; 4-byte Folded Reload
	v_pk_fma_f16 v30, v30, v8, v4
	s_waitcnt vmcnt(1)
	v_pk_fma_f16 v1, v1, v7, v3
	v_pk_fma_f16 v10, v2, v8, v1
	v_and_b32_e32 v1, 0x380038, v20
	v_and_b32_e32 v2, 0x1c001c0, v20
	v_or_b32_e32 v1, 0x64006400, v1
	v_or_b32_e32 v2, 0x64006400, v2
	v_pk_fma_f16 v9, v1, s36, v11 op_sel_hi:[1,0,1]
	v_pk_fma_f16 v50, v2, s37, v21 op_sel_hi:[1,0,1]
	v_and_b32_e32 v1, 0x380038, v51
	v_and_b32_e32 v2, 0x1c001c0, v51
	v_or_b32_e32 v1, 0x64006400, v1
	v_or_b32_e32 v2, 0x64006400, v2
	v_mov_b32_e32 v51, v40
	v_pk_fma_f16 v8, v1, s36, v51 op_sel_hi:[1,0,1]
	s_waitcnt vmcnt(0)
	v_pk_fma_f16 v7, v2, s37, v61 op_sel_hi:[1,0,1]
	v_and_b32_e32 v1, 0x380038, v25
	v_and_b32_e32 v2, 0x1c001c0, v25
	v_or_b32_e32 v1, 0x64006400, v1
	v_or_b32_e32 v2, 0x64006400, v2
	v_pk_fma_f16 v5, v1, s36, v58 op_sel_hi:[1,0,1]
	v_pk_fma_f16 v6, v2, s37, v22 op_sel_hi:[1,0,1]
	v_and_b32_e32 v1, 0x380038, v29
	v_and_b32_e32 v2, 0x1c001c0, v29
	v_or_b32_e32 v1, 0x64006400, v1
	v_or_b32_e32 v2, 0x64006400, v2
	v_pk_fma_f16 v3, v1, s36, v26 op_sel_hi:[1,0,1]
	v_pk_fma_f16 v4, v2, s37, v23 op_sel_hi:[1,0,1]
	ds_read2_b32 v[1:2], v41 offset0:8 offset1:9
	s_waitcnt lgkmcnt(0)
	v_pk_fma_f16 v12, v9, v1, v63
	v_pk_fma_f16 v16, v50, v2, v12
	v_pk_fma_f16 v12, v8, v1, v53
	v_pk_fma_f16 v53, v7, v2, v12
	v_pk_fma_f16 v12, v5, v1, v57
	v_pk_fma_f16 v1, v3, v1, v27
	v_pk_fma_f16 v12, v6, v2, v12
	v_pk_fma_f16 v31, v4, v2, v1
	ds_read2_b32 v[1:2], v41 offset0:72 offset1:73
	s_waitcnt lgkmcnt(0)
	v_pk_fma_f16 v15, v8, v1, v55
	v_pk_fma_f16 v14, v9, v1, v52
	v_pk_fma_f16 v24, v7, v2, v15
	v_pk_fma_f16 v15, v5, v1, v56
	v_pk_fma_f16 v1, v3, v1, v43
	v_pk_fma_f16 v14, v50, v2, v14
	v_pk_fma_f16 v40, v6, v2, v15
	v_pk_fma_f16 v43, v4, v2, v1
	;; [unrolled: 10-line block ×3, first 2 shown]
	ds_read2_b32 v[1:2], v41 offset0:200 offset1:201
	s_waitcnt lgkmcnt(0)
	v_pk_fma_f16 v15, v9, v1, v32
	v_pk_fma_f16 v47, v50, v2, v15
	;; [unrolled: 1-line block ×7, first 2 shown]
	v_mov_b32_e32 v1, s6
	v_pk_fma_f16 v52, v6, v2, v15
	ds_read2_b32 v[1:2], v1 offset1:1
	s_add_i32 s6, s29, 0x520
	s_waitcnt lgkmcnt(0)
	v_pk_fma_f16 v15, v9, v1, v36
	v_pk_fma_f16 v60, v50, v2, v15
	;; [unrolled: 1-line block ×6, first 2 shown]
	v_mov_b32_e32 v1, s6
	v_pk_fma_f16 v15, v7, v2, v15
	v_pk_fma_f16 v20, v6, v2, v20
	ds_read2_b32 v[1:2], v1 offset1:1
	s_add_i32 s6, s29, 0x620
	buffer_load_dword v38, off, s[40:43], 0 offset:260 ; 4-byte Folded Reload
	buffer_load_dword v39, off, s[40:43], 0 offset:264 ; 4-byte Folded Reload
	s_waitcnt lgkmcnt(0)
	v_pk_fma_f16 v28, v9, v1, v42
	v_pk_fma_f16 v63, v50, v2, v28
	;; [unrolled: 1-line block ×4, first 2 shown]
	buffer_store_dword v28, off, s[40:43], 0 offset:188 ; 4-byte Folded Spill
	v_pk_fma_f16 v28, v5, v1, v48
	v_pk_fma_f16 v1, v3, v1, v49
	;; [unrolled: 1-line block ×3, first 2 shown]
	buffer_store_dword v1, off, s[40:43], 0 offset:196 ; 4-byte Folded Spill
	v_mov_b32_e32 v1, s6
	v_pk_fma_f16 v28, v6, v2, v28
	ds_read2_b32 v[1:2], v1 offset1:1
	s_add_i32 s6, s29, 0x720
	buffer_store_dword v28, off, s[40:43], 0 offset:192 ; 4-byte Folded Spill
	ds_read2_b32 v[28:29], v41 offset0:10 offset1:11
	buffer_load_dword v42, off, s[40:43], 0 offset:268 ; 4-byte Folded Reload
	s_waitcnt lgkmcnt(1)
	v_pk_fma_f16 v0, v5, v1, v0
	v_pk_fma_f16 v19, v9, v1, v19
	;; [unrolled: 1-line block ×4, first 2 shown]
	buffer_store_dword v0, off, s[40:43], 0 offset:184 ; 4-byte Folded Spill
	v_pk_fma_f16 v0, v3, v1, v18
	buffer_store_dword v19, off, s[40:43], 0 offset:176 ; 4-byte Folded Spill
	v_pk_fma_f16 v19, v8, v1, v62
	v_pk_fma_f16 v62, v4, v2, v0
	v_mov_b32_e32 v0, s6
	ds_read2_b32 v[0:1], v0 offset1:1
	v_pk_fma_f16 v19, v7, v2, v19
	buffer_load_dword v18, off, s[40:43], 0 offset:256 ; 4-byte Folded Reload
	s_add_i32 s6, s29, 0x428
	buffer_store_dword v19, off, s[40:43], 0 offset:180 ; 4-byte Folded Spill
	s_waitcnt lgkmcnt(0)
	v_pk_fma_f16 v2, v9, v0, v17
	v_pk_fma_f16 v2, v50, v1, v2
	buffer_store_dword v2, off, s[40:43], 0 offset:172 ; 4-byte Folded Spill
	v_pk_fma_f16 v2, v8, v0, v13
	v_pk_fma_f16 v13, v7, v1, v2
	v_pk_fma_f16 v2, v5, v0, v30
	v_pk_fma_f16 v0, v3, v0, v10
	v_pk_fma_f16 v2, v6, v1, v2
	v_pk_fma_f16 v0, v4, v1, v0
	buffer_load_dword v1, off, s[40:43], 0 offset:136 ; 4-byte Folded Reload
	v_mov_b32_e32 v4, v51
	buffer_store_dword v2, off, s[40:43], 0 offset:168 ; 4-byte Folded Spill
	buffer_load_dword v2, off, s[40:43], 0 offset:140 ; 4-byte Folded Reload
	s_waitcnt vmcnt(12)
	v_mov_b32_e32 v19, v39
	s_waitcnt vmcnt(2)
	v_or_b32_e32 v1, 0x64006400, v1
	v_pk_add_f16 v8, v18, v1
	buffer_load_dword v1, off, s[40:43], 0 offset:144 ; 4-byte Folded Reload
	s_waitcnt vmcnt(1)
	v_or_b32_e32 v2, 0x64006400, v2
	v_pk_fma_f16 v9, v2, s36, v11 op_sel_hi:[1,0,1]
	buffer_load_dword v2, off, s[40:43], 0 offset:148 ; 4-byte Folded Reload
	v_pk_fma_f16 v3, v8, v28, v16
	v_pk_fma_f16 v5, v9, v29, v3
	s_waitcnt vmcnt(1)
	v_or_b32_e32 v1, 0x64006400, v1
	v_pk_add_f16 v34, v38, v1
	buffer_load_dword v1, off, s[40:43], 0 offset:152 ; 4-byte Folded Reload
	s_waitcnt vmcnt(1)
	v_or_b32_e32 v2, 0x64006400, v2
	v_pk_fma_f16 v35, v2, s36, v51 op_sel_hi:[1,0,1]
	buffer_load_dword v2, off, s[40:43], 0 offset:156 ; 4-byte Folded Reload
	v_pk_fma_f16 v3, v34, v28, v53
	v_pk_fma_f16 v6, v35, v29, v3
	s_waitcnt vmcnt(1)
	v_or_b32_e32 v1, 0x64006400, v1
	v_pk_add_f16 v30, v39, v1
	buffer_load_dword v1, off, s[40:43], 0 offset:160 ; 4-byte Folded Reload
	buffer_load_dword v17, off, s[40:43], 0 offset:132 ; 4-byte Folded Reload
	s_waitcnt vmcnt(2)
	v_or_b32_e32 v2, 0x64006400, v2
	v_pk_fma_f16 v3, v30, v28, v12
	buffer_load_dword v12, off, s[40:43], 0 offset:120 ; 4-byte Folded Reload
	v_pk_fma_f16 v32, v2, s36, v58 op_sel_hi:[1,0,1]
	buffer_load_dword v2, off, s[40:43], 0 offset:164 ; 4-byte Folded Reload
	v_pk_fma_f16 v7, v32, v29, v3
	s_waitcnt vmcnt(3)
	v_or_b32_e32 v1, 0x64006400, v1
	v_pk_add_f16 v1, v42, v1
	v_pk_fma_f16 v3, v1, v28, v31
	v_mov_b32_e32 v31, v42
	s_waitcnt vmcnt(1)
	v_mov_b32_e32 v16, v12
	s_waitcnt vmcnt(0)
	v_or_b32_e32 v2, 0x64006400, v2
	v_pk_fma_f16 v2, v2, s36, v26 op_sel_hi:[1,0,1]
	v_pk_fma_f16 v10, v2, v29, v3
	v_and_b32_e32 v3, 0x380038, v12
	v_or_b32_e32 v3, 0x64006400, v3
	v_pk_fma_f16 v28, v3, s36, v11 op_sel_hi:[1,0,1]
	buffer_load_dword v11, off, s[40:43], 0 offset:124 ; 4-byte Folded Reload
	s_waitcnt vmcnt(0)
	v_and_b32_e32 v3, 0x380038, v11
	v_or_b32_e32 v3, 0x64006400, v3
	v_pk_fma_f16 v49, v3, s36, v4 op_sel_hi:[1,0,1]
	buffer_load_dword v4, off, s[40:43], 0 offset:128 ; 4-byte Folded Reload
	s_waitcnt vmcnt(0)
	v_and_b32_e32 v3, 0x380038, v4
	v_or_b32_e32 v3, 0x64006400, v3
	v_pk_fma_f16 v46, v3, s36, v58 op_sel_hi:[1,0,1]
	v_and_b32_e32 v3, 0x380038, v17
	v_or_b32_e32 v3, 0x64006400, v3
	v_pk_fma_f16 v36, v3, s36, v26 op_sel_hi:[1,0,1]
	v_and_b32_e32 v3, 0x70007, v12
	v_or_b32_e32 v3, 0x64006400, v3
	v_mov_b32_e32 v26, v18
	v_pk_add_f16 v29, v26, v3
	v_and_b32_e32 v3, 0x70007, v11
	v_or_b32_e32 v3, 0x64006400, v3
	v_mov_b32_e32 v18, v38
	v_pk_add_f16 v50, v18, v3
	v_and_b32_e32 v3, 0x70007, v4
	v_or_b32_e32 v3, 0x64006400, v3
	v_pk_add_f16 v48, v19, v3
	v_and_b32_e32 v3, 0x70007, v17
	v_or_b32_e32 v3, 0x64006400, v3
	v_mov_b32_e32 v12, v11
	v_mov_b32_e32 v11, v4
	v_pk_add_f16 v39, v31, v3
	ds_read2_b32 v[3:4], v41 offset0:12 offset1:13
	s_waitcnt lgkmcnt(0)
	v_pk_fma_f16 v5, v29, v3, v5
	v_pk_fma_f16 v6, v50, v3, v6
	;; [unrolled: 1-line block ×5, first 2 shown]
	buffer_load_dword v3, off, s[40:43], 0 offset:100 ; 4-byte Folded Reload
	v_pk_fma_f16 v5, v28, v4, v5
	v_pk_fma_f16 v6, v49, v4, v6
	;; [unrolled: 1-line block ×3, first 2 shown]
	buffer_load_dword v4, off, s[40:43], 0 offset:84 ; 4-byte Folded Reload
	s_waitcnt vmcnt(1)
	v_and_b32_e32 v3, 0x20002, v3
	s_waitcnt vmcnt(0)
	v_and_or_b32 v3, v4, s34, v3
	buffer_load_dword v4, off, s[40:43], 0 offset:112 ; 4-byte Folded Reload
	s_waitcnt vmcnt(0)
	v_and_b32_e32 v4, 0x40004, v4
	v_or3_b32 v3, v3, v4, s35
	v_and_b32_e32 v4, 0x1c001c0, v16
	v_or_b32_e32 v4, 0x64006400, v4
	v_pk_add_f16 v57, v26, v3
	buffer_load_dword v3, off, s[40:43], 0 offset:96 ; 4-byte Folded Reload
	v_pk_fma_f16 v58, v4, s37, v21 op_sel_hi:[1,0,1]
	buffer_load_dword v4, off, s[40:43], 0 offset:80 ; 4-byte Folded Reload
	s_waitcnt vmcnt(1)
	v_and_b32_e32 v3, 0x20002, v3
	s_waitcnt vmcnt(0)
	v_and_or_b32 v3, v4, s34, v3
	buffer_load_dword v4, off, s[40:43], 0 offset:108 ; 4-byte Folded Reload
	s_waitcnt vmcnt(0)
	v_and_b32_e32 v4, 0x40004, v4
	v_or3_b32 v3, v3, v4, s35
	v_and_b32_e32 v4, 0x1c001c0, v12
	v_or_b32_e32 v4, 0x64006400, v4
	v_pk_add_f16 v56, v18, v3
	buffer_load_dword v3, off, s[40:43], 0 offset:92 ; 4-byte Folded Reload
	v_pk_fma_f16 v59, v4, s37, v61 op_sel_hi:[1,0,1]
	;; [unrolled: 14-line block ×3, first 2 shown]
	buffer_load_dword v4, off, s[40:43], 0 offset:72 ; 4-byte Folded Reload
	s_waitcnt vmcnt(1)
	v_and_b32_e32 v3, 0x20002, v3
	s_waitcnt vmcnt(0)
	v_and_or_b32 v3, v4, s34, v3
	buffer_load_dword v4, off, s[40:43], 0 offset:116 ; 4-byte Folded Reload
	s_waitcnt vmcnt(0)
	v_and_b32_e32 v4, 0x40004, v4
	v_or3_b32 v3, v3, v4, s35
	v_and_b32_e32 v4, 0x1c001c0, v17
	v_or_b32_e32 v4, 0x64006400, v4
	v_pk_fma_f16 v26, v4, s37, v23 op_sel_hi:[1,0,1]
	v_pk_add_f16 v31, v31, v3
	ds_read2_b32 v[3:4], v41 offset0:14 offset1:15
	s_waitcnt lgkmcnt(0)
	v_pk_fma_f16 v5, v58, v3, v5
	v_pk_fma_f16 v61, v57, v4, v5
	v_pk_fma_f16 v5, v59, v3, v6
	v_pk_fma_f16 v16, v56, v4, v5
	v_pk_fma_f16 v5, v53, v3, v7
	v_pk_fma_f16 v3, v26, v3, v10
	v_pk_fma_f16 v42, v55, v4, v5
	v_pk_fma_f16 v38, v31, v4, v3
	ds_read2_b32 v[3:4], v41 offset0:74 offset1:75
	s_waitcnt lgkmcnt(0)
	v_pk_fma_f16 v5, v8, v3, v14
	v_pk_fma_f16 v6, v34, v3, v24
	v_pk_fma_f16 v7, v30, v3, v40
	v_pk_fma_f16 v3, v1, v3, v43
	v_pk_fma_f16 v5, v9, v4, v5
	v_pk_fma_f16 v6, v35, v4, v6
	v_pk_fma_f16 v7, v32, v4, v7
	v_pk_fma_f16 v10, v2, v4, v3
	;; [unrolled: 10-line block ×9, first 2 shown]
	ds_read2_b32 v[3:4], v41 offset0:206 offset1:207
	s_waitcnt lgkmcnt(0)
	v_pk_fma_f16 v5, v58, v3, v5
	v_pk_fma_f16 v24, v57, v4, v5
	;; [unrolled: 1-line block ×7, first 2 shown]
	v_mov_b32_e32 v3, s6
	v_pk_fma_f16 v41, v55, v4, v5
	ds_read2_b32 v[3:4], v3 offset1:1
	s_add_i32 s6, s29, 0x430
	s_waitcnt lgkmcnt(0)
	v_pk_fma_f16 v5, v8, v3, v60
	v_pk_fma_f16 v6, v34, v3, v15
	;; [unrolled: 1-line block ×5, first 2 shown]
	v_mov_b32_e32 v3, s6
	v_pk_fma_f16 v5, v9, v4, v5
	v_pk_fma_f16 v6, v35, v4, v6
	;; [unrolled: 1-line block ×3, first 2 shown]
	ds_read2_b32 v[3:4], v3 offset1:1
	s_add_i32 s6, s29, 0x438
	s_waitcnt lgkmcnt(0)
	v_pk_fma_f16 v5, v29, v3, v5
	v_pk_fma_f16 v6, v50, v3, v6
	;; [unrolled: 1-line block ×5, first 2 shown]
	v_mov_b32_e32 v3, s6
	v_pk_fma_f16 v5, v28, v4, v5
	v_pk_fma_f16 v6, v49, v4, v6
	;; [unrolled: 1-line block ×3, first 2 shown]
	ds_read2_b32 v[3:4], v3 offset1:1
	s_add_i32 s6, s29, 0x528
	s_waitcnt lgkmcnt(0)
	v_pk_fma_f16 v5, v58, v3, v5
	v_pk_fma_f16 v19, v57, v4, v5
	;; [unrolled: 1-line block ×6, first 2 shown]
	buffer_load_dword v6, off, s[40:43], 0 offset:188 ; 4-byte Folded Reload
	buffer_load_dword v7, off, s[40:43], 0 offset:192 ; 4-byte Folded Reload
	;; [unrolled: 1-line block ×3, first 2 shown]
	v_pk_fma_f16 v52, v31, v4, v3
	v_mov_b32_e32 v3, s6
	v_pk_fma_f16 v51, v55, v4, v5
	ds_read2_b32 v[3:4], v3 offset1:1
	s_add_i32 s6, s29, 0x530
	s_waitcnt lgkmcnt(0)
	v_pk_fma_f16 v5, v8, v3, v63
	v_pk_fma_f16 v5, v9, v4, v5
	s_waitcnt vmcnt(2)
	v_pk_fma_f16 v6, v34, v3, v6
	s_waitcnt vmcnt(1)
	;; [unrolled: 2-line block ×3, first 2 shown]
	v_pk_fma_f16 v3, v1, v3, v10
	v_pk_fma_f16 v10, v2, v4, v3
	v_mov_b32_e32 v3, s6
	v_pk_fma_f16 v6, v35, v4, v6
	v_pk_fma_f16 v7, v32, v4, v7
	ds_read2_b32 v[3:4], v3 offset1:1
	s_add_i32 s6, s29, 0x538
	s_waitcnt lgkmcnt(0)
	v_pk_fma_f16 v5, v29, v3, v5
	v_pk_fma_f16 v6, v50, v3, v6
	;; [unrolled: 1-line block ×5, first 2 shown]
	v_mov_b32_e32 v3, s6
	v_pk_fma_f16 v5, v28, v4, v5
	v_pk_fma_f16 v6, v49, v4, v6
	;; [unrolled: 1-line block ×3, first 2 shown]
	ds_read2_b32 v[3:4], v3 offset1:1
	s_add_i32 s6, s29, 0x628
	s_waitcnt lgkmcnt(0)
	v_pk_fma_f16 v5, v58, v3, v5
	v_pk_fma_f16 v21, v57, v4, v5
	;; [unrolled: 1-line block ×6, first 2 shown]
	buffer_load_dword v5, off, s[40:43], 0 offset:176 ; 4-byte Folded Reload
	buffer_load_dword v6, off, s[40:43], 0 offset:180 ; 4-byte Folded Reload
	;; [unrolled: 1-line block ×3, first 2 shown]
	v_pk_fma_f16 v3, v26, v3, v10
	v_pk_fma_f16 v60, v31, v4, v3
	v_mov_b32_e32 v3, s6
	ds_read2_b32 v[3:4], v3 offset1:1
	s_add_i32 s6, s29, 0x630
	s_waitcnt vmcnt(2) lgkmcnt(0)
	v_pk_fma_f16 v5, v8, v3, v5
	s_waitcnt vmcnt(1)
	v_pk_fma_f16 v6, v34, v3, v6
	s_waitcnt vmcnt(0)
	v_pk_fma_f16 v7, v30, v3, v7
	v_pk_fma_f16 v3, v1, v3, v62
	;; [unrolled: 1-line block ×3, first 2 shown]
	v_mov_b32_e32 v3, s6
	v_pk_fma_f16 v5, v9, v4, v5
	v_pk_fma_f16 v6, v35, v4, v6
	;; [unrolled: 1-line block ×3, first 2 shown]
	ds_read2_b32 v[3:4], v3 offset1:1
	s_add_i32 s6, s29, 0x638
	s_waitcnt lgkmcnt(0)
	v_pk_fma_f16 v5, v29, v3, v5
	v_pk_fma_f16 v11, v28, v4, v5
	;; [unrolled: 1-line block ×7, first 2 shown]
	v_mov_b32_e32 v3, s6
	v_pk_fma_f16 v7, v46, v4, v5
	ds_read2_b32 v[5:6], v3 offset1:1
	s_add_i32 s6, s29, 0x728
	s_waitcnt lgkmcnt(0)
	v_pk_fma_f16 v3, v58, v5, v11
	v_pk_fma_f16 v4, v59, v5, v12
	;; [unrolled: 1-line block ×5, first 2 shown]
	v_mov_b32_e32 v5, s6
	ds_read2_b32 v[11:12], v5 offset1:1
	buffer_load_dword v5, off, s[40:43], 0 offset:172 ; 4-byte Folded Reload
	s_add_i32 s6, s29, 0x730
	v_pk_fma_f16 v3, v57, v6, v3
	v_pk_fma_f16 v4, v56, v6, v4
	v_pk_fma_f16 v14, v55, v6, v7
	v_mov_b32_e32 v6, s6
	s_add_i32 s6, s29, 0x738
	s_waitcnt lgkmcnt(0)
	v_pk_fma_f16 v0, v1, v11, v0
	v_pk_fma_f16 v0, v2, v12, v0
	v_pack_b32_f16 v1, v42, v38
	v_perm_b32 v2, v38, v42, s38
	v_pk_add_f16 v1, v1, v2
	v_perm_b32 v2, v43, v40, s38
	s_add_i32 s29, s29, 64
	s_cmp_ge_i32 s25, s26
	s_waitcnt vmcnt(0)
	v_pk_fma_f16 v5, v8, v11, v5
	v_pk_fma_f16 v5, v9, v12, v5
	ds_read2_b32 v[9:10], v6 offset1:1
	v_mov_b32_e32 v6, s6
	ds_read2_b32 v[7:8], v6 offset1:1
	v_pk_fma_f16 v6, v34, v11, v13
	v_pack_b32_f16 v13, v61, v16
	s_waitcnt lgkmcnt(1)
	v_pk_fma_f16 v5, v29, v9, v5
	buffer_load_dword v29, off, s[40:43], 0 offset:60 ; 4-byte Folded Reload
	buffer_load_dword v33, off, s[40:43], 0 offset:272 ; 4-byte Folded Reload
	;; [unrolled: 1-line block ×3, first 2 shown]
	v_pk_fma_f16 v5, v28, v10, v5
	buffer_load_dword v28, off, s[40:43], 0 offset:52 ; 4-byte Folded Reload
	v_perm_b32 v16, v16, v61, s38
	v_pk_add_f16 v13, v13, v16
	v_perm_b32 v16, v18, v17, s38
	v_pk_fma_f16 v6, v35, v12, v6
	v_pk_fma_f16 v6, v50, v9, v6
	;; [unrolled: 1-line block ×3, first 2 shown]
	s_waitcnt lgkmcnt(0)
	v_pk_fma_f16 v5, v58, v7, v5
	v_pk_fma_f16 v6, v59, v7, v6
	;; [unrolled: 1-line block ×8, first 2 shown]
	s_waitcnt vmcnt(2)
	v_pk_fma_f16 v29, v13, v33, v29
	v_pack_b32_f16 v13, v17, v18
	v_pk_add_f16 v13, v13, v16
	s_waitcnt vmcnt(0)
	v_pk_fma_f16 v28, v13, v33, v28
	v_pack_b32_f16 v13, v22, v23
	v_perm_b32 v16, v23, v22, s38
	buffer_load_dword v23, off, s[40:43], 0 offset:44 ; 4-byte Folded Reload
	buffer_load_dword v22, off, s[40:43], 0 offset:36 ; 4-byte Folded Reload
	;; [unrolled: 1-line block ×4, first 2 shown]
	v_pk_add_f16 v13, v13, v16
	v_perm_b32 v16, v25, v24, s38
	s_waitcnt vmcnt(3)
	v_pk_fma_f16 v23, v13, v33, v23
	v_pack_b32_f16 v13, v24, v25
	v_pk_add_f16 v13, v13, v16
	s_waitcnt vmcnt(2)
	v_pk_fma_f16 v22, v13, v33, v22
	v_pack_b32_f16 v13, v19, v20
	v_perm_b32 v16, v20, v19, s38
	v_pk_add_f16 v13, v13, v16
	s_waitcnt vmcnt(1)
	v_pk_fma_f16 v18, v13, v33, v18
	v_pack_b32_f16 v13, v21, v27
	v_perm_b32 v16, v27, v21, s38
	v_pk_add_f16 v13, v13, v16
	buffer_load_dword v16, off, s[40:43], 0 offset:12 ; 4-byte Folded Reload
	s_waitcnt vmcnt(1)
	v_pk_fma_f16 v17, v13, v33, v17
	v_pack_b32_f16 v13, v3, v4
	v_perm_b32 v3, v4, v3, s38
	v_pk_add_f16 v3, v13, v3
	buffer_load_dword v13, off, s[40:43], 0 offset:4 ; 4-byte Folded Reload
	v_perm_b32 v4, v6, v5, s38
	buffer_load_dword v20, off, s[40:43], 0 offset:56 ; 4-byte Folded Reload
	buffer_load_dword v19, off, s[40:43], 0 offset:48 ; 4-byte Folded Reload
	s_waitcnt vmcnt(3)
	v_pk_fma_f16 v16, v3, v33, v16
	v_pack_b32_f16 v3, v5, v6
	v_pk_add_f16 v3, v3, v4
	s_waitcnt vmcnt(2)
	v_pk_fma_f16 v13, v3, v33, v13
	buffer_load_dword v3, off, s[40:43], 0 offset:168 ; 4-byte Folded Reload
	s_waitcnt vmcnt(2)
	v_pk_fma_f16 v20, v1, v34, v20
	v_pack_b32_f16 v1, v40, v43
	v_pk_add_f16 v1, v1, v2
	v_perm_b32 v2, v45, v44, s38
	s_waitcnt vmcnt(0)
	v_pk_fma_f16 v3, v30, v11, v3
	v_pk_fma_f16 v3, v32, v12, v3
	buffer_load_dword v12, off, s[40:43], 0 offset:40 ; 4-byte Folded Reload
	buffer_load_dword v11, off, s[40:43], 0 offset:32 ; 4-byte Folded Reload
	v_pk_fma_f16 v3, v48, v9, v3
	v_pk_fma_f16 v3, v46, v10, v3
	buffer_load_dword v10, off, s[40:43], 0 offset:24 ; 4-byte Folded Reload
	buffer_load_dword v9, off, s[40:43], 0 offset:16 ; 4-byte Folded Reload
	v_pk_fma_f16 v19, v1, v34, v19
	v_pack_b32_f16 v1, v44, v45
	v_pk_add_f16 v1, v1, v2
	v_perm_b32 v2, v47, v41, s38
	v_pk_fma_f16 v3, v53, v7, v3
	v_pk_fma_f16 v3, v55, v8, v3
	s_waitcnt vmcnt(3)
	v_pk_fma_f16 v12, v1, v34, v12
	v_pack_b32_f16 v1, v41, v47
	v_pk_add_f16 v1, v1, v2
	s_waitcnt vmcnt(2)
	v_pk_fma_f16 v11, v1, v34, v11
	v_pack_b32_f16 v1, v51, v52
	v_perm_b32 v2, v52, v51, s38
	v_pk_add_f16 v1, v1, v2
	s_waitcnt vmcnt(1)
	v_pk_fma_f16 v10, v1, v34, v10
	v_pack_b32_f16 v1, v54, v60
	v_perm_b32 v2, v60, v54, s38
	;; [unrolled: 5-line block ×3, first 2 shown]
	buffer_load_dword v14, off, s[40:43], 0 offset:64 ; 4-byte Folded Reload
	buffer_load_dword v15, off, s[40:43], 0 offset:68 ; 4-byte Folded Reload
	;; [unrolled: 1-line block ×3, first 2 shown]
	buffer_load_dword v7, off, s[40:43], 0  ; 4-byte Folded Reload
	v_pk_add_f16 v1, v1, v2
	s_waitcnt vmcnt(3)
	v_add_co_u32_e64 v14, s[6:7], s33, v14
	s_waitcnt vmcnt(1)
	v_pk_fma_f16 v8, v1, v34, v8
	v_pack_b32_f16 v1, v3, v0
	v_perm_b32 v0, v0, v3, s38
	v_pk_add_f16 v0, v1, v0
	s_waitcnt vmcnt(0)
	v_pk_fma_f16 v7, v0, v34, v7
	v_mov_b32_e32 v0, s31
	v_addc_co_u32_e64 v15, s[6:7], v15, v0, s[6:7]
	s_cbranch_scc1 .LBB44_56
.LBB44_39:                              ; =>This Inner Loop Header: Depth=1
	s_cmp_lg_u32 s25, s30
	s_cbranch_scc1 .LBB44_38
; %bb.40:                               ;   in Loop: Header=BB44_39 Depth=1
	buffer_load_dword v0, off, s[40:43], 0 offset:308 ; 4-byte Folded Reload
	buffer_load_dword v1, off, s[40:43], 0 offset:312 ; 4-byte Folded Reload
	s_add_i32 s28, s28, 1
	s_mul_i32 s39, s28, s16
	s_ashr_i32 s6, s39, 31
	s_lshr_b32 s6, s6, 27
	s_add_i32 s6, s39, s6
	s_ashr_i32 s6, s6, 5
	v_mov_b32_e32 v2, s11
	s_waitcnt vmcnt(0)
	v_mad_u64_u32 v[0:1], s[6:7], s6, 3, v[0:1]
	v_ashrrev_i32_e32 v1, 31, v0
	v_lshlrev_b64 v[0:1], 2, v[0:1]
	v_add_co_u32_e64 v5, s[6:7], s10, v0
	v_addc_co_u32_e64 v6, s[6:7], v2, v1, s[6:7]
	global_load_dword v1, v[5:6], off
                                        ; implicit-def: $vgpr0
	s_and_saveexec_b64 s[6:7], vcc
	s_xor_b64 s[6:7], exec, s[6:7]
	s_cbranch_execz .LBB44_54
; %bb.41:                               ;   in Loop: Header=BB44_39 Depth=1
                                        ; implicit-def: $vgpr0
	s_and_saveexec_b64 s[18:19], s[0:1]
	s_xor_b64 s[18:19], exec, s[18:19]
	s_cbranch_execz .LBB44_51
; %bb.42:                               ;   in Loop: Header=BB44_39 Depth=1
                                        ; implicit-def: $vgpr0
	s_and_saveexec_b64 s[20:21], s[2:3]
	;; [unrolled: 5-line block ×3, first 2 shown]
	s_xor_b64 s[22:23], exec, s[22:23]
	s_cbranch_execz .LBB44_45
; %bb.44:                               ;   in Loop: Header=BB44_39 Depth=1
	buffer_load_dword v0, off, s[40:43], 0 offset:324 ; 4-byte Folded Reload
                                        ; implicit-def: $vgpr5_vgpr6
	s_waitcnt vmcnt(0)
	v_lshrrev_b32_e32 v0, v0, v1
                                        ; implicit-def: $vgpr1
.LBB44_45:                              ;   in Loop: Header=BB44_39 Depth=1
	s_andn2_saveexec_b64 s[22:23], s[22:23]
	s_cbranch_execz .LBB44_47
; %bb.46:                               ;   in Loop: Header=BB44_39 Depth=1
	global_load_dword v0, v[5:6], off offset:4
	s_waitcnt vmcnt(0)
	v_alignbit_b32 v0, v0, v1, 28
	v_and_b32_e32 v0, 0xfff, v0
.LBB44_47:                              ;   in Loop: Header=BB44_39 Depth=1
	s_or_b64 exec, exec, s[22:23]
                                        ; implicit-def: $vgpr1
.LBB44_48:                              ;   in Loop: Header=BB44_39 Depth=1
	s_andn2_saveexec_b64 s[20:21], s[20:21]
	s_cbranch_execz .LBB44_50
; %bb.49:                               ;   in Loop: Header=BB44_39 Depth=1
	buffer_load_dword v0, off, s[40:43], 0 offset:320 ; 4-byte Folded Reload
	s_waitcnt vmcnt(0)
	v_lshrrev_b32_e32 v0, v0, v1
.LBB44_50:                              ;   in Loop: Header=BB44_39 Depth=1
	s_or_b64 exec, exec, s[20:21]
                                        ; implicit-def: $vgpr5_vgpr6
                                        ; implicit-def: $vgpr1
.LBB44_51:                              ;   in Loop: Header=BB44_39 Depth=1
	s_andn2_saveexec_b64 s[18:19], s[18:19]
	s_cbranch_execz .LBB44_53
; %bb.52:                               ;   in Loop: Header=BB44_39 Depth=1
	global_load_dword v0, v[5:6], off offset:4
	s_waitcnt vmcnt(0)
	v_perm_b32 v0, v1, v0, s17
	v_and_b32_e32 v0, 0xfff, v0
.LBB44_53:                              ;   in Loop: Header=BB44_39 Depth=1
	s_or_b64 exec, exec, s[18:19]
                                        ; implicit-def: $vgpr1
.LBB44_54:                              ;   in Loop: Header=BB44_39 Depth=1
	s_andn2_saveexec_b64 s[6:7], s[6:7]
	s_cbranch_execz .LBB44_37
; %bb.55:                               ;   in Loop: Header=BB44_39 Depth=1
	buffer_load_dword v0, off, s[40:43], 0 offset:316 ; 4-byte Folded Reload
	s_waitcnt vmcnt(0)
	v_lshrrev_b32_e32 v0, v0, v1
	s_branch .LBB44_37
.LBB44_56:
	buffer_load_dword v0, off, s[40:43], 0 offset:300 ; 4-byte Folded Reload
	buffer_load_dword v1, off, s[40:43], 0 offset:304 ; 4-byte Folded Reload
	s_mul_i32 s24, s24, s16
	v_mov_b32_e32 v3, s15
	s_mov_b64 s[0:1], 0
	s_waitcnt vmcnt(1)
	v_add_u32_e32 v0, s24, v0
	s_waitcnt vmcnt(0)
	v_ashrrev_i32_e32 v1, 31, v0
	v_lshlrev_b64 v[1:2], 1, v[0:1]
	v_add_co_u32_e32 v1, vcc, s14, v1
	v_addc_co_u32_e32 v2, vcc, v3, v2, vcc
	global_load_dword v4, v[1:2], off
.LBB44_57:                              ; =>This Inner Loop Header: Depth=1
	s_waitcnt vmcnt(0)
	v_pk_add_f16 v3, v29, v4
	global_atomic_cmpswap v3, v[1:2], v[3:4], off glc
	s_waitcnt vmcnt(0)
	v_cmp_eq_u32_e32 vcc, v4, v3
	s_or_b64 s[0:1], vcc, s[0:1]
	v_mov_b32_e32 v4, v3
	s_andn2_b64 exec, exec, s[0:1]
	s_cbranch_execnz .LBB44_57
; %bb.58:
	s_or_b64 exec, exec, s[0:1]
	global_load_dword v4, v[1:2], off offset:4
	s_mov_b64 s[0:1], 0
.LBB44_59:                              ; =>This Inner Loop Header: Depth=1
	s_waitcnt vmcnt(0)
	v_pk_add_f16 v3, v20, v4
	global_atomic_cmpswap v3, v[1:2], v[3:4], off offset:4 glc
	s_waitcnt vmcnt(0)
	v_cmp_eq_u32_e32 vcc, v4, v3
	s_or_b64 s[0:1], vcc, s[0:1]
	v_mov_b32_e32 v4, v3
	s_andn2_b64 exec, exec, s[0:1]
	s_cbranch_execnz .LBB44_59
; %bb.60:
	s_or_b64 exec, exec, s[0:1]
	v_add_u32_e32 v0, s16, v0
	v_ashrrev_i32_e32 v1, 31, v0
	v_lshlrev_b64 v[1:2], 1, v[0:1]
	v_mov_b32_e32 v3, s15
	v_add_co_u32_e32 v1, vcc, s14, v1
	v_addc_co_u32_e32 v2, vcc, v3, v2, vcc
	global_load_dword v4, v[1:2], off
	s_mov_b64 s[0:1], 0
.LBB44_61:                              ; =>This Inner Loop Header: Depth=1
	s_waitcnt vmcnt(0)
	v_pk_add_f16 v3, v28, v4
	global_atomic_cmpswap v3, v[1:2], v[3:4], off glc
	s_waitcnt vmcnt(0)
	v_cmp_eq_u32_e32 vcc, v4, v3
	s_or_b64 s[0:1], vcc, s[0:1]
	v_mov_b32_e32 v4, v3
	s_andn2_b64 exec, exec, s[0:1]
	s_cbranch_execnz .LBB44_61
; %bb.62:
	s_or_b64 exec, exec, s[0:1]
	global_load_dword v4, v[1:2], off offset:4
	s_mov_b64 s[0:1], 0
.LBB44_63:                              ; =>This Inner Loop Header: Depth=1
	s_waitcnt vmcnt(0)
	v_pk_add_f16 v3, v19, v4
	global_atomic_cmpswap v3, v[1:2], v[3:4], off offset:4 glc
	s_waitcnt vmcnt(0)
	v_cmp_eq_u32_e32 vcc, v4, v3
	s_or_b64 s[0:1], vcc, s[0:1]
	v_mov_b32_e32 v4, v3
	s_andn2_b64 exec, exec, s[0:1]
	s_cbranch_execnz .LBB44_63
; %bb.64:
	s_or_b64 exec, exec, s[0:1]
	v_add_u32_e32 v0, s16, v0
	v_ashrrev_i32_e32 v1, 31, v0
	v_lshlrev_b64 v[1:2], 1, v[0:1]
	v_mov_b32_e32 v3, s15
	v_add_co_u32_e32 v1, vcc, s14, v1
	v_addc_co_u32_e32 v2, vcc, v3, v2, vcc
	global_load_dword v4, v[1:2], off
	s_mov_b64 s[0:1], 0
	;; [unrolled: 34-line block ×7, first 2 shown]
.LBB44_85:                              ; =>This Inner Loop Header: Depth=1
	s_waitcnt vmcnt(0)
	v_pk_add_f16 v2, v13, v3
	global_atomic_cmpswap v2, v[0:1], v[2:3], off glc
	s_waitcnt vmcnt(0)
	v_cmp_eq_u32_e32 vcc, v3, v2
	s_or_b64 s[0:1], vcc, s[0:1]
	v_mov_b32_e32 v3, v2
	s_andn2_b64 exec, exec, s[0:1]
	s_cbranch_execnz .LBB44_85
; %bb.86:
	s_or_b64 exec, exec, s[0:1]
	global_load_dword v3, v[0:1], off offset:4
	s_mov_b64 s[0:1], 0
.LBB44_87:                              ; =>This Inner Loop Header: Depth=1
	s_waitcnt vmcnt(0)
	v_pk_add_f16 v2, v7, v3
	global_atomic_cmpswap v2, v[0:1], v[2:3], off offset:4 glc
	s_waitcnt vmcnt(0)
	v_cmp_eq_u32_e32 vcc, v3, v2
	s_or_b64 s[0:1], vcc, s[0:1]
	v_mov_b32_e32 v3, v2
	s_andn2_b64 exec, exec, s[0:1]
	s_cbranch_execnz .LBB44_87
.LBB44_88:
	s_endpgm
	.section	.rodata,"a",@progbits
	.p2align	6, 0x0
	.amdhsa_kernel _ZN4vllm4gptq33gemm_half_q_half_gptq_3bit_kernelILb1ELi8EEEvPK6__halfPKjS6_S4_PS2_iiiibPKi
		.amdhsa_group_segment_fixed_size 2048
		.amdhsa_private_segment_fixed_size 332
		.amdhsa_kernarg_size 72
		.amdhsa_user_sgpr_count 6
		.amdhsa_user_sgpr_private_segment_buffer 1
		.amdhsa_user_sgpr_dispatch_ptr 0
		.amdhsa_user_sgpr_queue_ptr 0
		.amdhsa_user_sgpr_kernarg_segment_ptr 1
		.amdhsa_user_sgpr_dispatch_id 0
		.amdhsa_user_sgpr_flat_scratch_init 0
		.amdhsa_user_sgpr_private_segment_size 0
		.amdhsa_uses_dynamic_stack 0
		.amdhsa_system_sgpr_private_segment_wavefront_offset 1
		.amdhsa_system_sgpr_workgroup_id_x 1
		.amdhsa_system_sgpr_workgroup_id_y 1
		.amdhsa_system_sgpr_workgroup_id_z 1
		.amdhsa_system_sgpr_workgroup_info 0
		.amdhsa_system_vgpr_workitem_id 0
		.amdhsa_next_free_vgpr 64
		.amdhsa_next_free_sgpr 61
		.amdhsa_reserve_vcc 1
		.amdhsa_reserve_flat_scratch 0
		.amdhsa_float_round_mode_32 0
		.amdhsa_float_round_mode_16_64 0
		.amdhsa_float_denorm_mode_32 3
		.amdhsa_float_denorm_mode_16_64 3
		.amdhsa_dx10_clamp 1
		.amdhsa_ieee_mode 1
		.amdhsa_fp16_overflow 0
		.amdhsa_exception_fp_ieee_invalid_op 0
		.amdhsa_exception_fp_denorm_src 0
		.amdhsa_exception_fp_ieee_div_zero 0
		.amdhsa_exception_fp_ieee_overflow 0
		.amdhsa_exception_fp_ieee_underflow 0
		.amdhsa_exception_fp_ieee_inexact 0
		.amdhsa_exception_int_div_zero 0
	.end_amdhsa_kernel
	.section	.text._ZN4vllm4gptq33gemm_half_q_half_gptq_3bit_kernelILb1ELi8EEEvPK6__halfPKjS6_S4_PS2_iiiibPKi,"axG",@progbits,_ZN4vllm4gptq33gemm_half_q_half_gptq_3bit_kernelILb1ELi8EEEvPK6__halfPKjS6_S4_PS2_iiiibPKi,comdat
.Lfunc_end44:
	.size	_ZN4vllm4gptq33gemm_half_q_half_gptq_3bit_kernelILb1ELi8EEEvPK6__halfPKjS6_S4_PS2_iiiibPKi, .Lfunc_end44-_ZN4vllm4gptq33gemm_half_q_half_gptq_3bit_kernelILb1ELi8EEEvPK6__halfPKjS6_S4_PS2_iiiibPKi
                                        ; -- End function
	.set _ZN4vllm4gptq33gemm_half_q_half_gptq_3bit_kernelILb1ELi8EEEvPK6__halfPKjS6_S4_PS2_iiiibPKi.num_vgpr, 64
	.set _ZN4vllm4gptq33gemm_half_q_half_gptq_3bit_kernelILb1ELi8EEEvPK6__halfPKjS6_S4_PS2_iiiibPKi.num_agpr, 0
	.set _ZN4vllm4gptq33gemm_half_q_half_gptq_3bit_kernelILb1ELi8EEEvPK6__halfPKjS6_S4_PS2_iiiibPKi.numbered_sgpr, 44
	.set _ZN4vllm4gptq33gemm_half_q_half_gptq_3bit_kernelILb1ELi8EEEvPK6__halfPKjS6_S4_PS2_iiiibPKi.num_named_barrier, 0
	.set _ZN4vllm4gptq33gemm_half_q_half_gptq_3bit_kernelILb1ELi8EEEvPK6__halfPKjS6_S4_PS2_iiiibPKi.private_seg_size, 332
	.set _ZN4vllm4gptq33gemm_half_q_half_gptq_3bit_kernelILb1ELi8EEEvPK6__halfPKjS6_S4_PS2_iiiibPKi.uses_vcc, 1
	.set _ZN4vllm4gptq33gemm_half_q_half_gptq_3bit_kernelILb1ELi8EEEvPK6__halfPKjS6_S4_PS2_iiiibPKi.uses_flat_scratch, 0
	.set _ZN4vllm4gptq33gemm_half_q_half_gptq_3bit_kernelILb1ELi8EEEvPK6__halfPKjS6_S4_PS2_iiiibPKi.has_dyn_sized_stack, 0
	.set _ZN4vllm4gptq33gemm_half_q_half_gptq_3bit_kernelILb1ELi8EEEvPK6__halfPKjS6_S4_PS2_iiiibPKi.has_recursion, 0
	.set _ZN4vllm4gptq33gemm_half_q_half_gptq_3bit_kernelILb1ELi8EEEvPK6__halfPKjS6_S4_PS2_iiiibPKi.has_indirect_call, 0
	.section	.AMDGPU.csdata,"",@progbits
; Kernel info:
; codeLenInByte = 13624
; TotalNumSgprs: 48
; NumVgprs: 64
; ScratchSize: 332
; MemoryBound: 0
; FloatMode: 240
; IeeeMode: 1
; LDSByteSize: 2048 bytes/workgroup (compile time only)
; SGPRBlocks: 8
; VGPRBlocks: 15
; NumSGPRsForWavesPerEU: 65
; NumVGPRsForWavesPerEU: 64
; Occupancy: 4
; WaveLimiterHint : 0
; COMPUTE_PGM_RSRC2:SCRATCH_EN: 1
; COMPUTE_PGM_RSRC2:USER_SGPR: 6
; COMPUTE_PGM_RSRC2:TRAP_HANDLER: 0
; COMPUTE_PGM_RSRC2:TGID_X_EN: 1
; COMPUTE_PGM_RSRC2:TGID_Y_EN: 1
; COMPUTE_PGM_RSRC2:TGID_Z_EN: 1
; COMPUTE_PGM_RSRC2:TIDIG_COMP_CNT: 0
	.section	.text._ZN4vllm4gptq33gemm_half_q_half_gptq_4bit_kernelILb1ELi8EEEvPK6__halfPKjS6_S4_PS2_iiiibPKi,"axG",@progbits,_ZN4vllm4gptq33gemm_half_q_half_gptq_4bit_kernelILb1ELi8EEEvPK6__halfPKjS6_S4_PS2_iiiibPKi,comdat
	.protected	_ZN4vllm4gptq33gemm_half_q_half_gptq_4bit_kernelILb1ELi8EEEvPK6__halfPKjS6_S4_PS2_iiiibPKi ; -- Begin function _ZN4vllm4gptq33gemm_half_q_half_gptq_4bit_kernelILb1ELi8EEEvPK6__halfPKjS6_S4_PS2_iiiibPKi
	.globl	_ZN4vllm4gptq33gemm_half_q_half_gptq_4bit_kernelILb1ELi8EEEvPK6__halfPKjS6_S4_PS2_iiiibPKi
	.p2align	8
	.type	_ZN4vllm4gptq33gemm_half_q_half_gptq_4bit_kernelILb1ELi8EEEvPK6__halfPKjS6_S4_PS2_iiiibPKi,@function
_ZN4vllm4gptq33gemm_half_q_half_gptq_4bit_kernelILb1ELi8EEEvPK6__halfPKjS6_S4_PS2_iiiibPKi: ; @_ZN4vllm4gptq33gemm_half_q_half_gptq_4bit_kernelILb1ELi8EEEvPK6__halfPKjS6_S4_PS2_iiiibPKi
; %bb.0:
	s_mov_b64 s[30:31], s[2:3]
	s_load_dwordx4 s[16:19], s[4:5], 0x2c
	s_mov_b64 s[28:29], s[0:1]
	s_add_u32 s28, s28, s9
	s_addc_u32 s29, s29, 0
	s_lshl_b32 s24, s8, 7
	s_add_i32 s0, s24, 0x80
	v_cvt_f64_u32_e32 v[1:2], s0
	s_waitcnt lgkmcnt(0)
	v_cvt_f64_i32_e32 v[3:4], s17
	s_load_dwordx8 s[8:15], s[4:5], 0x8
	s_lshl_b32 s7, s7, 3
	v_min_f64 v[1:2], v[1:2], v[3:4]
	v_cvt_i32_f64_e32 v2, v[1:2]
	v_add_u32_e32 v1, s24, v0
	v_readfirstlane_b32 s25, v2
	v_cmp_lt_u32_e32 vcc, v1, v2
	s_and_saveexec_b64 s[2:3], vcc
	s_cbranch_execz .LBB45_18
; %bb.1:
	s_load_dwordx2 s[0:1], s[4:5], 0x40
	s_load_dwordx2 s[20:21], s[4:5], 0x0
	v_mov_b32_e32 v2, 0
	v_lshlrev_b64 v[3:4], 2, v[1:2]
	s_waitcnt lgkmcnt(0)
	v_mov_b32_e32 v5, s1
	v_add_co_u32_e32 v3, vcc, s0, v3
	s_cmp_lg_u64 s[0:1], 0
	v_addc_co_u32_e32 v4, vcc, v5, v4, vcc
	v_mov_b32_e32 v6, v2
	s_cselect_b64 s[4:5], -1, 0
	s_cmp_eq_u64 s[0:1], 0
	v_mov_b32_e32 v5, v1
	s_cbranch_scc1 .LBB45_3
; %bb.2:
	global_load_dword v5, v[3:4], off
	s_waitcnt vmcnt(0)
	v_ashrrev_i32_e32 v6, 31, v5
.LBB45_3:
	s_mul_i32 s22, s7, s17
	s_ashr_i32 s23, s22, 31
	s_lshl_b64 s[0:1], s[22:23], 1
	s_add_u32 s0, s20, s0
	v_lshlrev_b64 v[5:6], 1, v[5:6]
	s_addc_u32 s1, s21, s1
	v_mov_b32_e32 v7, s1
	v_add_co_u32_e32 v5, vcc, s0, v5
	v_addc_co_u32_e32 v6, vcc, v7, v6, vcc
	global_load_ushort v5, v[5:6], off
	v_lshlrev_b32_e32 v7, 1, v0
	v_cndmask_b32_e64 v6, 0, 1, s[4:5]
	v_cmp_ne_u32_e64 s[0:1], 1, v6
	s_andn2_b64 vcc, exec, s[4:5]
	s_waitcnt vmcnt(0)
	ds_write_b16 v7, v5
	v_mov_b32_e32 v6, v2
	v_mov_b32_e32 v5, v1
	s_cbranch_vccnz .LBB45_5
; %bb.4:
	global_load_dword v5, v[3:4], off
	s_waitcnt vmcnt(0)
	v_ashrrev_i32_e32 v6, 31, v5
.LBB45_5:
	s_add_i32 s4, s22, s17
	s_ashr_i32 s5, s4, 31
	s_lshl_b64 s[22:23], s[4:5], 1
	s_add_u32 s5, s20, s22
	v_lshlrev_b64 v[5:6], 1, v[5:6]
	s_addc_u32 s22, s21, s23
	v_mov_b32_e32 v8, s22
	v_add_co_u32_e32 v5, vcc, s5, v5
	v_addc_co_u32_e32 v6, vcc, v8, v6, vcc
	global_load_ushort v5, v[5:6], off
	s_and_b64 vcc, exec, s[0:1]
	s_waitcnt vmcnt(0)
	ds_write_b16 v7, v5 offset:256
	v_mov_b32_e32 v6, v2
	v_mov_b32_e32 v5, v1
	s_cbranch_vccnz .LBB45_7
; %bb.6:
	global_load_dword v5, v[3:4], off
	s_waitcnt vmcnt(0)
	v_ashrrev_i32_e32 v6, 31, v5
.LBB45_7:
	s_add_i32 s4, s4, s17
	s_ashr_i32 s5, s4, 31
	s_lshl_b64 s[22:23], s[4:5], 1
	s_add_u32 s5, s20, s22
	v_lshlrev_b64 v[5:6], 1, v[5:6]
	s_addc_u32 s22, s21, s23
	v_mov_b32_e32 v8, s22
	v_add_co_u32_e32 v5, vcc, s5, v5
	v_addc_co_u32_e32 v6, vcc, v8, v6, vcc
	global_load_ushort v5, v[5:6], off
	s_and_b64 vcc, exec, s[0:1]
	s_waitcnt vmcnt(0)
	ds_write_b16 v7, v5 offset:512
	;; [unrolled: 21-line block ×6, first 2 shown]
	s_cbranch_vccnz .LBB45_17
; %bb.16:
	global_load_dword v1, v[3:4], off
	s_waitcnt vmcnt(0)
	v_ashrrev_i32_e32 v2, 31, v1
.LBB45_17:
	s_add_i32 s0, s4, s17
	s_ashr_i32 s1, s0, 31
	s_lshl_b64 s[0:1], s[0:1], 1
	s_add_u32 s0, s20, s0
	v_lshlrev_b64 v[1:2], 1, v[1:2]
	s_addc_u32 s1, s21, s1
	v_mov_b32_e32 v3, s1
	v_add_co_u32_e32 v1, vcc, s0, v1
	v_addc_co_u32_e32 v2, vcc, v3, v2, vcc
	global_load_ushort v1, v[1:2], off
	s_waitcnt vmcnt(0)
	ds_write_b16 v7, v1 offset:1792
.LBB45_18:
	s_or_b64 exec, exec, s[2:3]
	v_lshlrev_b32_e32 v1, 2, v0
	v_lshl_add_u32 v2, s6, 9, v1
	v_mov_b32_e32 v1, v2
	buffer_store_dword v1, off, s[28:31], 0 offset:64 ; 4-byte Folded Spill
	s_nop 0
	buffer_store_dword v2, off, s[28:31], 0 offset:68 ; 4-byte Folded Spill
	v_cmp_gt_i32_e32 vcc, s16, v2
	s_and_saveexec_b64 s[0:1], vcc
	s_cbranch_execz .LBB45_57
; %bb.19:
	s_abs_i32 s0, s18
	v_cvt_f32_u32_e32 v1, s0
	v_mov_b32_e32 v5, 0
	v_mov_b32_e32 v6, 0
	;; [unrolled: 1-line block ×3, first 2 shown]
	v_rcp_iflag_f32_e32 v1, v1
	v_mov_b32_e32 v8, 0
	v_mov_b32_e32 v9, 0
	s_cmp_ge_i32 s24, s25
	v_mul_f32_e32 v1, 0x4f7ffffe, v1
	v_cvt_u32_f32_e32 v1, v1
	v_mov_b32_e32 v10, 0
	v_mov_b32_e32 v11, 0
	;; [unrolled: 1-line block ×3, first 2 shown]
	v_readfirstlane_b32 s1, v1
	v_mov_b32_e32 v13, 0
	v_mov_b32_e32 v14, 0
	;; [unrolled: 1-line block ×24, first 2 shown]
	s_waitcnt vmcnt(0) lgkmcnt(0)
	s_barrier
	s_cbranch_scc1 .LBB45_25
; %bb.20:
	buffer_load_dword v6, off, s[28:31], 0 offset:64 ; 4-byte Folded Reload
	buffer_load_dword v7, off, s[28:31], 0 offset:68 ; 4-byte Folded Reload
	s_sub_i32 s5, 0, s0
	s_mul_i32 s5, s5, s1
	s_mul_hi_u32 s5, s1, s5
	s_abs_i32 s4, s17
	s_add_i32 s1, s1, s5
	s_ashr_i32 s2, s17, 31
	s_ashr_i32 s3, s18, 31
	s_mul_hi_u32 s1, s4, s1
	s_xor_b32 s2, s2, s3
	s_mul_i32 s3, s1, s0
	s_sub_i32 s3, s4, s3
	s_add_i32 s4, s1, 1
	s_sub_i32 s5, s3, s0
	s_cmp_ge_u32 s3, s0
	s_cselect_b32 s1, s4, s1
	s_cselect_b32 s3, s5, s3
	s_add_i32 s4, s1, 1
	s_cmp_ge_u32 s3, s0
	s_cselect_b32 s0, s4, s1
	s_xor_b32 s0, s0, s2
	s_sub_i32 s4, s0, s2
	v_cvt_f32_u32_e32 v1, s4
	s_bitcmp1_b32 s19, 0
	s_cselect_b64 s[0:1], -1, 0
	s_sub_i32 s2, 0, s4
	v_rcp_iflag_f32_e32 v1, v1
	s_xor_b64 s[0:1], s[0:1], -1
	v_mov_b32_e32 v3, s13
	v_mov_b32_e32 v5, s11
	v_mul_f32_e32 v1, 0x4f7ffffe, v1
	v_cvt_u32_f32_e32 v1, v1
	v_lshlrev_b32_e32 v0, 4, v0
	v_and_b32_e32 v9, 16, v0
	s_mov_b32 s18, 0x10001
	v_readfirstlane_b32 s3, v1
	s_mul_i32 s2, s2, s3
	s_mul_hi_u32 s2, s3, s2
	s_add_i32 s3, s3, s2
	s_mul_hi_u32 s2, s24, s3
	s_mul_i32 s3, s2, s4
	s_sub_i32 s3, s24, s3
	s_add_i32 s5, s2, 1
	s_sub_i32 s6, s3, s4
	s_cmp_ge_u32 s3, s4
	s_cselect_b32 s2, s5, s2
	s_cselect_b32 s3, s6, s3
	s_add_i32 s5, s2, 1
	s_cmp_ge_u32 s3, s4
	s_cselect_b32 s5, s5, s2
	s_mul_i32 s2, s5, s16
	s_ashr_i32 s3, s2, 31
	s_lshr_b32 s3, s3, 29
	v_mov_b32_e32 v8, 0xe400e400
	s_mov_b32 s6, 0
	s_movk_i32 s19, 0x2c00
	v_mov_b32_e32 v13, 0
	v_mov_b32_e32 v14, 0
	;; [unrolled: 1-line block ×23, first 2 shown]
	s_waitcnt vmcnt(0)
	v_ashrrev_i32_e32 v7, 31, v6
	v_lshrrev_b32_e32 v2, 29, v7
	v_add_u32_e32 v2, v6, v2
	v_add_u32_e32 v1, s2, v6
	v_ashrrev_i32_e32 v4, 3, v2
	v_ashrrev_i32_e32 v2, 31, v1
	v_lshlrev_b64 v[1:2], 1, v[1:2]
	s_add_i32 s2, s2, s3
	v_add_co_u32_e32 v1, vcc, s12, v1
	s_ashr_i32 s2, s2, 3
	v_addc_co_u32_e32 v2, vcc, v3, v2, vcc
	v_add_u32_e32 v3, s2, v4
	buffer_store_dword v4, off, s[28:31], 0 offset:72 ; 4-byte Folded Spill
	v_ashrrev_i32_e32 v4, 31, v3
	v_lshlrev_b64 v[3:4], 2, v[3:4]
	global_load_dwordx2 v[1:2], v[1:2], off
	v_add_co_u32_e32 v3, vcc, s10, v3
	v_addc_co_u32_e32 v4, vcc, v5, v4, vcc
	global_load_dword v3, v[3:4], off
	v_mov_b32_e32 v4, 0
	buffer_store_dword v4, off, s[28:31], 0 offset:12 ; 4-byte Folded Spill
	v_mov_b32_e32 v4, 0
	buffer_store_dword v4, off, s[28:31], 0 offset:48 ; 4-byte Folded Spill
	;; [unrolled: 2-line block ×4, first 2 shown]
	s_nop 0
	buffer_store_dword v5, off, s[28:31], 0 offset:68 ; 4-byte Folded Spill
	v_lshlrev_b64 v[5:6], 2, v[6:7]
	v_cndmask_b32_e64 v7, 0, 1, s[0:1]
	s_lshr_b32 s0, s24, 3
	s_mul_i32 s0, s16, s0
	s_ashr_i32 s1, s0, 31
	s_lshl_b64 s[0:1], s[0:1], 2
	s_add_u32 s20, s8, s0
	s_addc_u32 s0, s9, s1
	v_mov_b32_e32 v4, s0
	v_add_co_u32_e32 v5, vcc, s20, v5
	v_addc_co_u32_e32 v6, vcc, v4, v6, vcc
	s_ashr_i32 s17, s16, 31
	s_add_i32 s8, s4, s24
	s_lshl_b64 s[0:1], s[16:17], 4
	s_lshl_b64 s[2:3], s[16:17], 2
	v_mov_b32_e32 v39, 0
	v_mov_b32_e32 v40, 0
	;; [unrolled: 1-line block ×6, first 2 shown]
	buffer_store_dword v9, off, s[28:31], 0 offset:76 ; 4-byte Folded Spill
	buffer_store_dword v7, off, s[28:31], 0 offset:80 ; 4-byte Folded Spill
	s_waitcnt vmcnt(8)
	v_cvt_f32_f16_sdwa v45, v2 dst_sel:DWORD dst_unused:UNUSED_PAD src0_sel:WORD_1
	v_cvt_f32_f16_e32 v46, v2
	v_cvt_f32_f16_sdwa v47, v1 dst_sel:DWORD dst_unused:UNUSED_PAD src0_sel:WORD_1
	v_cvt_f32_f16_e32 v48, v1
	s_waitcnt vmcnt(7)
	v_lshrrev_b32_e32 v0, v0, v3
	v_bfe_u32 v1, v3, v9, 4
	v_bfe_u32 v2, v0, 12, 4
	;; [unrolled: 1-line block ×4, first 2 shown]
	v_add_u32_e32 v1, v1, v7
	v_add_u32_e32 v2, v2, v7
	;; [unrolled: 1-line block ×4, first 2 shown]
	v_cvt_f32_ubyte0_e32 v4, v1
	v_mad_u32_u24 v54, v1, s18, v8
	v_cvt_f32_ubyte0_e32 v1, v2
	v_mad_u32_u24 v57, v2, s18, v8
	;; [unrolled: 2-line block ×3, first 2 shown]
	buffer_store_dword v3, off, s[28:31], 0 offset:4 ; 4-byte Folded Spill
	v_cvt_f32_ubyte0_e32 v3, v0
	v_mad_u32_u24 v0, v0, s18, v8
	buffer_store_dword v0, off, s[28:31], 0 offset:8 ; 4-byte Folded Spill
	v_cvt_f16_f32_e32 v0, v4
	v_cvt_f16_f32_e32 v1, v1
	;; [unrolled: 1-line block ×4, first 2 shown]
	v_sub_f16_e32 v0, 0xd400, v0
	v_sub_f16_e32 v1, 0xd400, v1
	;; [unrolled: 1-line block ×4, first 2 shown]
	v_mul_u32_u24_e32 v23, 0x10001, v0
	v_mul_u32_u24_e32 v24, 0x10001, v1
	;; [unrolled: 1-line block ×4, first 2 shown]
	s_cmp_lg_u32 s24, s8
	s_cbranch_scc1 .LBB45_22
.LBB45_21:
	buffer_load_dword v0, off, s[28:31], 0 offset:72 ; 4-byte Folded Reload
	buffer_load_dword v2, off, s[28:31], 0 offset:64 ; 4-byte Folded Reload
	;; [unrolled: 1-line block ×3, first 2 shown]
	s_add_i32 s5, s5, 1
	s_mul_i32 s9, s5, s16
	v_mov_b32_e32 v7, s13
	s_ashr_i32 s17, s9, 31
	s_lshr_b32 s17, s17, 29
	s_add_i32 s17, s9, s17
	s_ashr_i32 s17, s17, 3
	v_mov_b32_e32 v4, s11
	s_add_i32 s8, s8, s4
	buffer_load_dword v8, off, s[28:31], 0 offset:80 ; 4-byte Folded Reload
	s_waitcnt vmcnt(2)
	v_add_u32_e32 v2, s9, v2
	s_waitcnt vmcnt(1)
	v_ashrrev_i32_e32 v3, 31, v2
	v_lshlrev_b64 v[2:3], 1, v[2:3]
	v_add_u32_e32 v0, s17, v0
	v_add_co_u32_e32 v2, vcc, s12, v2
	v_addc_co_u32_e32 v3, vcc, v7, v3, vcc
	global_load_dwordx2 v[2:3], v[2:3], off
	v_ashrrev_i32_e32 v1, 31, v0
	v_lshlrev_b64 v[0:1], 2, v[0:1]
	v_mov_b32_e32 v7, 0xe400e400
	v_add_co_u32_e32 v0, vcc, s10, v0
	v_addc_co_u32_e32 v1, vcc, v4, v1, vcc
	global_load_dword v0, v[0:1], off
	s_waitcnt vmcnt(1)
	v_cvt_f32_f16_e32 v48, v2
	v_cvt_f32_f16_sdwa v47, v2 dst_sel:DWORD dst_unused:UNUSED_PAD src0_sel:WORD_1
	buffer_load_dword v2, off, s[28:31], 0 offset:76 ; 4-byte Folded Reload
	v_cvt_f32_f16_e32 v46, v3
	v_cvt_f32_f16_sdwa v45, v3 dst_sel:DWORD dst_unused:UNUSED_PAD src0_sel:WORD_1
	s_waitcnt vmcnt(0)
	v_lshrrev_b32_e32 v1, v2, v0
	v_bfe_u32 v0, v0, v2, 4
	v_bfe_u32 v2, v1, 4, 4
	v_add_u32_e32 v0, v0, v8
	v_bfe_u32 v3, v1, 8, 4
	v_cvt_f32_ubyte0_e32 v4, v0
	v_mad_u32_u24 v54, v0, s18, v7
	v_add_u32_e32 v0, v2, v8
	v_bfe_u32 v1, v1, 12, 4
	v_add_u32_e32 v2, v3, v8
	v_cvt_f16_f32_e32 v3, v4
	v_cvt_f32_ubyte0_e32 v4, v0
	v_mad_u32_u24 v0, v0, s18, v7
	v_add_u32_e32 v1, v1, v8
	buffer_store_dword v0, off, s[28:31], 0 offset:8 ; 4-byte Folded Spill
	v_cvt_f32_ubyte0_e32 v0, v2
	v_mad_u32_u24 v2, v2, s18, v7
	buffer_store_dword v2, off, s[28:31], 0 offset:4 ; 4-byte Folded Spill
	v_cvt_f32_ubyte0_e32 v2, v1
	v_mad_u32_u24 v57, v1, s18, v7
	v_cvt_f16_f32_e32 v1, v4
	v_cvt_f16_f32_e32 v0, v0
	;; [unrolled: 1-line block ×3, first 2 shown]
	v_sub_f16_e32 v3, 0xd400, v3
	v_sub_f16_e32 v1, 0xd400, v1
	;; [unrolled: 1-line block ×4, first 2 shown]
	v_mul_u32_u24_e32 v23, 0x10001, v3
	v_mul_u32_u24_e32 v27, 0x10001, v1
	;; [unrolled: 1-line block ×4, first 2 shown]
.LBB45_22:                              ; =>This Inner Loop Header: Depth=1
	global_load_dwordx4 v[0:3], v[5:6], off
	buffer_load_dword v55, off, s[28:31], 0 offset:4 ; 4-byte Folded Reload
	v_mov_b32_e32 v63, s6
	buffer_store_dword v54, off, s[28:31], 0 ; 4-byte Folded Spill
	buffer_store_dword v5, off, s[28:31], 0 offset:16 ; 4-byte Folded Spill
	s_nop 0
	buffer_store_dword v6, off, s[28:31], 0 offset:20 ; 4-byte Folded Spill
	buffer_load_dword v5, off, s[28:31], 0 offset:8 ; 4-byte Folded Reload
	ds_read2_b32 v[58:59], v63 offset1:1
	ds_read2_b32 v[60:61], v63 offset0:2 offset1:3
	buffer_load_dword v6, off, s[28:31], 0 offset:12 ; 4-byte Folded Reload
	s_add_i32 s9, s6, 0x400
	s_add_i32 s24, s24, 32
	s_waitcnt vmcnt(6)
	v_and_b32_e32 v4, 0xf000f, v0
	v_and_b32_e32 v7, 0xf000f0, v0
	v_lshrrev_b32_e32 v0, 8, v0
	v_and_b32_e32 v8, 0xf000f, v0
	v_and_b32_e32 v0, 0xf000f0, v0
	v_or_b32_e32 v4, 0x64006400, v4
	v_or_b32_e32 v9, 0x64006400, v8
	;; [unrolled: 1-line block ×3, first 2 shown]
	v_pk_add_f16 v8, v54, v4
	v_pk_add_f16 v0, v54, v9
	v_pk_fma_f16 v4, v10, s19, v23 op_sel_hi:[1,0,1]
	v_and_b32_e32 v9, 0xf000f, v1
	v_and_b32_e32 v10, 0xf000f0, v1
	v_lshrrev_b32_e32 v1, 8, v1
	v_and_b32_e32 v25, 0xf000f, v1
	v_and_b32_e32 v1, 0xf000f0, v1
	v_or_b32_e32 v9, 0x64006400, v9
	v_or_b32_e32 v10, 0x64006400, v10
	;; [unrolled: 1-line block ×4, first 2 shown]
	s_waitcnt vmcnt(1)
	v_pk_add_f16 v1, v5, v9
	v_pk_fma_f16 v9, v10, s19, v27 op_sel_hi:[1,0,1]
	v_pk_add_f16 v10, v5, v25
	v_pk_fma_f16 v25, v26, s19, v27 op_sel_hi:[1,0,1]
	v_and_b32_e32 v26, 0xf000f, v2
	v_and_b32_e32 v49, 0xf000f0, v2
	v_lshrrev_b32_e32 v2, 8, v2
	v_and_b32_e32 v50, 0xf000f, v2
	v_and_b32_e32 v2, 0xf000f0, v2
	v_or_b32_e32 v26, 0x64006400, v26
	v_or_b32_e32 v49, 0x64006400, v49
	;; [unrolled: 1-line block ×4, first 2 shown]
	v_pk_add_f16 v2, v55, v26
	v_pk_fma_f16 v26, v49, s19, v28 op_sel_hi:[1,0,1]
	v_pk_add_f16 v49, v55, v50
	v_pk_fma_f16 v50, v51, s19, v28 op_sel_hi:[1,0,1]
	v_and_b32_e32 v51, 0xf000f, v3
	v_and_b32_e32 v52, 0xf000f0, v3
	v_lshrrev_b32_e32 v3, 8, v3
	v_and_b32_e32 v53, 0xf000f, v3
	v_and_b32_e32 v3, 0xf000f0, v3
	v_or_b32_e32 v7, 0x64006400, v7
	v_or_b32_e32 v51, 0x64006400, v51
	;; [unrolled: 1-line block ×5, first 2 shown]
	v_pk_fma_f16 v7, v7, s19, v23 op_sel_hi:[1,0,1]
	v_pk_add_f16 v3, v57, v51
	v_pk_fma_f16 v51, v52, s19, v24 op_sel_hi:[1,0,1]
	v_pk_add_f16 v52, v57, v53
	v_pk_fma_f16 v53, v54, s19, v24 op_sel_hi:[1,0,1]
	s_waitcnt lgkmcnt(1)
	v_pk_fma_f16 v54, v8, v58, 0
	v_pk_fma_f16 v54, v7, v59, v54
	s_waitcnt lgkmcnt(0)
	v_pk_fma_f16 v54, v0, v60, v54
	v_pk_fma_f16 v54, v4, v61, v54
	v_cvt_f32_f16_e32 v62, v54
	v_cvt_f32_f16_sdwa v54, v54 dst_sel:DWORD dst_unused:UNUSED_PAD src0_sel:WORD_1
	v_add_f32_e32 v54, v62, v54
	s_waitcnt vmcnt(0)
	v_fmac_f32_e32 v6, v54, v48
	v_pk_fma_f16 v54, v1, v58, 0
	v_pk_fma_f16 v54, v9, v59, v54
	;; [unrolled: 1-line block ×4, first 2 shown]
	v_cvt_f32_f16_e32 v62, v54
	v_cvt_f32_f16_sdwa v54, v54 dst_sel:DWORD dst_unused:UNUSED_PAD src0_sel:WORD_1
	v_add_f32_e32 v54, v62, v54
	v_fmac_f32_e32 v13, v54, v47
	v_pk_fma_f16 v54, v2, v58, 0
	v_pk_fma_f16 v54, v26, v59, v54
	;; [unrolled: 1-line block ×4, first 2 shown]
	v_cvt_f32_f16_e32 v62, v54
	v_cvt_f32_f16_sdwa v54, v54 dst_sel:DWORD dst_unused:UNUSED_PAD src0_sel:WORD_1
	buffer_store_dword v13, off, s[28:31], 0 offset:52 ; 4-byte Folded Spill
	v_mov_b32_e32 v13, v12
	v_mov_b32_e32 v12, v11
	v_add_f32_e32 v54, v62, v54
	v_fmac_f32_e32 v14, v54, v46
	v_pk_fma_f16 v54, v3, v58, 0
	v_pk_fma_f16 v54, v51, v59, v54
	;; [unrolled: 1-line block ×4, first 2 shown]
	v_cvt_f32_f16_e32 v58, v54
	v_cvt_f32_f16_sdwa v54, v54 dst_sel:DWORD dst_unused:UNUSED_PAD src0_sel:WORD_1
	ds_read2_b32 v[60:61], v63 offset0:66 offset1:67
	v_mov_b32_e32 v11, v56
	v_add_f32_e32 v54, v58, v54
	ds_read2_b32 v[58:59], v63 offset0:64 offset1:65
	v_fmac_f32_e32 v15, v54, v45
	buffer_store_dword v15, off, s[28:31], 0 offset:60 ; 4-byte Folded Spill
	v_mov_b32_e32 v15, v18
	v_mov_b32_e32 v18, v20
	s_waitcnt lgkmcnt(0)
	v_pk_fma_f16 v54, v8, v58, 0
	v_pk_fma_f16 v54, v7, v59, v54
	;; [unrolled: 1-line block ×4, first 2 shown]
	v_cvt_f32_f16_e32 v62, v54
	v_cvt_f32_f16_sdwa v54, v54 dst_sel:DWORD dst_unused:UNUSED_PAD src0_sel:WORD_1
	buffer_load_dword v20, off, s[28:31], 0 offset:48 ; 4-byte Folded Reload
	v_add_f32_e32 v54, v62, v54
	v_fmac_f32_e32 v16, v54, v48
	v_pk_fma_f16 v54, v1, v58, 0
	v_pk_fma_f16 v54, v9, v59, v54
	;; [unrolled: 1-line block ×4, first 2 shown]
	v_cvt_f32_f16_e32 v62, v54
	v_cvt_f32_f16_sdwa v54, v54 dst_sel:DWORD dst_unused:UNUSED_PAD src0_sel:WORD_1
	v_add_f32_e32 v54, v62, v54
	v_fmac_f32_e32 v17, v54, v47
	buffer_store_dword v17, off, s[28:31], 0 offset:56 ; 4-byte Folded Spill
	v_mov_b32_e32 v17, v19
	v_mov_b32_e32 v19, v21
	buffer_load_dword v21, off, s[28:31], 0 offset:44 ; 4-byte Folded Reload
	v_pk_fma_f16 v54, v2, v58, 0
	v_pk_fma_f16 v54, v26, v59, v54
	;; [unrolled: 1-line block ×4, first 2 shown]
	v_cvt_f32_f16_e32 v62, v54
	v_cvt_f32_f16_sdwa v54, v54 dst_sel:DWORD dst_unused:UNUSED_PAD src0_sel:WORD_1
	v_add_f32_e32 v54, v62, v54
	v_fmac_f32_e32 v15, v54, v46
	v_pk_fma_f16 v54, v3, v58, 0
	v_pk_fma_f16 v54, v51, v59, v54
	;; [unrolled: 1-line block ×4, first 2 shown]
	v_cvt_f32_f16_e32 v58, v54
	v_cvt_f32_f16_sdwa v54, v54 dst_sel:DWORD dst_unused:UNUSED_PAD src0_sel:WORD_1
	ds_read2_b32 v[60:61], v63 offset0:130 offset1:131
	v_add_f32_e32 v54, v58, v54
	ds_read2_b32 v[58:59], v63 offset0:128 offset1:129
	v_fmac_f32_e32 v17, v54, v45
	s_waitcnt lgkmcnt(0)
	v_pk_fma_f16 v54, v8, v58, 0
	v_pk_fma_f16 v54, v7, v59, v54
	;; [unrolled: 1-line block ×4, first 2 shown]
	v_cvt_f32_f16_e32 v62, v54
	v_cvt_f32_f16_sdwa v54, v54 dst_sel:DWORD dst_unused:UNUSED_PAD src0_sel:WORD_1
	v_add_f32_e32 v54, v62, v54
	v_fmac_f32_e32 v18, v54, v48
	v_pk_fma_f16 v54, v1, v58, 0
	v_pk_fma_f16 v54, v9, v59, v54
	;; [unrolled: 1-line block ×4, first 2 shown]
	v_cvt_f32_f16_e32 v62, v54
	v_cvt_f32_f16_sdwa v54, v54 dst_sel:DWORD dst_unused:UNUSED_PAD src0_sel:WORD_1
	v_add_f32_e32 v54, v62, v54
	v_fmac_f32_e32 v19, v54, v47
	v_pk_fma_f16 v54, v2, v58, 0
	v_pk_fma_f16 v54, v26, v59, v54
	;; [unrolled: 1-line block ×4, first 2 shown]
	v_cvt_f32_f16_e32 v62, v54
	v_cvt_f32_f16_sdwa v54, v54 dst_sel:DWORD dst_unused:UNUSED_PAD src0_sel:WORD_1
	v_add_f32_e32 v54, v62, v54
	s_waitcnt vmcnt(2)
	v_fmac_f32_e32 v20, v54, v46
	v_pk_fma_f16 v54, v3, v58, 0
	v_pk_fma_f16 v54, v51, v59, v54
	;; [unrolled: 1-line block ×4, first 2 shown]
	v_cvt_f32_f16_e32 v58, v54
	v_cvt_f32_f16_sdwa v54, v54 dst_sel:DWORD dst_unused:UNUSED_PAD src0_sel:WORD_1
	ds_read2_b32 v[60:61], v63 offset0:194 offset1:195
	v_add_f32_e32 v54, v58, v54
	ds_read2_b32 v[58:59], v63 offset0:192 offset1:193
	s_waitcnt vmcnt(0)
	v_fmac_f32_e32 v21, v54, v45
	s_waitcnt lgkmcnt(0)
	v_pk_fma_f16 v54, v8, v58, 0
	v_pk_fma_f16 v54, v7, v59, v54
	v_pk_fma_f16 v54, v0, v60, v54
	v_pk_fma_f16 v54, v4, v61, v54
	v_cvt_f32_f16_e32 v62, v54
	v_cvt_f32_f16_sdwa v54, v54 dst_sel:DWORD dst_unused:UNUSED_PAD src0_sel:WORD_1
	v_add_f32_e32 v54, v62, v54
	v_fmac_f32_e32 v22, v54, v48
	v_pk_fma_f16 v54, v1, v58, 0
	v_pk_fma_f16 v54, v9, v59, v54
	v_pk_fma_f16 v54, v10, v60, v54
	v_pk_fma_f16 v54, v25, v61, v54
	v_cvt_f32_f16_e32 v62, v54
	v_cvt_f32_f16_sdwa v54, v54 dst_sel:DWORD dst_unused:UNUSED_PAD src0_sel:WORD_1
	v_add_f32_e32 v54, v62, v54
	v_fmac_f32_e32 v13, v54, v47
	;; [unrolled: 8-line block ×4, first 2 shown]
	v_mov_b32_e32 v54, s9
	ds_read2_b32 v[58:59], v54 offset1:1
	s_add_i32 s9, s6, 0x408
	v_mov_b32_e32 v60, s9
	ds_read2_b32 v[60:61], v60 offset1:1
	s_add_i32 s9, s6, 0x500
	s_waitcnt lgkmcnt(1)
	v_pk_fma_f16 v54, v8, v58, 0
	v_pk_fma_f16 v54, v7, v59, v54
	s_waitcnt lgkmcnt(0)
	v_pk_fma_f16 v54, v0, v60, v54
	v_pk_fma_f16 v54, v4, v61, v54
	v_cvt_f32_f16_e32 v62, v54
	v_cvt_f32_f16_sdwa v54, v54 dst_sel:DWORD dst_unused:UNUSED_PAD src0_sel:WORD_1
	v_add_f32_e32 v54, v62, v54
	v_fmac_f32_e32 v29, v54, v48
	v_pk_fma_f16 v54, v1, v58, 0
	v_pk_fma_f16 v54, v9, v59, v54
	v_pk_fma_f16 v54, v10, v60, v54
	v_pk_fma_f16 v54, v25, v61, v54
	v_cvt_f32_f16_e32 v62, v54
	v_cvt_f32_f16_sdwa v54, v54 dst_sel:DWORD dst_unused:UNUSED_PAD src0_sel:WORD_1
	v_add_f32_e32 v54, v62, v54
	v_fmac_f32_e32 v30, v54, v47
	v_pk_fma_f16 v54, v2, v58, 0
	v_pk_fma_f16 v54, v26, v59, v54
	v_pk_fma_f16 v54, v49, v60, v54
	v_pk_fma_f16 v54, v50, v61, v54
	v_cvt_f32_f16_e32 v62, v54
	v_cvt_f32_f16_sdwa v54, v54 dst_sel:DWORD dst_unused:UNUSED_PAD src0_sel:WORD_1
	v_add_f32_e32 v54, v62, v54
	v_fmac_f32_e32 v31, v54, v46
	v_pk_fma_f16 v54, v3, v58, 0
	v_pk_fma_f16 v54, v51, v59, v54
	v_pk_fma_f16 v54, v52, v60, v54
	v_pk_fma_f16 v54, v53, v61, v54
	v_cvt_f32_f16_e32 v58, v54
	v_cvt_f32_f16_sdwa v54, v54 dst_sel:DWORD dst_unused:UNUSED_PAD src0_sel:WORD_1
	v_add_f32_e32 v54, v58, v54
	v_fmac_f32_e32 v32, v54, v45
	v_mov_b32_e32 v54, s9
	ds_read2_b32 v[58:59], v54 offset1:1
	s_add_i32 s9, s6, 0x508
	v_mov_b32_e32 v60, s9
	ds_read2_b32 v[60:61], v60 offset1:1
	s_add_i32 s9, s6, 0x600
	s_waitcnt lgkmcnt(1)
	v_pk_fma_f16 v54, v8, v58, 0
	v_pk_fma_f16 v54, v7, v59, v54
	s_waitcnt lgkmcnt(0)
	v_pk_fma_f16 v54, v0, v60, v54
	v_pk_fma_f16 v54, v4, v61, v54
	v_cvt_f32_f16_e32 v62, v54
	v_cvt_f32_f16_sdwa v54, v54 dst_sel:DWORD dst_unused:UNUSED_PAD src0_sel:WORD_1
	v_add_f32_e32 v54, v62, v54
	v_fmac_f32_e32 v33, v54, v48
	v_pk_fma_f16 v54, v1, v58, 0
	v_pk_fma_f16 v54, v9, v59, v54
	v_pk_fma_f16 v54, v10, v60, v54
	v_pk_fma_f16 v54, v25, v61, v54
	v_cvt_f32_f16_e32 v62, v54
	v_cvt_f32_f16_sdwa v54, v54 dst_sel:DWORD dst_unused:UNUSED_PAD src0_sel:WORD_1
	v_add_f32_e32 v54, v62, v54
	v_fmac_f32_e32 v34, v54, v47
	v_pk_fma_f16 v54, v2, v58, 0
	v_pk_fma_f16 v54, v26, v59, v54
	v_pk_fma_f16 v54, v49, v60, v54
	v_pk_fma_f16 v54, v50, v61, v54
	v_cvt_f32_f16_e32 v62, v54
	v_cvt_f32_f16_sdwa v54, v54 dst_sel:DWORD dst_unused:UNUSED_PAD src0_sel:WORD_1
	v_add_f32_e32 v54, v62, v54
	v_fmac_f32_e32 v35, v54, v46
	v_pk_fma_f16 v54, v3, v58, 0
	v_pk_fma_f16 v54, v51, v59, v54
	v_pk_fma_f16 v54, v52, v60, v54
	v_pk_fma_f16 v54, v53, v61, v54
	v_cvt_f32_f16_e32 v58, v54
	v_cvt_f32_f16_sdwa v54, v54 dst_sel:DWORD dst_unused:UNUSED_PAD src0_sel:WORD_1
	v_add_f32_e32 v54, v58, v54
	v_fmac_f32_e32 v36, v54, v45
	v_mov_b32_e32 v54, s9
	ds_read2_b32 v[58:59], v54 offset1:1
	s_add_i32 s9, s6, 0x608
	v_mov_b32_e32 v60, s9
	ds_read2_b32 v[60:61], v60 offset1:1
	s_add_i32 s9, s6, 0x700
	s_waitcnt lgkmcnt(1)
	v_pk_fma_f16 v54, v8, v58, 0
	v_pk_fma_f16 v54, v7, v59, v54
	s_waitcnt lgkmcnt(0)
	v_pk_fma_f16 v54, v0, v60, v54
	v_pk_fma_f16 v54, v4, v61, v54
	v_cvt_f32_f16_e32 v62, v54
	v_cvt_f32_f16_sdwa v54, v54 dst_sel:DWORD dst_unused:UNUSED_PAD src0_sel:WORD_1
	v_add_f32_e32 v54, v62, v54
	v_fmac_f32_e32 v37, v54, v48
	v_pk_fma_f16 v54, v1, v58, 0
	v_pk_fma_f16 v54, v9, v59, v54
	v_pk_fma_f16 v54, v10, v60, v54
	v_pk_fma_f16 v54, v25, v61, v54
	v_cvt_f32_f16_e32 v62, v54
	v_cvt_f32_f16_sdwa v54, v54 dst_sel:DWORD dst_unused:UNUSED_PAD src0_sel:WORD_1
	v_add_f32_e32 v54, v62, v54
	v_fmac_f32_e32 v38, v54, v47
	v_pk_fma_f16 v54, v2, v58, 0
	v_pk_fma_f16 v54, v26, v59, v54
	v_pk_fma_f16 v54, v49, v60, v54
	v_pk_fma_f16 v54, v50, v61, v54
	v_cvt_f32_f16_e32 v62, v54
	v_cvt_f32_f16_sdwa v54, v54 dst_sel:DWORD dst_unused:UNUSED_PAD src0_sel:WORD_1
	v_add_f32_e32 v54, v62, v54
	v_fmac_f32_e32 v39, v54, v46
	v_pk_fma_f16 v54, v3, v58, 0
	v_pk_fma_f16 v54, v51, v59, v54
	v_pk_fma_f16 v54, v52, v60, v54
	v_pk_fma_f16 v54, v53, v61, v54
	v_cvt_f32_f16_e32 v58, v54
	v_cvt_f32_f16_sdwa v54, v54 dst_sel:DWORD dst_unused:UNUSED_PAD src0_sel:WORD_1
	v_add_f32_e32 v54, v58, v54
	v_fmac_f32_e32 v40, v54, v45
	v_mov_b32_e32 v54, s9
	ds_read2_b32 v[58:59], v54 offset1:1
	s_add_i32 s9, s6, 0x708
	s_waitcnt lgkmcnt(0)
	v_pk_fma_f16 v8, v8, v58, 0
	v_pk_fma_f16 v54, v7, v59, v8
	v_mov_b32_e32 v7, s9
	ds_read2_b32 v[7:8], v7 offset1:1
	s_add_i32 s9, s6, 0x410
	s_waitcnt lgkmcnt(0)
	v_pk_fma_f16 v0, v0, v7, v54
	v_pk_fma_f16 v0, v4, v8, v0
	v_cvt_f32_f16_e32 v4, v0
	v_cvt_f32_f16_sdwa v0, v0 dst_sel:DWORD dst_unused:UNUSED_PAD src0_sel:WORD_1
	v_add_f32_e32 v0, v4, v0
	v_fmac_f32_e32 v41, v0, v48
	v_pk_fma_f16 v0, v1, v58, 0
	v_pk_fma_f16 v0, v9, v59, v0
	;; [unrolled: 1-line block ×4, first 2 shown]
	v_cvt_f32_f16_e32 v1, v0
	v_cvt_f32_f16_sdwa v0, v0 dst_sel:DWORD dst_unused:UNUSED_PAD src0_sel:WORD_1
	v_mov_b32_e32 v4, v23
	v_add_f32_e32 v0, v1, v0
	v_fmac_f32_e32 v42, v0, v47
	v_pk_fma_f16 v0, v2, v58, 0
	v_pk_fma_f16 v0, v26, v59, v0
	;; [unrolled: 1-line block ×4, first 2 shown]
	v_cvt_f32_f16_e32 v1, v0
	v_cvt_f32_f16_sdwa v0, v0 dst_sel:DWORD dst_unused:UNUSED_PAD src0_sel:WORD_1
	v_add_f32_e32 v0, v1, v0
	v_fmac_f32_e32 v43, v0, v46
	v_pk_fma_f16 v0, v3, v58, 0
	v_pk_fma_f16 v0, v51, v59, v0
	;; [unrolled: 1-line block ×4, first 2 shown]
	v_cvt_f32_f16_e32 v1, v0
	v_cvt_f32_f16_sdwa v0, v0 dst_sel:DWORD dst_unused:UNUSED_PAD src0_sel:WORD_1
	v_mov_b32_e32 v3, s3
	v_add_f32_e32 v0, v1, v0
	v_fmac_f32_e32 v44, v0, v45
	buffer_load_dword v0, off, s[28:31], 0 offset:16 ; 4-byte Folded Reload
	buffer_load_dword v1, off, s[28:31], 0 offset:20 ; 4-byte Folded Reload
	s_waitcnt vmcnt(1)
	v_add_co_u32_e32 v0, vcc, s2, v0
	buffer_store_dword v3, off, s[28:31], 0 offset:44 ; 4-byte Folded Spill
	buffer_load_dword v1, off, s[28:31], 0 offset:16 ; 4-byte Folded Reload
	buffer_load_dword v2, off, s[28:31], 0 offset:20 ; 4-byte Folded Reload
	buffer_load_dword v26, off, s[28:31], 0 ; 4-byte Folded Reload
	s_waitcnt vmcnt(1)
	v_addc_co_u32_e32 v1, vcc, v2, v3, vcc
	global_load_dwordx4 v[7:10], v[0:1], off
	s_waitcnt vmcnt(0)
	v_and_b32_e32 v2, 0xf000f, v7
	v_and_b32_e32 v3, 0xf000f0, v7
	v_lshrrev_b32_e32 v7, 8, v7
	v_and_b32_e32 v25, 0xf000f, v7
	v_and_b32_e32 v7, 0xf000f0, v7
	v_or_b32_e32 v2, 0x64006400, v2
	v_or_b32_e32 v3, 0x64006400, v3
	v_or_b32_e32 v7, 0x64006400, v7
	buffer_store_dword v4, off, s[28:31], 0 offset:28 ; 4-byte Folded Spill
	v_pk_fma_f16 v53, v3, s19, v4 op_sel_hi:[1,0,1]
	v_pk_fma_f16 v52, v7, s19, v4 op_sel_hi:[1,0,1]
	buffer_load_dword v4, off, s[28:31], 0 offset:44 ; 4-byte Folded Reload
	v_pk_add_f16 v54, v26, v2
	buffer_load_dword v2, off, s[28:31], 0  ; 4-byte Folded Reload
	v_or_b32_e32 v25, 0x64006400, v25
	v_and_b32_e32 v3, 0xf000f0, v8
	v_or_b32_e32 v3, 0x64006400, v3
	v_lshrrev_b32_e32 v7, 8, v8
	v_pk_fma_f16 v60, v3, s19, v27 op_sel_hi:[1,0,1]
	v_and_b32_e32 v3, 0xf000f0, v9
	v_or_b32_e32 v3, 0x64006400, v3
	v_pk_fma_f16 v50, v3, s19, v28 op_sel_hi:[1,0,1]
	v_and_b32_e32 v3, 0xf000f0, v10
	v_or_b32_e32 v3, 0x64006400, v3
	v_pk_fma_f16 v26, v3, s19, v24 op_sel_hi:[1,0,1]
	buffer_store_dword v24, off, s[28:31], 0 offset:40 ; 4-byte Folded Spill
	buffer_store_dword v27, off, s[28:31], 0 offset:36 ; 4-byte Folded Spill
	;; [unrolled: 1-line block ×4, first 2 shown]
	s_waitcnt vmcnt(4)
	v_pk_add_f16 v23, v2, v25
	v_and_b32_e32 v2, 0xf000f, v8
	v_or_b32_e32 v2, 0x64006400, v2
	v_pk_add_f16 v59, v5, v2
	v_and_b32_e32 v2, 0xf000f, v9
	v_and_b32_e32 v8, 0xf000f, v7
	;; [unrolled: 1-line block ×3, first 2 shown]
	v_or_b32_e32 v2, 0x64006400, v2
	v_or_b32_e32 v7, 0x64006400, v7
	v_pk_add_f16 v49, v55, v2
	v_and_b32_e32 v2, 0xf000f, v10
	v_or_b32_e32 v8, 0x64006400, v8
	v_pk_fma_f16 v62, v7, s19, v27 op_sel_hi:[1,0,1]
	v_lshrrev_b32_e32 v7, 8, v9
	v_or_b32_e32 v2, 0x64006400, v2
	v_pk_add_f16 v61, v5, v8
	v_and_b32_e32 v8, 0xf000f, v7
	v_and_b32_e32 v7, 0xf000f0, v7
	v_pk_add_f16 v25, v57, v2
	ds_read2_b32 v[2:3], v63 offset0:4 offset1:5
	v_or_b32_e32 v7, 0x64006400, v7
	v_or_b32_e32 v8, 0x64006400, v8
	v_pk_fma_f16 v58, v7, s19, v28 op_sel_hi:[1,0,1]
	v_lshrrev_b32_e32 v7, 8, v10
	v_pk_add_f16 v51, v55, v8
	v_and_b32_e32 v8, 0xf000f, v7
	v_and_b32_e32 v7, 0xf000f0, v7
	v_or_b32_e32 v7, 0x64006400, v7
	v_or_b32_e32 v8, 0x64006400, v8
	v_pk_fma_f16 v10, v7, s19, v24 op_sel_hi:[1,0,1]
	s_waitcnt lgkmcnt(0)
	v_pk_fma_f16 v7, v54, v2, 0
	v_pk_add_f16 v9, v57, v8
	v_pk_fma_f16 v55, v53, v3, v7
	ds_read2_b32 v[7:8], v63 offset0:6 offset1:7
	buffer_load_dword v5, off, s[28:31], 0 offset:28 ; 4-byte Folded Reload
	s_waitcnt lgkmcnt(0)
	v_pk_fma_f16 v55, v23, v7, v55
	v_pk_fma_f16 v55, v52, v8, v55
	v_cvt_f32_f16_e32 v56, v55
	v_cvt_f32_f16_sdwa v55, v55 dst_sel:DWORD dst_unused:UNUSED_PAD src0_sel:WORD_1
	v_add_f32_e32 v55, v56, v55
	v_fmac_f32_e32 v6, v55, v48
	buffer_store_dword v6, off, s[28:31], 0 offset:12 ; 4-byte Folded Spill
	buffer_load_dword v6, off, s[28:31], 0 offset:52 ; 4-byte Folded Reload
	v_pk_fma_f16 v55, v59, v2, 0
	v_pk_fma_f16 v55, v60, v3, v55
	;; [unrolled: 1-line block ×4, first 2 shown]
	v_cvt_f32_f16_e32 v56, v55
	v_cvt_f32_f16_sdwa v55, v55 dst_sel:DWORD dst_unused:UNUSED_PAD src0_sel:WORD_1
	v_add_f32_e32 v55, v56, v55
	s_waitcnt vmcnt(0)
	v_fmac_f32_e32 v6, v55, v47
	v_pk_fma_f16 v55, v49, v2, 0
	v_pk_fma_f16 v55, v50, v3, v55
	;; [unrolled: 1-line block ×4, first 2 shown]
	v_cvt_f32_f16_e32 v56, v55
	v_cvt_f32_f16_sdwa v55, v55 dst_sel:DWORD dst_unused:UNUSED_PAD src0_sel:WORD_1
	v_pk_fma_f16 v2, v25, v2, 0
	v_pk_fma_f16 v2, v26, v3, v2
	;; [unrolled: 1-line block ×3, first 2 shown]
	v_add_f32_e32 v55, v56, v55
	v_fmac_f32_e32 v14, v55, v46
	buffer_store_dword v14, off, s[28:31], 0 offset:48 ; 4-byte Folded Spill
	buffer_load_dword v14, off, s[28:31], 0 offset:60 ; 4-byte Folded Reload
	v_pk_fma_f16 v2, v10, v8, v2
	v_cvt_f32_f16_e32 v3, v2
	v_cvt_f32_f16_sdwa v2, v2 dst_sel:DWORD dst_unused:UNUSED_PAD src0_sel:WORD_1
	v_add_f32_e32 v2, v3, v2
	s_waitcnt vmcnt(0)
	v_fmac_f32_e32 v14, v2, v45
	ds_read2_b32 v[2:3], v63 offset0:68 offset1:69
	s_waitcnt lgkmcnt(0)
	v_pk_fma_f16 v7, v54, v2, 0
	v_pk_fma_f16 v55, v53, v3, v7
	ds_read2_b32 v[7:8], v63 offset0:70 offset1:71
	s_waitcnt lgkmcnt(0)
	v_pk_fma_f16 v55, v23, v7, v55
	v_pk_fma_f16 v55, v52, v8, v55
	v_cvt_f32_f16_e32 v56, v55
	v_cvt_f32_f16_sdwa v55, v55 dst_sel:DWORD dst_unused:UNUSED_PAD src0_sel:WORD_1
	v_add_f32_e32 v55, v56, v55
	v_fmac_f32_e32 v16, v55, v48
	buffer_store_dword v16, off, s[28:31], 0 offset:52 ; 4-byte Folded Spill
	buffer_load_dword v16, off, s[28:31], 0 offset:56 ; 4-byte Folded Reload
	v_pk_fma_f16 v55, v59, v2, 0
	v_pk_fma_f16 v55, v60, v3, v55
	;; [unrolled: 1-line block ×4, first 2 shown]
	v_cvt_f32_f16_e32 v56, v55
	v_cvt_f32_f16_sdwa v55, v55 dst_sel:DWORD dst_unused:UNUSED_PAD src0_sel:WORD_1
	v_add_f32_e32 v55, v56, v55
	s_waitcnt vmcnt(0)
	v_fmac_f32_e32 v16, v55, v47
	v_pk_fma_f16 v55, v49, v2, 0
	v_pk_fma_f16 v2, v25, v2, 0
	;; [unrolled: 1-line block ×6, first 2 shown]
	v_cvt_f32_f16_e32 v3, v2
	v_cvt_f32_f16_sdwa v2, v2 dst_sel:DWORD dst_unused:UNUSED_PAD src0_sel:WORD_1
	v_pk_fma_f16 v55, v51, v7, v55
	v_pk_fma_f16 v55, v58, v8, v55
	v_cvt_f32_f16_e32 v56, v55
	v_add_f32_e32 v2, v3, v2
	v_fmac_f32_e32 v17, v2, v45
	ds_read2_b32 v[2:3], v63 offset0:132 offset1:133
	v_cvt_f32_f16_sdwa v55, v55 dst_sel:DWORD dst_unused:UNUSED_PAD src0_sel:WORD_1
	v_add_f32_e32 v55, v56, v55
	s_waitcnt lgkmcnt(0)
	v_pk_fma_f16 v7, v54, v2, 0
	v_fmac_f32_e32 v15, v55, v46
	v_pk_fma_f16 v55, v53, v3, v7
	ds_read2_b32 v[7:8], v63 offset0:134 offset1:135
	s_waitcnt lgkmcnt(0)
	v_pk_fma_f16 v55, v23, v7, v55
	v_pk_fma_f16 v55, v52, v8, v55
	v_cvt_f32_f16_e32 v56, v55
	v_cvt_f32_f16_sdwa v55, v55 dst_sel:DWORD dst_unused:UNUSED_PAD src0_sel:WORD_1
	v_add_f32_e32 v55, v56, v55
	v_fmac_f32_e32 v18, v55, v48
	v_pk_fma_f16 v55, v59, v2, 0
	v_pk_fma_f16 v55, v60, v3, v55
	;; [unrolled: 1-line block ×4, first 2 shown]
	v_cvt_f32_f16_e32 v56, v55
	v_cvt_f32_f16_sdwa v55, v55 dst_sel:DWORD dst_unused:UNUSED_PAD src0_sel:WORD_1
	v_add_f32_e32 v55, v56, v55
	v_fmac_f32_e32 v19, v55, v47
	v_pk_fma_f16 v55, v49, v2, 0
	v_pk_fma_f16 v2, v25, v2, 0
	;; [unrolled: 1-line block ×6, first 2 shown]
	v_cvt_f32_f16_e32 v3, v2
	v_cvt_f32_f16_sdwa v2, v2 dst_sel:DWORD dst_unused:UNUSED_PAD src0_sel:WORD_1
	v_pk_fma_f16 v55, v51, v7, v55
	v_pk_fma_f16 v55, v58, v8, v55
	v_cvt_f32_f16_e32 v56, v55
	v_add_f32_e32 v2, v3, v2
	v_fmac_f32_e32 v21, v2, v45
	ds_read2_b32 v[2:3], v63 offset0:196 offset1:197
	v_cvt_f32_f16_sdwa v55, v55 dst_sel:DWORD dst_unused:UNUSED_PAD src0_sel:WORD_1
	v_add_f32_e32 v55, v56, v55
	s_waitcnt lgkmcnt(0)
	v_pk_fma_f16 v7, v54, v2, 0
	v_fmac_f32_e32 v20, v55, v46
	v_pk_fma_f16 v55, v53, v3, v7
	ds_read2_b32 v[7:8], v63 offset0:198 offset1:199
	s_waitcnt lgkmcnt(0)
	v_pk_fma_f16 v55, v23, v7, v55
	v_pk_fma_f16 v55, v52, v8, v55
	v_cvt_f32_f16_e32 v56, v55
	v_cvt_f32_f16_sdwa v55, v55 dst_sel:DWORD dst_unused:UNUSED_PAD src0_sel:WORD_1
	v_add_f32_e32 v55, v56, v55
	v_fmac_f32_e32 v22, v55, v48
	v_pk_fma_f16 v55, v59, v2, 0
	v_pk_fma_f16 v55, v60, v3, v55
	;; [unrolled: 1-line block ×4, first 2 shown]
	v_cvt_f32_f16_e32 v56, v55
	v_cvt_f32_f16_sdwa v55, v55 dst_sel:DWORD dst_unused:UNUSED_PAD src0_sel:WORD_1
	v_mov_b32_e32 v24, v22
	v_mov_b32_e32 v22, v20
	v_mov_b32_e32 v20, v18
	v_add_f32_e32 v55, v56, v55
	v_fmac_f32_e32 v13, v55, v47
	v_pk_fma_f16 v55, v49, v2, 0
	v_pk_fma_f16 v2, v25, v2, 0
	;; [unrolled: 1-line block ×6, first 2 shown]
	v_cvt_f32_f16_e32 v3, v2
	v_cvt_f32_f16_sdwa v2, v2 dst_sel:DWORD dst_unused:UNUSED_PAD src0_sel:WORD_1
	v_pk_fma_f16 v55, v51, v7, v55
	v_pk_fma_f16 v55, v58, v8, v55
	v_cvt_f32_f16_e32 v56, v55
	v_add_f32_e32 v2, v3, v2
	v_fmac_f32_e32 v11, v2, v45
	v_mov_b32_e32 v2, s9
	ds_read2_b32 v[2:3], v2 offset1:1
	v_cvt_f32_f16_sdwa v55, v55 dst_sel:DWORD dst_unused:UNUSED_PAD src0_sel:WORD_1
	s_add_i32 s9, s6, 0x418
	v_mov_b32_e32 v18, v15
	v_mov_b32_e32 v15, v14
	v_add_f32_e32 v55, v56, v55
	s_waitcnt lgkmcnt(0)
	v_pk_fma_f16 v7, v54, v2, 0
	v_fmac_f32_e32 v12, v55, v46
	v_pk_fma_f16 v55, v53, v3, v7
	v_mov_b32_e32 v7, s9
	ds_read2_b32 v[7:8], v7 offset1:1
	s_add_i32 s9, s6, 0x510
	v_mov_b32_e32 v28, v12
	v_mov_b32_e32 v27, v13
	;; [unrolled: 1-line block ×3, first 2 shown]
	s_waitcnt lgkmcnt(0)
	v_pk_fma_f16 v55, v23, v7, v55
	v_pk_fma_f16 v55, v52, v8, v55
	v_cvt_f32_f16_e32 v56, v55
	v_cvt_f32_f16_sdwa v55, v55 dst_sel:DWORD dst_unused:UNUSED_PAD src0_sel:WORD_1
	buffer_load_dword v14, off, s[28:31], 0 offset:48 ; 4-byte Folded Reload
	v_add_f32_e32 v55, v56, v55
	v_fmac_f32_e32 v29, v55, v48
	v_pk_fma_f16 v55, v59, v2, 0
	v_pk_fma_f16 v55, v60, v3, v55
	;; [unrolled: 1-line block ×4, first 2 shown]
	v_cvt_f32_f16_e32 v56, v55
	v_cvt_f32_f16_sdwa v55, v55 dst_sel:DWORD dst_unused:UNUSED_PAD src0_sel:WORD_1
	v_add_f32_e32 v55, v56, v55
	v_fmac_f32_e32 v30, v55, v47
	v_pk_fma_f16 v55, v49, v2, 0
	v_pk_fma_f16 v2, v25, v2, 0
	;; [unrolled: 1-line block ×6, first 2 shown]
	v_cvt_f32_f16_e32 v3, v2
	v_cvt_f32_f16_sdwa v2, v2 dst_sel:DWORD dst_unused:UNUSED_PAD src0_sel:WORD_1
	v_pk_fma_f16 v55, v51, v7, v55
	v_pk_fma_f16 v55, v58, v8, v55
	v_cvt_f32_f16_e32 v56, v55
	v_add_f32_e32 v2, v3, v2
	v_fmac_f32_e32 v32, v2, v45
	v_mov_b32_e32 v2, s9
	ds_read2_b32 v[2:3], v2 offset1:1
	v_cvt_f32_f16_sdwa v55, v55 dst_sel:DWORD dst_unused:UNUSED_PAD src0_sel:WORD_1
	s_add_i32 s9, s6, 0x518
	v_add_f32_e32 v55, v56, v55
	s_waitcnt lgkmcnt(0)
	v_pk_fma_f16 v7, v54, v2, 0
	v_fmac_f32_e32 v31, v55, v46
	v_pk_fma_f16 v55, v53, v3, v7
	v_mov_b32_e32 v7, s9
	ds_read2_b32 v[7:8], v7 offset1:1
	s_add_i32 s9, s6, 0x610
	s_waitcnt lgkmcnt(0)
	v_pk_fma_f16 v55, v23, v7, v55
	v_pk_fma_f16 v55, v52, v8, v55
	v_cvt_f32_f16_e32 v56, v55
	v_cvt_f32_f16_sdwa v55, v55 dst_sel:DWORD dst_unused:UNUSED_PAD src0_sel:WORD_1
	v_add_f32_e32 v55, v56, v55
	v_fmac_f32_e32 v33, v55, v48
	v_pk_fma_f16 v55, v59, v2, 0
	v_pk_fma_f16 v55, v60, v3, v55
	;; [unrolled: 1-line block ×4, first 2 shown]
	v_cvt_f32_f16_e32 v56, v55
	v_cvt_f32_f16_sdwa v55, v55 dst_sel:DWORD dst_unused:UNUSED_PAD src0_sel:WORD_1
	v_add_f32_e32 v55, v56, v55
	v_fmac_f32_e32 v34, v55, v47
	v_pk_fma_f16 v55, v49, v2, 0
	v_pk_fma_f16 v2, v25, v2, 0
	;; [unrolled: 1-line block ×6, first 2 shown]
	v_cvt_f32_f16_e32 v3, v2
	v_cvt_f32_f16_sdwa v2, v2 dst_sel:DWORD dst_unused:UNUSED_PAD src0_sel:WORD_1
	v_pk_fma_f16 v55, v51, v7, v55
	v_pk_fma_f16 v55, v58, v8, v55
	v_cvt_f32_f16_e32 v56, v55
	v_add_f32_e32 v2, v3, v2
	v_fmac_f32_e32 v36, v2, v45
	v_mov_b32_e32 v2, s9
	ds_read2_b32 v[2:3], v2 offset1:1
	v_cvt_f32_f16_sdwa v55, v55 dst_sel:DWORD dst_unused:UNUSED_PAD src0_sel:WORD_1
	s_add_i32 s9, s6, 0x618
	v_add_f32_e32 v55, v56, v55
	s_waitcnt lgkmcnt(0)
	v_pk_fma_f16 v7, v54, v2, 0
	v_fmac_f32_e32 v35, v55, v46
	v_pk_fma_f16 v55, v53, v3, v7
	v_mov_b32_e32 v7, s9
	ds_read2_b32 v[7:8], v7 offset1:1
	s_add_i32 s9, s6, 0x710
	s_waitcnt lgkmcnt(0)
	v_pk_fma_f16 v55, v23, v7, v55
	v_pk_fma_f16 v55, v52, v8, v55
	v_cvt_f32_f16_e32 v56, v55
	v_cvt_f32_f16_sdwa v55, v55 dst_sel:DWORD dst_unused:UNUSED_PAD src0_sel:WORD_1
	v_add_f32_e32 v55, v56, v55
	v_fmac_f32_e32 v37, v55, v48
	v_pk_fma_f16 v55, v59, v2, 0
	v_pk_fma_f16 v55, v60, v3, v55
	;; [unrolled: 1-line block ×4, first 2 shown]
	v_cvt_f32_f16_e32 v56, v55
	v_cvt_f32_f16_sdwa v55, v55 dst_sel:DWORD dst_unused:UNUSED_PAD src0_sel:WORD_1
	v_add_f32_e32 v55, v56, v55
	v_fmac_f32_e32 v38, v55, v47
	v_pk_fma_f16 v55, v49, v2, 0
	v_pk_fma_f16 v2, v25, v2, 0
	;; [unrolled: 1-line block ×6, first 2 shown]
	v_cvt_f32_f16_e32 v3, v2
	v_cvt_f32_f16_sdwa v2, v2 dst_sel:DWORD dst_unused:UNUSED_PAD src0_sel:WORD_1
	v_pk_fma_f16 v55, v51, v7, v55
	v_pk_fma_f16 v55, v58, v8, v55
	v_cvt_f32_f16_e32 v56, v55
	v_add_f32_e32 v2, v3, v2
	v_fmac_f32_e32 v40, v2, v45
	v_mov_b32_e32 v2, s9
	ds_read2_b32 v[7:8], v2 offset1:1
	s_add_i32 s9, s6, 0x718
	v_cvt_f32_f16_sdwa v55, v55 dst_sel:DWORD dst_unused:UNUSED_PAD src0_sel:WORD_1
	s_waitcnt lgkmcnt(0)
	v_pk_fma_f16 v2, v54, v7, 0
	v_pk_fma_f16 v53, v53, v8, v2
	v_mov_b32_e32 v2, s9
	ds_read2_b32 v[2:3], v2 offset1:1
	v_pk_fma_f16 v49, v49, v7, 0
	v_pk_fma_f16 v49, v50, v8, v49
	v_add_f32_e32 v55, v56, v55
	v_fmac_f32_e32 v39, v55, v46
	s_waitcnt lgkmcnt(0)
	v_pk_fma_f16 v53, v23, v2, v53
	v_pk_fma_f16 v52, v52, v3, v53
	v_cvt_f32_f16_e32 v53, v52
	v_cvt_f32_f16_sdwa v52, v52 dst_sel:DWORD dst_unused:UNUSED_PAD src0_sel:WORD_1
	v_pk_fma_f16 v49, v51, v2, v49
	v_pk_fma_f16 v49, v58, v3, v49
	v_cvt_f32_f16_e32 v50, v49
	v_add_f32_e32 v52, v53, v52
	v_fmac_f32_e32 v41, v52, v48
	v_pk_fma_f16 v52, v59, v7, 0
	v_pk_fma_f16 v7, v25, v7, 0
	;; [unrolled: 1-line block ×8, first 2 shown]
	v_cvt_f32_f16_e32 v3, v2
	v_cvt_f32_f16_sdwa v2, v2 dst_sel:DWORD dst_unused:UNUSED_PAD src0_sel:WORD_1
	v_add_co_u32_e32 v7, vcc, s2, v0
	v_addc_co_u32_e32 v8, vcc, v1, v4, vcc
	v_add_f32_e32 v2, v3, v2
	v_fmac_f32_e32 v44, v2, v45
	global_load_dwordx4 v[0:3], v[7:8], off
	v_cvt_f32_f16_sdwa v49, v49 dst_sel:DWORD dst_unused:UNUSED_PAD src0_sel:WORD_1
	v_mov_b32_e32 v23, v21
	v_mov_b32_e32 v21, v19
	v_mov_b32_e32 v19, v17
	v_add_f32_e32 v49, v50, v49
	v_fmac_f32_e32 v43, v49, v46
	v_mov_b32_e32 v17, v16
	buffer_load_dword v16, off, s[28:31], 0 offset:52 ; 4-byte Folded Reload
	v_cvt_f32_f16_e32 v53, v52
	v_cvt_f32_f16_sdwa v52, v52 dst_sel:DWORD dst_unused:UNUSED_PAD src0_sel:WORD_1
	v_mov_b32_e32 v57, v44
	v_mov_b32_e32 v44, v43
	s_add_i32 s9, s6, 0x420
	v_add_f32_e32 v52, v53, v52
	v_fmac_f32_e32 v42, v52, v47
	v_mov_b32_e32 v43, v42
	v_mov_b32_e32 v42, v41
	;; [unrolled: 1-line block ×15, first 2 shown]
	s_waitcnt vmcnt(1)
	v_and_b32_e32 v9, 0xf000f, v0
	v_and_b32_e32 v10, 0xf000f0, v0
	v_lshrrev_b32_e32 v0, 8, v0
	v_and_b32_e32 v25, 0xf000f, v0
	v_and_b32_e32 v0, 0xf000f0, v0
	v_or_b32_e32 v49, 0x64006400, v0
	buffer_load_dword v0, off, s[28:31], 0  ; 4-byte Folded Reload
	v_or_b32_e32 v9, 0x64006400, v9
	v_or_b32_e32 v26, 0x64006400, v25
	;; [unrolled: 1-line block ×3, first 2 shown]
	v_pk_fma_f16 v10, v10, s19, v5 op_sel_hi:[1,0,1]
	v_and_b32_e32 v52, 0xf000f0, v2
	v_or_b32_e32 v52, 0x64006400, v52
	v_and_b32_e32 v55, 0xf000f0, v3
	v_or_b32_e32 v55, 0x64006400, v55
	s_waitcnt vmcnt(0)
	v_pk_add_f16 v25, v0, v9
	buffer_load_dword v0, off, s[28:31], 0  ; 4-byte Folded Reload
	v_pk_fma_f16 v9, v49, s19, v5 op_sel_hi:[1,0,1]
	v_and_b32_e32 v49, 0xf000f0, v1
	v_or_b32_e32 v49, 0x64006400, v49
	s_waitcnt vmcnt(0)
	v_pk_add_f16 v0, v0, v26
	v_and_b32_e32 v26, 0xf000f, v1
	v_lshrrev_b32_e32 v1, 8, v1
	v_and_b32_e32 v50, 0xf000f, v1
	v_and_b32_e32 v1, 0xf000f0, v1
	v_or_b32_e32 v51, 0x64006400, v1
	buffer_load_dword v1, off, s[28:31], 0 offset:8 ; 4-byte Folded Reload
	buffer_load_dword v12, off, s[28:31], 0 offset:12 ; 4-byte Folded Reload
	;; [unrolled: 1-line block ×4, first 2 shown]
	v_or_b32_e32 v26, 0x64006400, v26
	v_or_b32_e32 v50, 0x64006400, v50
	buffer_load_dword v11, off, s[28:31], 0 offset:40 ; 4-byte Folded Reload
	s_waitcnt vmcnt(4)
	v_pk_add_f16 v1, v1, v26
	s_waitcnt vmcnt(2)
	v_pk_fma_f16 v26, v49, s19, v6 op_sel_hi:[1,0,1]
	s_waitcnt vmcnt(1)
	v_pk_add_f16 v49, v5, v50
	v_pk_fma_f16 v50, v51, s19, v6 op_sel_hi:[1,0,1]
	v_and_b32_e32 v51, 0xf000f, v2
	v_lshrrev_b32_e32 v2, 8, v2
	v_and_b32_e32 v53, 0xf000f, v2
	v_and_b32_e32 v2, 0xf000f0, v2
	v_or_b32_e32 v54, 0x64006400, v2
	buffer_load_dword v2, off, s[28:31], 0 offset:4 ; 4-byte Folded Reload
	buffer_load_dword v5, off, s[28:31], 0 offset:32 ; 4-byte Folded Reload
	v_or_b32_e32 v51, 0x64006400, v51
	v_or_b32_e32 v53, 0x64006400, v53
	v_mov_b32_e32 v6, s6
	ds_read2_b32 v[60:61], v6 offset0:8 offset1:9
	ds_read2_b32 v[62:63], v6 offset0:10 offset1:11
	s_waitcnt vmcnt(1)
	v_pk_add_f16 v2, v2, v51
	s_waitcnt vmcnt(0)
	v_pk_fma_f16 v51, v52, s19, v5 op_sel_hi:[1,0,1]
	buffer_load_dword v52, off, s[28:31], 0 offset:4 ; 4-byte Folded Reload
	s_waitcnt vmcnt(0)
	v_pk_add_f16 v52, v52, v53
	v_pk_fma_f16 v53, v54, s19, v5 op_sel_hi:[1,0,1]
	buffer_load_dword v5, off, s[28:31], 0 offset:24 ; 4-byte Folded Reload
	v_and_b32_e32 v54, 0xf000f, v3
	v_lshrrev_b32_e32 v3, 8, v3
	v_or_b32_e32 v54, 0x64006400, v54
	v_and_b32_e32 v56, 0xf000f, v3
	v_and_b32_e32 v3, 0xf000f0, v3
	v_or_b32_e32 v59, 0x64006400, v3
	v_or_b32_e32 v56, 0x64006400, v56
	v_pk_fma_f16 v59, v59, s19, v11 op_sel_hi:[1,0,1]
	s_waitcnt vmcnt(0)
	v_pk_add_f16 v3, v5, v54
	v_pk_fma_f16 v54, v55, s19, v11 op_sel_hi:[1,0,1]
	s_waitcnt lgkmcnt(1)
	v_pk_fma_f16 v55, v25, v60, 0
	v_pk_fma_f16 v55, v10, v61, v55
	s_waitcnt lgkmcnt(0)
	v_pk_fma_f16 v55, v0, v62, v55
	v_pk_fma_f16 v55, v9, v63, v55
	v_pk_add_f16 v58, v5, v56
	v_cvt_f32_f16_e32 v56, v55
	v_cvt_f32_f16_sdwa v55, v55 dst_sel:DWORD dst_unused:UNUSED_PAD src0_sel:WORD_1
	buffer_load_dword v5, off, s[28:31], 0 offset:8 ; 4-byte Folded Reload
	v_add_f32_e32 v55, v56, v55
	v_fmac_f32_e32 v12, v55, v48
	v_pk_fma_f16 v55, v1, v60, 0
	v_pk_fma_f16 v55, v26, v61, v55
	v_pk_fma_f16 v55, v49, v62, v55
	v_pk_fma_f16 v55, v50, v63, v55
	v_cvt_f32_f16_e32 v56, v55
	v_cvt_f32_f16_sdwa v55, v55 dst_sel:DWORD dst_unused:UNUSED_PAD src0_sel:WORD_1
	v_add_f32_e32 v55, v56, v55
	v_fmac_f32_e32 v13, v55, v47
	v_pk_fma_f16 v55, v2, v60, 0
	v_pk_fma_f16 v55, v51, v61, v55
	v_pk_fma_f16 v55, v52, v62, v55
	v_pk_fma_f16 v55, v53, v63, v55
	v_cvt_f32_f16_e32 v56, v55
	v_cvt_f32_f16_sdwa v55, v55 dst_sel:DWORD dst_unused:UNUSED_PAD src0_sel:WORD_1
	v_add_f32_e32 v55, v56, v55
	v_fmac_f32_e32 v14, v55, v46
	v_pk_fma_f16 v55, v3, v60, 0
	v_pk_fma_f16 v55, v54, v61, v55
	v_pk_fma_f16 v55, v58, v62, v55
	v_pk_fma_f16 v55, v59, v63, v55
	v_cvt_f32_f16_e32 v56, v55
	v_cvt_f32_f16_sdwa v55, v55 dst_sel:DWORD dst_unused:UNUSED_PAD src0_sel:WORD_1
	ds_read2_b32 v[60:61], v6 offset0:72 offset1:73
	ds_read2_b32 v[62:63], v6 offset0:74 offset1:75
	v_add_f32_e32 v55, v56, v55
	v_fmac_f32_e32 v15, v55, v45
	s_waitcnt lgkmcnt(1)
	v_pk_fma_f16 v55, v25, v60, 0
	v_pk_fma_f16 v55, v10, v61, v55
	s_waitcnt lgkmcnt(0)
	v_pk_fma_f16 v55, v0, v62, v55
	v_pk_fma_f16 v55, v9, v63, v55
	v_cvt_f32_f16_e32 v56, v55
	v_cvt_f32_f16_sdwa v55, v55 dst_sel:DWORD dst_unused:UNUSED_PAD src0_sel:WORD_1
	v_add_f32_e32 v55, v56, v55
	v_fmac_f32_e32 v16, v55, v48
	v_pk_fma_f16 v55, v1, v60, 0
	v_pk_fma_f16 v55, v26, v61, v55
	v_pk_fma_f16 v55, v49, v62, v55
	v_pk_fma_f16 v55, v50, v63, v55
	v_cvt_f32_f16_e32 v56, v55
	v_cvt_f32_f16_sdwa v55, v55 dst_sel:DWORD dst_unused:UNUSED_PAD src0_sel:WORD_1
	v_add_f32_e32 v55, v56, v55
	v_fmac_f32_e32 v17, v55, v47
	v_pk_fma_f16 v55, v2, v60, 0
	v_pk_fma_f16 v55, v51, v61, v55
	v_pk_fma_f16 v55, v52, v62, v55
	v_pk_fma_f16 v55, v53, v63, v55
	v_cvt_f32_f16_e32 v56, v55
	v_cvt_f32_f16_sdwa v55, v55 dst_sel:DWORD dst_unused:UNUSED_PAD src0_sel:WORD_1
	v_add_f32_e32 v55, v56, v55
	v_fmac_f32_e32 v18, v55, v46
	v_pk_fma_f16 v55, v3, v60, 0
	v_pk_fma_f16 v55, v54, v61, v55
	v_pk_fma_f16 v55, v58, v62, v55
	v_pk_fma_f16 v55, v59, v63, v55
	v_cvt_f32_f16_e32 v56, v55
	v_cvt_f32_f16_sdwa v55, v55 dst_sel:DWORD dst_unused:UNUSED_PAD src0_sel:WORD_1
	ds_read2_b32 v[60:61], v6 offset0:136 offset1:137
	ds_read2_b32 v[62:63], v6 offset0:138 offset1:139
	v_add_f32_e32 v55, v56, v55
	v_fmac_f32_e32 v19, v55, v45
	s_waitcnt lgkmcnt(1)
	v_pk_fma_f16 v55, v25, v60, 0
	v_pk_fma_f16 v55, v10, v61, v55
	s_waitcnt lgkmcnt(0)
	v_pk_fma_f16 v55, v0, v62, v55
	v_pk_fma_f16 v55, v9, v63, v55
	v_cvt_f32_f16_e32 v56, v55
	v_cvt_f32_f16_sdwa v55, v55 dst_sel:DWORD dst_unused:UNUSED_PAD src0_sel:WORD_1
	;; [unrolled: 36-line block ×3, first 2 shown]
	v_add_f32_e32 v55, v56, v55
	v_fmac_f32_e32 v24, v55, v48
	v_pk_fma_f16 v55, v1, v60, 0
	v_pk_fma_f16 v55, v26, v61, v55
	v_pk_fma_f16 v55, v49, v62, v55
	v_pk_fma_f16 v55, v50, v63, v55
	v_cvt_f32_f16_e32 v56, v55
	v_cvt_f32_f16_sdwa v55, v55 dst_sel:DWORD dst_unused:UNUSED_PAD src0_sel:WORD_1
	v_add_f32_e32 v55, v56, v55
	v_fmac_f32_e32 v27, v55, v47
	v_pk_fma_f16 v55, v2, v60, 0
	v_pk_fma_f16 v55, v51, v61, v55
	v_pk_fma_f16 v55, v52, v62, v55
	v_pk_fma_f16 v55, v53, v63, v55
	v_cvt_f32_f16_e32 v56, v55
	v_cvt_f32_f16_sdwa v55, v55 dst_sel:DWORD dst_unused:UNUSED_PAD src0_sel:WORD_1
	v_add_f32_e32 v55, v56, v55
	v_fmac_f32_e32 v28, v55, v46
	v_pk_fma_f16 v55, v3, v60, 0
	v_pk_fma_f16 v55, v54, v61, v55
	v_pk_fma_f16 v55, v58, v62, v55
	v_pk_fma_f16 v55, v59, v63, v55
	v_cvt_f32_f16_e32 v56, v55
	v_cvt_f32_f16_sdwa v55, v55 dst_sel:DWORD dst_unused:UNUSED_PAD src0_sel:WORD_1
	v_add_f32_e32 v55, v56, v55
	v_fmac_f32_e32 v29, v55, v45
	v_mov_b32_e32 v55, s9
	ds_read2_b32 v[60:61], v55 offset1:1
	s_add_i32 s9, s6, 0x428
	v_mov_b32_e32 v56, s9
	ds_read2_b32 v[62:63], v56 offset1:1
	s_add_i32 s9, s6, 0x520
	s_waitcnt lgkmcnt(1)
	v_pk_fma_f16 v55, v25, v60, 0
	v_pk_fma_f16 v55, v10, v61, v55
	s_waitcnt lgkmcnt(0)
	v_pk_fma_f16 v55, v0, v62, v55
	v_pk_fma_f16 v55, v9, v63, v55
	v_cvt_f32_f16_e32 v56, v55
	v_cvt_f32_f16_sdwa v55, v55 dst_sel:DWORD dst_unused:UNUSED_PAD src0_sel:WORD_1
	v_add_f32_e32 v55, v56, v55
	v_fmac_f32_e32 v30, v55, v48
	v_pk_fma_f16 v55, v1, v60, 0
	v_pk_fma_f16 v55, v26, v61, v55
	v_pk_fma_f16 v55, v49, v62, v55
	v_pk_fma_f16 v55, v50, v63, v55
	v_cvt_f32_f16_e32 v56, v55
	v_cvt_f32_f16_sdwa v55, v55 dst_sel:DWORD dst_unused:UNUSED_PAD src0_sel:WORD_1
	v_add_f32_e32 v55, v56, v55
	v_fmac_f32_e32 v31, v55, v47
	v_pk_fma_f16 v55, v2, v60, 0
	v_pk_fma_f16 v55, v51, v61, v55
	v_pk_fma_f16 v55, v52, v62, v55
	v_pk_fma_f16 v55, v53, v63, v55
	v_cvt_f32_f16_e32 v56, v55
	v_cvt_f32_f16_sdwa v55, v55 dst_sel:DWORD dst_unused:UNUSED_PAD src0_sel:WORD_1
	v_add_f32_e32 v55, v56, v55
	v_fmac_f32_e32 v32, v55, v46
	v_pk_fma_f16 v55, v3, v60, 0
	v_pk_fma_f16 v55, v54, v61, v55
	v_pk_fma_f16 v55, v58, v62, v55
	v_pk_fma_f16 v55, v59, v63, v55
	v_cvt_f32_f16_e32 v56, v55
	v_cvt_f32_f16_sdwa v55, v55 dst_sel:DWORD dst_unused:UNUSED_PAD src0_sel:WORD_1
	v_add_f32_e32 v55, v56, v55
	v_fmac_f32_e32 v33, v55, v45
	v_mov_b32_e32 v55, s9
	ds_read2_b32 v[60:61], v55 offset1:1
	s_add_i32 s9, s6, 0x528
	v_mov_b32_e32 v56, s9
	ds_read2_b32 v[62:63], v56 offset1:1
	s_add_i32 s9, s6, 0x620
	s_waitcnt lgkmcnt(1)
	v_pk_fma_f16 v55, v25, v60, 0
	v_pk_fma_f16 v55, v10, v61, v55
	s_waitcnt lgkmcnt(0)
	v_pk_fma_f16 v55, v0, v62, v55
	v_pk_fma_f16 v55, v9, v63, v55
	v_cvt_f32_f16_e32 v56, v55
	v_cvt_f32_f16_sdwa v55, v55 dst_sel:DWORD dst_unused:UNUSED_PAD src0_sel:WORD_1
	;; [unrolled: 40-line block ×3, first 2 shown]
	v_add_f32_e32 v55, v56, v55
	v_fmac_f32_e32 v38, v55, v48
	v_pk_fma_f16 v55, v1, v60, 0
	v_pk_fma_f16 v55, v26, v61, v55
	v_pk_fma_f16 v55, v49, v62, v55
	v_pk_fma_f16 v55, v50, v63, v55
	v_cvt_f32_f16_e32 v56, v55
	v_cvt_f32_f16_sdwa v55, v55 dst_sel:DWORD dst_unused:UNUSED_PAD src0_sel:WORD_1
	v_add_f32_e32 v55, v56, v55
	v_fmac_f32_e32 v39, v55, v47
	v_pk_fma_f16 v55, v2, v60, 0
	v_pk_fma_f16 v55, v51, v61, v55
	v_pk_fma_f16 v55, v52, v62, v55
	v_pk_fma_f16 v55, v53, v63, v55
	v_cvt_f32_f16_e32 v56, v55
	v_cvt_f32_f16_sdwa v55, v55 dst_sel:DWORD dst_unused:UNUSED_PAD src0_sel:WORD_1
	;; [unrolled: 8-line block ×3, first 2 shown]
	v_add_f32_e32 v55, v56, v55
	v_fmac_f32_e32 v41, v55, v45
	v_mov_b32_e32 v55, s9
	ds_read2_b32 v[60:61], v55 offset1:1
	s_add_i32 s9, s6, 0x728
	buffer_load_dword v55, off, s[28:31], 0 offset:4 ; 4-byte Folded Reload
	v_mov_b32_e32 v56, v24
	v_mov_b32_e32 v24, v27
	s_waitcnt lgkmcnt(0)
	v_pk_fma_f16 v25, v25, v60, 0
	v_pk_fma_f16 v10, v10, v61, v25
	v_mov_b32_e32 v25, s9
	ds_read2_b32 v[62:63], v25 offset1:1
	v_mov_b32_e32 v27, v28
	v_mov_b32_e32 v28, v29
	s_add_i32 s9, s6, 0x430
	v_mov_b32_e32 v29, v30
	s_waitcnt lgkmcnt(0)
	v_pk_fma_f16 v0, v0, v62, v10
	v_pk_fma_f16 v0, v9, v63, v0
	v_cvt_f32_f16_e32 v9, v0
	v_cvt_f32_f16_sdwa v0, v0 dst_sel:DWORD dst_unused:UNUSED_PAD src0_sel:WORD_1
	v_mov_b32_e32 v30, v31
	v_mov_b32_e32 v31, v32
	v_mov_b32_e32 v32, v33
	v_add_f32_e32 v0, v9, v0
	v_fmac_f32_e32 v42, v0, v48
	v_pk_fma_f16 v0, v1, v60, 0
	v_pk_fma_f16 v0, v26, v61, v0
	v_pk_fma_f16 v0, v49, v62, v0
	v_pk_fma_f16 v0, v50, v63, v0
	v_cvt_f32_f16_e32 v1, v0
	v_cvt_f32_f16_sdwa v0, v0 dst_sel:DWORD dst_unused:UNUSED_PAD src0_sel:WORD_1
	v_mov_b32_e32 v33, v34
	v_mov_b32_e32 v34, v35
	v_mov_b32_e32 v35, v36
	v_add_f32_e32 v0, v1, v0
	v_fmac_f32_e32 v43, v0, v47
	v_pk_fma_f16 v0, v2, v60, 0
	v_pk_fma_f16 v0, v51, v61, v0
	;; [unrolled: 11-line block ×3, first 2 shown]
	v_pk_fma_f16 v0, v58, v62, v0
	v_pk_fma_f16 v0, v59, v63, v0
	v_cvt_f32_f16_e32 v1, v0
	v_cvt_f32_f16_sdwa v0, v0 dst_sel:DWORD dst_unused:UNUSED_PAD src0_sel:WORD_1
	buffer_load_dword v54, off, s[28:31], 0 ; 4-byte Folded Reload
	v_mov_b32_e32 v39, v40
	v_mov_b32_e32 v40, v41
	v_add_f32_e32 v0, v1, v0
	v_fmac_f32_e32 v57, v0, v45
	v_add_co_u32_e32 v0, vcc, s2, v7
	v_addc_co_u32_e32 v1, vcc, v8, v4, vcc
	global_load_dwordx4 v[0:3], v[0:1], off
	v_mov_b32_e32 v41, v42
	v_mov_b32_e32 v42, v43
	;; [unrolled: 1-line block ×4, first 2 shown]
	s_waitcnt vmcnt(2)
	buffer_store_dword v55, off, s[28:31], 0 offset:4 ; 4-byte Folded Spill
	s_waitcnt vmcnt(1)
	v_and_b32_e32 v4, 0xf000f, v0
	v_or_b32_e32 v4, 0x64006400, v4
	v_pk_add_f16 v51, v54, v4
	buffer_load_dword v4, off, s[28:31], 0 offset:28 ; 4-byte Folded Reload
	v_and_b32_e32 v7, 0xf000f0, v0
	v_lshrrev_b32_e32 v0, 8, v0
	v_and_b32_e32 v8, 0xf000f, v0
	v_and_b32_e32 v0, 0xf000f0, v0
	v_or_b32_e32 v0, 0x64006400, v0
	v_or_b32_e32 v7, 0x64006400, v7
	;; [unrolled: 1-line block ×3, first 2 shown]
	v_pk_add_f16 v26, v54, v8
	s_waitcnt vmcnt(0)
	v_pk_fma_f16 v49, v0, s19, v4 op_sel_hi:[1,0,1]
	v_and_b32_e32 v0, 0xf000f, v1
	v_or_b32_e32 v0, 0x64006400, v0
	v_pk_add_f16 v9, v5, v0
	buffer_load_dword v0, off, s[28:31], 0 offset:36 ; 4-byte Folded Reload
	v_pk_fma_f16 v50, v7, s19, v4 op_sel_hi:[1,0,1]
	v_and_b32_e32 v4, 0xf000f0, v1
	v_lshrrev_b32_e32 v1, 8, v1
	v_and_b32_e32 v7, 0xf000f, v1
	v_and_b32_e32 v1, 0xf000f0, v1
	v_or_b32_e32 v4, 0x64006400, v4
	v_or_b32_e32 v1, 0x64006400, v1
	;; [unrolled: 1-line block ×3, first 2 shown]
	v_pk_add_f16 v25, v5, v7
	buffer_load_dword v5, off, s[28:31], 0 offset:24 ; 4-byte Folded Reload
	s_waitcnt vmcnt(1)
	v_pk_fma_f16 v4, v4, s19, v0 op_sel_hi:[1,0,1]
	v_pk_fma_f16 v10, v1, s19, v0 op_sel_hi:[1,0,1]
	v_and_b32_e32 v0, 0xf000f, v2
	v_or_b32_e32 v0, 0x64006400, v0
	v_pk_add_f16 v60, v55, v0
	buffer_load_dword v0, off, s[28:31], 0 offset:32 ; 4-byte Folded Reload
	v_and_b32_e32 v1, 0xf000f0, v2
	v_lshrrev_b32_e32 v2, 8, v2
	v_and_b32_e32 v7, 0xf000f, v2
	v_and_b32_e32 v2, 0xf000f0, v2
	v_or_b32_e32 v1, 0x64006400, v1
	v_or_b32_e32 v2, 0x64006400, v2
	;; [unrolled: 1-line block ×3, first 2 shown]
	v_pk_add_f16 v62, v55, v7
	s_waitcnt vmcnt(0)
	v_pk_fma_f16 v61, v1, s19, v0 op_sel_hi:[1,0,1]
	v_pk_fma_f16 v63, v2, s19, v0 op_sel_hi:[1,0,1]
	v_and_b32_e32 v0, 0xf000f, v3
	v_and_b32_e32 v1, 0xf000f0, v3
	v_or_b32_e32 v0, 0x64006400, v0
	v_or_b32_e32 v1, 0x64006400, v1
	v_pk_add_f16 v58, v5, v0
	v_pk_fma_f16 v59, v1, s19, v11 op_sel_hi:[1,0,1]
	ds_read2_b32 v[0:1], v6 offset0:12 offset1:13
	v_lshrrev_b32_e32 v2, 8, v3
	v_and_b32_e32 v3, 0xf000f, v2
	v_and_b32_e32 v2, 0xf000f0, v2
	v_or_b32_e32 v2, 0x64006400, v2
	v_or_b32_e32 v3, 0x64006400, v3
	v_pk_fma_f16 v7, v2, s19, v11 op_sel_hi:[1,0,1]
	s_waitcnt lgkmcnt(0)
	v_pk_fma_f16 v2, v51, v0, 0
	v_pk_add_f16 v8, v5, v3
	v_pk_fma_f16 v52, v50, v1, v2
	ds_read2_b32 v[2:3], v6 offset0:14 offset1:15
	s_waitcnt lgkmcnt(0)
	v_pk_fma_f16 v52, v26, v2, v52
	v_pk_fma_f16 v52, v49, v3, v52
	v_cvt_f32_f16_e32 v53, v52
	v_cvt_f32_f16_sdwa v52, v52 dst_sel:DWORD dst_unused:UNUSED_PAD src0_sel:WORD_1
	v_add_f32_e32 v52, v53, v52
	v_fmac_f32_e32 v12, v52, v48
	v_pk_fma_f16 v52, v9, v0, 0
	v_pk_fma_f16 v52, v4, v1, v52
	;; [unrolled: 1-line block ×4, first 2 shown]
	v_cvt_f32_f16_e32 v53, v52
	v_cvt_f32_f16_sdwa v52, v52 dst_sel:DWORD dst_unused:UNUSED_PAD src0_sel:WORD_1
	buffer_store_dword v12, off, s[28:31], 0 offset:12 ; 4-byte Folded Spill
	v_add_f32_e32 v52, v53, v52
	v_fmac_f32_e32 v13, v52, v47
	v_pk_fma_f16 v52, v60, v0, 0
	v_pk_fma_f16 v0, v58, v0, 0
	;; [unrolled: 1-line block ×6, first 2 shown]
	v_cvt_f32_f16_e32 v1, v0
	v_cvt_f32_f16_sdwa v0, v0 dst_sel:DWORD dst_unused:UNUSED_PAD src0_sel:WORD_1
	v_pk_fma_f16 v52, v62, v2, v52
	v_pk_fma_f16 v52, v63, v3, v52
	v_cvt_f32_f16_e32 v53, v52
	v_add_f32_e32 v0, v1, v0
	v_fmac_f32_e32 v15, v0, v45
	ds_read2_b32 v[0:1], v6 offset0:76 offset1:77
	v_cvt_f32_f16_sdwa v52, v52 dst_sel:DWORD dst_unused:UNUSED_PAD src0_sel:WORD_1
	v_add_f32_e32 v52, v53, v52
	s_waitcnt lgkmcnt(0)
	v_pk_fma_f16 v2, v51, v0, 0
	v_fmac_f32_e32 v14, v52, v46
	v_pk_fma_f16 v52, v50, v1, v2
	ds_read2_b32 v[2:3], v6 offset0:78 offset1:79
	s_waitcnt lgkmcnt(0)
	v_pk_fma_f16 v52, v26, v2, v52
	v_pk_fma_f16 v52, v49, v3, v52
	v_cvt_f32_f16_e32 v53, v52
	v_cvt_f32_f16_sdwa v52, v52 dst_sel:DWORD dst_unused:UNUSED_PAD src0_sel:WORD_1
	v_add_f32_e32 v52, v53, v52
	v_fmac_f32_e32 v16, v52, v48
	v_pk_fma_f16 v52, v9, v0, 0
	v_pk_fma_f16 v52, v4, v1, v52
	;; [unrolled: 1-line block ×4, first 2 shown]
	v_cvt_f32_f16_e32 v53, v52
	v_cvt_f32_f16_sdwa v52, v52 dst_sel:DWORD dst_unused:UNUSED_PAD src0_sel:WORD_1
	v_add_f32_e32 v52, v53, v52
	v_fmac_f32_e32 v17, v52, v47
	v_pk_fma_f16 v52, v60, v0, 0
	v_pk_fma_f16 v0, v58, v0, 0
	;; [unrolled: 1-line block ×6, first 2 shown]
	v_cvt_f32_f16_e32 v1, v0
	v_cvt_f32_f16_sdwa v0, v0 dst_sel:DWORD dst_unused:UNUSED_PAD src0_sel:WORD_1
	v_pk_fma_f16 v52, v62, v2, v52
	v_pk_fma_f16 v52, v63, v3, v52
	v_cvt_f32_f16_e32 v53, v52
	v_add_f32_e32 v0, v1, v0
	v_fmac_f32_e32 v19, v0, v45
	ds_read2_b32 v[0:1], v6 offset0:140 offset1:141
	v_cvt_f32_f16_sdwa v52, v52 dst_sel:DWORD dst_unused:UNUSED_PAD src0_sel:WORD_1
	v_add_f32_e32 v52, v53, v52
	s_waitcnt lgkmcnt(0)
	v_pk_fma_f16 v2, v51, v0, 0
	v_fmac_f32_e32 v18, v52, v46
	v_pk_fma_f16 v52, v50, v1, v2
	ds_read2_b32 v[2:3], v6 offset0:142 offset1:143
	s_waitcnt lgkmcnt(0)
	v_pk_fma_f16 v52, v26, v2, v52
	v_pk_fma_f16 v52, v49, v3, v52
	v_cvt_f32_f16_e32 v53, v52
	v_cvt_f32_f16_sdwa v52, v52 dst_sel:DWORD dst_unused:UNUSED_PAD src0_sel:WORD_1
	v_add_f32_e32 v52, v53, v52
	v_fmac_f32_e32 v20, v52, v48
	v_pk_fma_f16 v52, v9, v0, 0
	v_pk_fma_f16 v52, v4, v1, v52
	v_pk_fma_f16 v52, v25, v2, v52
	v_pk_fma_f16 v52, v10, v3, v52
	v_cvt_f32_f16_e32 v53, v52
	v_cvt_f32_f16_sdwa v52, v52 dst_sel:DWORD dst_unused:UNUSED_PAD src0_sel:WORD_1
	v_add_f32_e32 v52, v53, v52
	v_fmac_f32_e32 v21, v52, v47
	v_pk_fma_f16 v52, v60, v0, 0
	v_pk_fma_f16 v0, v58, v0, 0
	;; [unrolled: 1-line block ×8, first 2 shown]
	v_cvt_f32_f16_e32 v1, v0
	v_cvt_f32_f16_sdwa v0, v0 dst_sel:DWORD dst_unused:UNUSED_PAD src0_sel:WORD_1
	ds_read2_b32 v[2:3], v6 offset0:204 offset1:205
	v_cvt_f32_f16_e32 v53, v52
	v_cvt_f32_f16_sdwa v52, v52 dst_sel:DWORD dst_unused:UNUSED_PAD src0_sel:WORD_1
	v_add_f32_e32 v0, v1, v0
	v_fmac_f32_e32 v23, v0, v45
	s_waitcnt lgkmcnt(0)
	v_pk_fma_f16 v0, v51, v2, 0
	v_add_f32_e32 v52, v53, v52
	v_fmac_f32_e32 v22, v52, v46
	v_pk_fma_f16 v52, v50, v3, v0
	ds_read2_b32 v[0:1], v6 offset0:206 offset1:207
	buffer_store_dword v22, off, s[28:31], 0 offset:48 ; 4-byte Folded Spill
	buffer_store_dword v23, off, s[28:31], 0 offset:44 ; 4-byte Folded Spill
	s_waitcnt lgkmcnt(0)
	v_pk_fma_f16 v52, v26, v0, v52
	v_pk_fma_f16 v52, v49, v1, v52
	v_cvt_f32_f16_e32 v53, v52
	v_cvt_f32_f16_sdwa v52, v52 dst_sel:DWORD dst_unused:UNUSED_PAD src0_sel:WORD_1
	v_add_f32_e32 v52, v53, v52
	v_fmac_f32_e32 v56, v52, v48
	v_pk_fma_f16 v52, v9, v2, 0
	v_pk_fma_f16 v52, v4, v3, v52
	;; [unrolled: 1-line block ×4, first 2 shown]
	v_cvt_f32_f16_e32 v53, v52
	v_cvt_f32_f16_sdwa v52, v52 dst_sel:DWORD dst_unused:UNUSED_PAD src0_sel:WORD_1
	v_mov_b32_e32 v22, v56
	v_add_f32_e32 v52, v53, v52
	v_fmac_f32_e32 v24, v52, v47
	v_pk_fma_f16 v52, v60, v2, 0
	v_pk_fma_f16 v2, v58, v2, 0
	;; [unrolled: 1-line block ×8, first 2 shown]
	v_cvt_f32_f16_e32 v1, v0
	v_cvt_f32_f16_sdwa v0, v0 dst_sel:DWORD dst_unused:UNUSED_PAD src0_sel:WORD_1
	v_cvt_f32_f16_e32 v53, v52
	v_cvt_f32_f16_sdwa v52, v52 dst_sel:DWORD dst_unused:UNUSED_PAD src0_sel:WORD_1
	v_mov_b32_e32 v12, v24
	v_add_f32_e32 v0, v1, v0
	v_fmac_f32_e32 v28, v0, v45
	v_mov_b32_e32 v0, s9
	ds_read2_b32 v[0:1], v0 offset1:1
	v_add_f32_e32 v52, v53, v52
	s_add_i32 s9, s6, 0x438
	v_fmac_f32_e32 v27, v52, v46
	v_mov_b32_e32 v11, v27
	s_waitcnt lgkmcnt(0)
	v_pk_fma_f16 v2, v51, v0, 0
	v_pk_fma_f16 v52, v50, v1, v2
	v_mov_b32_e32 v2, s9
	ds_read2_b32 v[2:3], v2 offset1:1
	s_add_i32 s9, s6, 0x530
	v_mov_b32_e32 v56, v28
	s_waitcnt lgkmcnt(0)
	v_pk_fma_f16 v52, v26, v2, v52
	v_pk_fma_f16 v52, v49, v3, v52
	v_cvt_f32_f16_e32 v53, v52
	v_cvt_f32_f16_sdwa v52, v52 dst_sel:DWORD dst_unused:UNUSED_PAD src0_sel:WORD_1
	v_add_f32_e32 v52, v53, v52
	v_fmac_f32_e32 v29, v52, v48
	v_pk_fma_f16 v52, v9, v0, 0
	v_pk_fma_f16 v52, v4, v1, v52
	;; [unrolled: 1-line block ×4, first 2 shown]
	v_cvt_f32_f16_e32 v53, v52
	v_cvt_f32_f16_sdwa v52, v52 dst_sel:DWORD dst_unused:UNUSED_PAD src0_sel:WORD_1
	v_add_f32_e32 v52, v53, v52
	v_fmac_f32_e32 v30, v52, v47
	v_pk_fma_f16 v52, v60, v0, 0
	v_pk_fma_f16 v0, v58, v0, 0
	;; [unrolled: 1-line block ×6, first 2 shown]
	v_cvt_f32_f16_e32 v1, v0
	v_cvt_f32_f16_sdwa v0, v0 dst_sel:DWORD dst_unused:UNUSED_PAD src0_sel:WORD_1
	v_pk_fma_f16 v52, v62, v2, v52
	v_pk_fma_f16 v52, v63, v3, v52
	v_cvt_f32_f16_e32 v53, v52
	v_add_f32_e32 v0, v1, v0
	v_fmac_f32_e32 v32, v0, v45
	v_mov_b32_e32 v0, s9
	ds_read2_b32 v[0:1], v0 offset1:1
	v_cvt_f32_f16_sdwa v52, v52 dst_sel:DWORD dst_unused:UNUSED_PAD src0_sel:WORD_1
	s_add_i32 s9, s6, 0x538
	v_add_f32_e32 v52, v53, v52
	s_waitcnt lgkmcnt(0)
	v_pk_fma_f16 v2, v51, v0, 0
	v_fmac_f32_e32 v31, v52, v46
	v_pk_fma_f16 v52, v50, v1, v2
	v_mov_b32_e32 v2, s9
	ds_read2_b32 v[2:3], v2 offset1:1
	s_add_i32 s9, s6, 0x630
	s_waitcnt lgkmcnt(0)
	v_pk_fma_f16 v52, v26, v2, v52
	v_pk_fma_f16 v52, v49, v3, v52
	v_cvt_f32_f16_e32 v53, v52
	v_cvt_f32_f16_sdwa v52, v52 dst_sel:DWORD dst_unused:UNUSED_PAD src0_sel:WORD_1
	v_add_f32_e32 v52, v53, v52
	v_fmac_f32_e32 v33, v52, v48
	v_pk_fma_f16 v52, v9, v0, 0
	v_pk_fma_f16 v52, v4, v1, v52
	;; [unrolled: 1-line block ×4, first 2 shown]
	v_cvt_f32_f16_e32 v53, v52
	v_cvt_f32_f16_sdwa v52, v52 dst_sel:DWORD dst_unused:UNUSED_PAD src0_sel:WORD_1
	v_add_f32_e32 v52, v53, v52
	v_fmac_f32_e32 v34, v52, v47
	v_pk_fma_f16 v52, v60, v0, 0
	v_pk_fma_f16 v0, v58, v0, 0
	;; [unrolled: 1-line block ×6, first 2 shown]
	v_cvt_f32_f16_e32 v1, v0
	v_cvt_f32_f16_sdwa v0, v0 dst_sel:DWORD dst_unused:UNUSED_PAD src0_sel:WORD_1
	v_pk_fma_f16 v52, v62, v2, v52
	v_pk_fma_f16 v52, v63, v3, v52
	v_cvt_f32_f16_e32 v53, v52
	v_add_f32_e32 v0, v1, v0
	v_fmac_f32_e32 v36, v0, v45
	v_mov_b32_e32 v0, s9
	ds_read2_b32 v[0:1], v0 offset1:1
	v_cvt_f32_f16_sdwa v52, v52 dst_sel:DWORD dst_unused:UNUSED_PAD src0_sel:WORD_1
	s_add_i32 s9, s6, 0x638
	v_add_f32_e32 v52, v53, v52
	s_waitcnt lgkmcnt(0)
	v_pk_fma_f16 v2, v51, v0, 0
	v_fmac_f32_e32 v35, v52, v46
	v_pk_fma_f16 v52, v50, v1, v2
	v_mov_b32_e32 v2, s9
	ds_read2_b32 v[2:3], v2 offset1:1
	s_add_i32 s9, s6, 0x730
	s_waitcnt lgkmcnt(0)
	v_pk_fma_f16 v52, v26, v2, v52
	v_pk_fma_f16 v52, v49, v3, v52
	v_cvt_f32_f16_e32 v53, v52
	v_cvt_f32_f16_sdwa v52, v52 dst_sel:DWORD dst_unused:UNUSED_PAD src0_sel:WORD_1
	v_add_f32_e32 v52, v53, v52
	v_fmac_f32_e32 v37, v52, v48
	v_pk_fma_f16 v52, v9, v0, 0
	v_pk_fma_f16 v52, v4, v1, v52
	v_pk_fma_f16 v52, v25, v2, v52
	v_pk_fma_f16 v52, v10, v3, v52
	v_cvt_f32_f16_e32 v53, v52
	v_cvt_f32_f16_sdwa v52, v52 dst_sel:DWORD dst_unused:UNUSED_PAD src0_sel:WORD_1
	v_add_f32_e32 v52, v53, v52
	v_fmac_f32_e32 v38, v52, v47
	v_pk_fma_f16 v52, v60, v0, 0
	v_pk_fma_f16 v0, v58, v0, 0
	v_pk_fma_f16 v0, v59, v1, v0
	v_pk_fma_f16 v0, v8, v2, v0
	v_pk_fma_f16 v0, v7, v3, v0
	v_pk_fma_f16 v52, v61, v1, v52
	v_cvt_f32_f16_e32 v1, v0
	v_cvt_f32_f16_sdwa v0, v0 dst_sel:DWORD dst_unused:UNUSED_PAD src0_sel:WORD_1
	v_pk_fma_f16 v52, v62, v2, v52
	v_pk_fma_f16 v52, v63, v3, v52
	v_cvt_f32_f16_e32 v53, v52
	v_add_f32_e32 v0, v1, v0
	v_fmac_f32_e32 v40, v0, v45
	v_mov_b32_e32 v0, s9
	ds_read2_b32 v[2:3], v0 offset1:1
	s_add_i32 s9, s6, 0x738
	v_cvt_f32_f16_sdwa v52, v52 dst_sel:DWORD dst_unused:UNUSED_PAD src0_sel:WORD_1
	s_add_i32 s6, s6, 64
	s_cmp_ge_i32 s24, s25
	s_waitcnt lgkmcnt(0)
	v_pk_fma_f16 v0, v51, v2, 0
	v_pk_fma_f16 v50, v50, v3, v0
	v_mov_b32_e32 v0, s9
	ds_read2_b32 v[0:1], v0 offset1:1
	buffer_load_dword v5, off, s[28:31], 0 offset:16 ; 4-byte Folded Reload
	buffer_load_dword v6, off, s[28:31], 0 offset:20 ; 4-byte Folded Reload
	v_pk_fma_f16 v9, v9, v2, 0
	v_pk_fma_f16 v4, v4, v3, v9
	v_add_f32_e32 v52, v53, v52
	s_waitcnt lgkmcnt(0)
	v_pk_fma_f16 v4, v25, v0, v4
	v_pk_fma_f16 v4, v10, v1, v4
	v_cvt_f32_f16_e32 v9, v4
	v_cvt_f32_f16_sdwa v4, v4 dst_sel:DWORD dst_unused:UNUSED_PAD src0_sel:WORD_1
	v_pk_fma_f16 v26, v26, v0, v50
	v_pk_fma_f16 v26, v49, v1, v26
	v_cvt_f32_f16_e32 v49, v26
	v_add_f32_e32 v4, v9, v4
	v_fmac_f32_e32 v42, v4, v47
	v_pk_fma_f16 v4, v60, v2, 0
	v_pk_fma_f16 v2, v58, v2, 0
	;; [unrolled: 1-line block ×8, first 2 shown]
	v_cvt_f32_f16_e32 v1, v0
	v_cvt_f32_f16_sdwa v0, v0 dst_sel:DWORD dst_unused:UNUSED_PAD src0_sel:WORD_1
	v_cvt_f32_f16_sdwa v26, v26 dst_sel:DWORD dst_unused:UNUSED_PAD src0_sel:WORD_1
	v_cvt_f32_f16_e32 v9, v4
	v_cvt_f32_f16_sdwa v4, v4 dst_sel:DWORD dst_unused:UNUSED_PAD src0_sel:WORD_1
	v_add_f32_e32 v0, v1, v0
	v_add_f32_e32 v26, v49, v26
	v_fmac_f32_e32 v44, v0, v45
	v_add_f32_e32 v4, v9, v4
	v_mov_b32_e32 v0, s1
	v_fmac_f32_e32 v39, v52, v46
	v_fmac_f32_e32 v41, v26, v48
	;; [unrolled: 1-line block ×3, first 2 shown]
	s_waitcnt vmcnt(1)
	v_add_co_u32_e32 v5, vcc, s0, v5
	s_waitcnt vmcnt(0)
	v_addc_co_u32_e32 v6, vcc, v6, v0, vcc
	s_cbranch_scc1 .LBB45_24
; %bb.23:                               ;   in Loop: Header=BB45_22 Depth=1
	buffer_load_dword v57, off, s[28:31], 0 offset:24 ; 4-byte Folded Reload
	buffer_load_dword v23, off, s[28:31], 0 offset:28 ; 4-byte Folded Reload
	;; [unrolled: 1-line block ×5, first 2 shown]
	s_cmp_lg_u32 s24, s8
	s_cbranch_scc0 .LBB45_21
	s_branch .LBB45_22
.LBB45_24:
	buffer_load_dword v0, off, s[28:31], 0 offset:12 ; 4-byte Folded Reload
	v_cvt_f16_f32_e32 v3, v13
	v_cvt_f16_f32_e32 v53, v14
	;; [unrolled: 1-line block ×29, first 2 shown]
	s_waitcnt vmcnt(0)
	v_cvt_f16_f32_e32 v54, v0
	buffer_load_dword v0, off, s[28:31], 0 offset:48 ; 4-byte Folded Reload
	s_waitcnt vmcnt(0)
	v_cvt_f16_f32_e32 v45, v0
	buffer_load_dword v0, off, s[28:31], 0 offset:44 ; 4-byte Folded Reload
	s_waitcnt vmcnt(0)
	v_cvt_f16_f32_e32 v26, v0
.LBB45_25:
	buffer_load_dword v0, off, s[28:31], 0 offset:64 ; 4-byte Folded Reload
	buffer_load_dword v1, off, s[28:31], 0 offset:68 ; 4-byte Folded Reload
	s_mul_i32 s7, s7, s16
	v_mov_b32_e32 v4, s15
	s_mov_b32 s0, 0x5040100
	v_perm_b32 v24, v3, v54, s0
	s_mov_b64 s[0:1], 0
	s_waitcnt vmcnt(1)
	v_add_u32_e32 v0, s7, v0
	s_waitcnt vmcnt(0)
	v_ashrrev_i32_e32 v1, 31, v0
	v_lshlrev_b64 v[1:2], 1, v[0:1]
	v_add_co_u32_e32 v1, vcc, s14, v1
	v_addc_co_u32_e32 v2, vcc, v4, v2, vcc
	global_load_dword v4, v[1:2], off
.LBB45_26:                              ; =>This Inner Loop Header: Depth=1
	s_waitcnt vmcnt(0)
	v_pk_add_f16 v3, v24, v4
	global_atomic_cmpswap v3, v[1:2], v[3:4], off glc
	s_waitcnt vmcnt(0)
	v_cmp_eq_u32_e32 vcc, v4, v3
	s_or_b64 s[0:1], vcc, s[0:1]
	v_mov_b32_e32 v4, v3
	s_andn2_b64 exec, exec, s[0:1]
	s_cbranch_execnz .LBB45_26
; %bb.27:
	s_or_b64 exec, exec, s[0:1]
	global_load_dword v4, v[1:2], off offset:4
	s_mov_b32 s0, 0x5040100
	v_perm_b32 v24, v52, v53, s0
	s_mov_b64 s[0:1], 0
.LBB45_28:                              ; =>This Inner Loop Header: Depth=1
	s_waitcnt vmcnt(0)
	v_pk_add_f16 v3, v24, v4
	global_atomic_cmpswap v3, v[1:2], v[3:4], off offset:4 glc
	s_waitcnt vmcnt(0)
	v_cmp_eq_u32_e32 vcc, v4, v3
	s_or_b64 s[0:1], vcc, s[0:1]
	v_mov_b32_e32 v4, v3
	s_andn2_b64 exec, exec, s[0:1]
	s_cbranch_execnz .LBB45_28
; %bb.29:
	s_or_b64 exec, exec, s[0:1]
	v_add_u32_e32 v0, s16, v0
	v_ashrrev_i32_e32 v1, 31, v0
	v_lshlrev_b64 v[1:2], 1, v[0:1]
	v_mov_b32_e32 v3, s15
	v_add_co_u32_e32 v1, vcc, s14, v1
	v_addc_co_u32_e32 v2, vcc, v3, v2, vcc
	global_load_dword v4, v[1:2], off
	s_mov_b32 s0, 0x5040100
	v_perm_b32 v24, v50, v51, s0
	s_mov_b64 s[0:1], 0
.LBB45_30:                              ; =>This Inner Loop Header: Depth=1
	s_waitcnt vmcnt(0)
	v_pk_add_f16 v3, v24, v4
	global_atomic_cmpswap v3, v[1:2], v[3:4], off glc
	s_waitcnt vmcnt(0)
	v_cmp_eq_u32_e32 vcc, v4, v3
	s_or_b64 s[0:1], vcc, s[0:1]
	v_mov_b32_e32 v4, v3
	s_andn2_b64 exec, exec, s[0:1]
	s_cbranch_execnz .LBB45_30
; %bb.31:
	s_or_b64 exec, exec, s[0:1]
	global_load_dword v4, v[1:2], off offset:4
	s_mov_b32 s0, 0x5040100
	v_perm_b32 v24, v48, v49, s0
	s_mov_b64 s[0:1], 0
.LBB45_32:                              ; =>This Inner Loop Header: Depth=1
	s_waitcnt vmcnt(0)
	v_pk_add_f16 v3, v24, v4
	global_atomic_cmpswap v3, v[1:2], v[3:4], off offset:4 glc
	s_waitcnt vmcnt(0)
	v_cmp_eq_u32_e32 vcc, v4, v3
	s_or_b64 s[0:1], vcc, s[0:1]
	v_mov_b32_e32 v4, v3
	s_andn2_b64 exec, exec, s[0:1]
	s_cbranch_execnz .LBB45_32
; %bb.33:
	s_or_b64 exec, exec, s[0:1]
	v_add_u32_e32 v0, s16, v0
	v_ashrrev_i32_e32 v1, 31, v0
	v_lshlrev_b64 v[1:2], 1, v[0:1]
	v_mov_b32_e32 v3, s15
	v_add_co_u32_e32 v1, vcc, s14, v1
	v_addc_co_u32_e32 v2, vcc, v3, v2, vcc
	global_load_dword v4, v[1:2], off
	s_mov_b32 s0, 0x5040100
	v_perm_b32 v24, v46, v47, s0
	s_mov_b64 s[0:1], 0
.LBB45_34:                              ; =>This Inner Loop Header: Depth=1
	s_waitcnt vmcnt(0)
	v_pk_add_f16 v3, v24, v4
	global_atomic_cmpswap v3, v[1:2], v[3:4], off glc
	s_waitcnt vmcnt(0)
	v_cmp_eq_u32_e32 vcc, v4, v3
	s_or_b64 s[0:1], vcc, s[0:1]
	v_mov_b32_e32 v4, v3
	s_andn2_b64 exec, exec, s[0:1]
	s_cbranch_execnz .LBB45_34
; %bb.35:
	s_or_b64 exec, exec, s[0:1]
	global_load_dword v4, v[1:2], off offset:4
	s_mov_b32 s0, 0x5040100
	v_perm_b32 v24, v26, v45, s0
	s_mov_b64 s[0:1], 0
.LBB45_36:                              ; =>This Inner Loop Header: Depth=1
	s_waitcnt vmcnt(0)
	v_pk_add_f16 v3, v24, v4
	global_atomic_cmpswap v3, v[1:2], v[3:4], off offset:4 glc
	s_waitcnt vmcnt(0)
	v_cmp_eq_u32_e32 vcc, v4, v3
	s_or_b64 s[0:1], vcc, s[0:1]
	v_mov_b32_e32 v4, v3
	s_andn2_b64 exec, exec, s[0:1]
	s_cbranch_execnz .LBB45_36
; %bb.37:
	s_or_b64 exec, exec, s[0:1]
	v_add_u32_e32 v0, s16, v0
	v_ashrrev_i32_e32 v1, 31, v0
	v_lshlrev_b64 v[1:2], 1, v[0:1]
	v_mov_b32_e32 v3, s15
	v_add_co_u32_e32 v1, vcc, s14, v1
	v_addc_co_u32_e32 v2, vcc, v3, v2, vcc
	global_load_dword v4, v[1:2], off
	s_mov_b32 s0, 0x5040100
	v_perm_b32 v23, v27, v25, s0
	s_mov_b64 s[0:1], 0
.LBB45_38:                              ; =>This Inner Loop Header: Depth=1
	s_waitcnt vmcnt(0)
	v_pk_add_f16 v3, v23, v4
	global_atomic_cmpswap v3, v[1:2], v[3:4], off glc
	s_waitcnt vmcnt(0)
	v_cmp_eq_u32_e32 vcc, v4, v3
	s_or_b64 s[0:1], vcc, s[0:1]
	v_mov_b32_e32 v4, v3
	s_andn2_b64 exec, exec, s[0:1]
	s_cbranch_execnz .LBB45_38
; %bb.39:
	s_or_b64 exec, exec, s[0:1]
	global_load_dword v4, v[1:2], off offset:4
	s_mov_b32 s0, 0x5040100
	v_perm_b32 v21, v21, v22, s0
	s_mov_b64 s[0:1], 0
.LBB45_40:                              ; =>This Inner Loop Header: Depth=1
	s_waitcnt vmcnt(0)
	v_pk_add_f16 v3, v21, v4
	global_atomic_cmpswap v3, v[1:2], v[3:4], off offset:4 glc
	s_waitcnt vmcnt(0)
	v_cmp_eq_u32_e32 vcc, v4, v3
	s_or_b64 s[0:1], vcc, s[0:1]
	v_mov_b32_e32 v4, v3
	s_andn2_b64 exec, exec, s[0:1]
	s_cbranch_execnz .LBB45_40
; %bb.41:
	s_or_b64 exec, exec, s[0:1]
	v_add_u32_e32 v0, s16, v0
	v_ashrrev_i32_e32 v1, 31, v0
	v_lshlrev_b64 v[1:2], 1, v[0:1]
	v_mov_b32_e32 v3, s15
	v_add_co_u32_e32 v1, vcc, s14, v1
	v_addc_co_u32_e32 v2, vcc, v3, v2, vcc
	global_load_dword v4, v[1:2], off
	s_mov_b32 s0, 0x5040100
	v_perm_b32 v19, v19, v20, s0
	s_mov_b64 s[0:1], 0
.LBB45_42:                              ; =>This Inner Loop Header: Depth=1
	s_waitcnt vmcnt(0)
	v_pk_add_f16 v3, v19, v4
	global_atomic_cmpswap v3, v[1:2], v[3:4], off glc
	s_waitcnt vmcnt(0)
	v_cmp_eq_u32_e32 vcc, v4, v3
	s_or_b64 s[0:1], vcc, s[0:1]
	v_mov_b32_e32 v4, v3
	s_andn2_b64 exec, exec, s[0:1]
	s_cbranch_execnz .LBB45_42
; %bb.43:
	s_or_b64 exec, exec, s[0:1]
	global_load_dword v4, v[1:2], off offset:4
	s_mov_b32 s0, 0x5040100
	v_perm_b32 v17, v17, v18, s0
	s_mov_b64 s[0:1], 0
.LBB45_44:                              ; =>This Inner Loop Header: Depth=1
	s_waitcnt vmcnt(0)
	v_pk_add_f16 v3, v17, v4
	global_atomic_cmpswap v3, v[1:2], v[3:4], off offset:4 glc
	s_waitcnt vmcnt(0)
	v_cmp_eq_u32_e32 vcc, v4, v3
	s_or_b64 s[0:1], vcc, s[0:1]
	v_mov_b32_e32 v4, v3
	s_andn2_b64 exec, exec, s[0:1]
	s_cbranch_execnz .LBB45_44
; %bb.45:
	s_or_b64 exec, exec, s[0:1]
	v_add_u32_e32 v0, s16, v0
	v_ashrrev_i32_e32 v1, 31, v0
	v_lshlrev_b64 v[1:2], 1, v[0:1]
	v_mov_b32_e32 v3, s15
	v_add_co_u32_e32 v1, vcc, s14, v1
	v_addc_co_u32_e32 v2, vcc, v3, v2, vcc
	global_load_dword v4, v[1:2], off
	s_mov_b32 s0, 0x5040100
	v_perm_b32 v15, v15, v16, s0
	s_mov_b64 s[0:1], 0
.LBB45_46:                              ; =>This Inner Loop Header: Depth=1
	s_waitcnt vmcnt(0)
	v_pk_add_f16 v3, v15, v4
	global_atomic_cmpswap v3, v[1:2], v[3:4], off glc
	s_waitcnt vmcnt(0)
	v_cmp_eq_u32_e32 vcc, v4, v3
	s_or_b64 s[0:1], vcc, s[0:1]
	v_mov_b32_e32 v4, v3
	s_andn2_b64 exec, exec, s[0:1]
	s_cbranch_execnz .LBB45_46
; %bb.47:
	s_or_b64 exec, exec, s[0:1]
	global_load_dword v4, v[1:2], off offset:4
	s_mov_b32 s0, 0x5040100
	v_perm_b32 v13, v13, v14, s0
	s_mov_b64 s[0:1], 0
.LBB45_48:                              ; =>This Inner Loop Header: Depth=1
	s_waitcnt vmcnt(0)
	v_pk_add_f16 v3, v13, v4
	global_atomic_cmpswap v3, v[1:2], v[3:4], off offset:4 glc
	s_waitcnt vmcnt(0)
	v_cmp_eq_u32_e32 vcc, v4, v3
	s_or_b64 s[0:1], vcc, s[0:1]
	v_mov_b32_e32 v4, v3
	s_andn2_b64 exec, exec, s[0:1]
	s_cbranch_execnz .LBB45_48
; %bb.49:
	s_or_b64 exec, exec, s[0:1]
	v_add_u32_e32 v0, s16, v0
	v_ashrrev_i32_e32 v1, 31, v0
	v_lshlrev_b64 v[1:2], 1, v[0:1]
	v_mov_b32_e32 v3, s15
	v_add_co_u32_e32 v1, vcc, s14, v1
	v_addc_co_u32_e32 v2, vcc, v3, v2, vcc
	global_load_dword v4, v[1:2], off
	s_mov_b32 s0, 0x5040100
	v_perm_b32 v11, v11, v12, s0
	s_mov_b64 s[0:1], 0
.LBB45_50:                              ; =>This Inner Loop Header: Depth=1
	s_waitcnt vmcnt(0)
	v_pk_add_f16 v3, v11, v4
	global_atomic_cmpswap v3, v[1:2], v[3:4], off glc
	s_waitcnt vmcnt(0)
	v_cmp_eq_u32_e32 vcc, v4, v3
	s_or_b64 s[0:1], vcc, s[0:1]
	v_mov_b32_e32 v4, v3
	s_andn2_b64 exec, exec, s[0:1]
	s_cbranch_execnz .LBB45_50
; %bb.51:
	s_or_b64 exec, exec, s[0:1]
	global_load_dword v4, v[1:2], off offset:4
	s_mov_b32 s0, 0x5040100
	v_perm_b32 v9, v9, v10, s0
	s_mov_b64 s[0:1], 0
.LBB45_52:                              ; =>This Inner Loop Header: Depth=1
	s_waitcnt vmcnt(0)
	v_pk_add_f16 v3, v9, v4
	global_atomic_cmpswap v3, v[1:2], v[3:4], off offset:4 glc
	s_waitcnt vmcnt(0)
	v_cmp_eq_u32_e32 vcc, v4, v3
	s_or_b64 s[0:1], vcc, s[0:1]
	v_mov_b32_e32 v4, v3
	s_andn2_b64 exec, exec, s[0:1]
	s_cbranch_execnz .LBB45_52
; %bb.53:
	s_or_b64 exec, exec, s[0:1]
	v_add_u32_e32 v0, s16, v0
	v_ashrrev_i32_e32 v1, 31, v0
	v_lshlrev_b64 v[0:1], 1, v[0:1]
	v_mov_b32_e32 v2, s15
	v_add_co_u32_e32 v0, vcc, s14, v0
	v_addc_co_u32_e32 v1, vcc, v2, v1, vcc
	global_load_dword v3, v[0:1], off
	s_mov_b32 s0, 0x5040100
	v_perm_b32 v4, v7, v8, s0
	s_mov_b64 s[0:1], 0
.LBB45_54:                              ; =>This Inner Loop Header: Depth=1
	s_waitcnt vmcnt(0)
	v_pk_add_f16 v2, v4, v3
	global_atomic_cmpswap v2, v[0:1], v[2:3], off glc
	s_waitcnt vmcnt(0)
	v_cmp_eq_u32_e32 vcc, v3, v2
	s_or_b64 s[0:1], vcc, s[0:1]
	v_mov_b32_e32 v3, v2
	s_andn2_b64 exec, exec, s[0:1]
	s_cbranch_execnz .LBB45_54
; %bb.55:
	s_or_b64 exec, exec, s[0:1]
	global_load_dword v3, v[0:1], off offset:4
	s_mov_b32 s0, 0x5040100
	v_perm_b32 v4, v5, v6, s0
	s_mov_b64 s[0:1], 0
.LBB45_56:                              ; =>This Inner Loop Header: Depth=1
	s_waitcnt vmcnt(0)
	v_pk_add_f16 v2, v4, v3
	global_atomic_cmpswap v2, v[0:1], v[2:3], off offset:4 glc
	s_waitcnt vmcnt(0)
	v_cmp_eq_u32_e32 vcc, v3, v2
	s_or_b64 s[0:1], vcc, s[0:1]
	v_mov_b32_e32 v3, v2
	s_andn2_b64 exec, exec, s[0:1]
	s_cbranch_execnz .LBB45_56
.LBB45_57:
	s_endpgm
	.section	.rodata,"a",@progbits
	.p2align	6, 0x0
	.amdhsa_kernel _ZN4vllm4gptq33gemm_half_q_half_gptq_4bit_kernelILb1ELi8EEEvPK6__halfPKjS6_S4_PS2_iiiibPKi
		.amdhsa_group_segment_fixed_size 2048
		.amdhsa_private_segment_fixed_size 88
		.amdhsa_kernarg_size 72
		.amdhsa_user_sgpr_count 6
		.amdhsa_user_sgpr_private_segment_buffer 1
		.amdhsa_user_sgpr_dispatch_ptr 0
		.amdhsa_user_sgpr_queue_ptr 0
		.amdhsa_user_sgpr_kernarg_segment_ptr 1
		.amdhsa_user_sgpr_dispatch_id 0
		.amdhsa_user_sgpr_flat_scratch_init 0
		.amdhsa_user_sgpr_private_segment_size 0
		.amdhsa_uses_dynamic_stack 0
		.amdhsa_system_sgpr_private_segment_wavefront_offset 1
		.amdhsa_system_sgpr_workgroup_id_x 1
		.amdhsa_system_sgpr_workgroup_id_y 1
		.amdhsa_system_sgpr_workgroup_id_z 1
		.amdhsa_system_sgpr_workgroup_info 0
		.amdhsa_system_vgpr_workitem_id 0
		.amdhsa_next_free_vgpr 64
		.amdhsa_next_free_sgpr 61
		.amdhsa_reserve_vcc 1
		.amdhsa_reserve_flat_scratch 0
		.amdhsa_float_round_mode_32 0
		.amdhsa_float_round_mode_16_64 0
		.amdhsa_float_denorm_mode_32 3
		.amdhsa_float_denorm_mode_16_64 3
		.amdhsa_dx10_clamp 1
		.amdhsa_ieee_mode 1
		.amdhsa_fp16_overflow 0
		.amdhsa_exception_fp_ieee_invalid_op 0
		.amdhsa_exception_fp_denorm_src 0
		.amdhsa_exception_fp_ieee_div_zero 0
		.amdhsa_exception_fp_ieee_overflow 0
		.amdhsa_exception_fp_ieee_underflow 0
		.amdhsa_exception_fp_ieee_inexact 0
		.amdhsa_exception_int_div_zero 0
	.end_amdhsa_kernel
	.section	.text._ZN4vllm4gptq33gemm_half_q_half_gptq_4bit_kernelILb1ELi8EEEvPK6__halfPKjS6_S4_PS2_iiiibPKi,"axG",@progbits,_ZN4vllm4gptq33gemm_half_q_half_gptq_4bit_kernelILb1ELi8EEEvPK6__halfPKjS6_S4_PS2_iiiibPKi,comdat
.Lfunc_end45:
	.size	_ZN4vllm4gptq33gemm_half_q_half_gptq_4bit_kernelILb1ELi8EEEvPK6__halfPKjS6_S4_PS2_iiiibPKi, .Lfunc_end45-_ZN4vllm4gptq33gemm_half_q_half_gptq_4bit_kernelILb1ELi8EEEvPK6__halfPKjS6_S4_PS2_iiiibPKi
                                        ; -- End function
	.set _ZN4vllm4gptq33gemm_half_q_half_gptq_4bit_kernelILb1ELi8EEEvPK6__halfPKjS6_S4_PS2_iiiibPKi.num_vgpr, 64
	.set _ZN4vllm4gptq33gemm_half_q_half_gptq_4bit_kernelILb1ELi8EEEvPK6__halfPKjS6_S4_PS2_iiiibPKi.num_agpr, 0
	.set _ZN4vllm4gptq33gemm_half_q_half_gptq_4bit_kernelILb1ELi8EEEvPK6__halfPKjS6_S4_PS2_iiiibPKi.numbered_sgpr, 32
	.set _ZN4vllm4gptq33gemm_half_q_half_gptq_4bit_kernelILb1ELi8EEEvPK6__halfPKjS6_S4_PS2_iiiibPKi.num_named_barrier, 0
	.set _ZN4vllm4gptq33gemm_half_q_half_gptq_4bit_kernelILb1ELi8EEEvPK6__halfPKjS6_S4_PS2_iiiibPKi.private_seg_size, 88
	.set _ZN4vllm4gptq33gemm_half_q_half_gptq_4bit_kernelILb1ELi8EEEvPK6__halfPKjS6_S4_PS2_iiiibPKi.uses_vcc, 1
	.set _ZN4vllm4gptq33gemm_half_q_half_gptq_4bit_kernelILb1ELi8EEEvPK6__halfPKjS6_S4_PS2_iiiibPKi.uses_flat_scratch, 0
	.set _ZN4vllm4gptq33gemm_half_q_half_gptq_4bit_kernelILb1ELi8EEEvPK6__halfPKjS6_S4_PS2_iiiibPKi.has_dyn_sized_stack, 0
	.set _ZN4vllm4gptq33gemm_half_q_half_gptq_4bit_kernelILb1ELi8EEEvPK6__halfPKjS6_S4_PS2_iiiibPKi.has_recursion, 0
	.set _ZN4vllm4gptq33gemm_half_q_half_gptq_4bit_kernelILb1ELi8EEEvPK6__halfPKjS6_S4_PS2_iiiibPKi.has_indirect_call, 0
	.section	.AMDGPU.csdata,"",@progbits
; Kernel info:
; codeLenInByte = 14340
; TotalNumSgprs: 36
; NumVgprs: 64
; ScratchSize: 88
; MemoryBound: 0
; FloatMode: 240
; IeeeMode: 1
; LDSByteSize: 2048 bytes/workgroup (compile time only)
; SGPRBlocks: 8
; VGPRBlocks: 15
; NumSGPRsForWavesPerEU: 65
; NumVGPRsForWavesPerEU: 64
; Occupancy: 4
; WaveLimiterHint : 0
; COMPUTE_PGM_RSRC2:SCRATCH_EN: 1
; COMPUTE_PGM_RSRC2:USER_SGPR: 6
; COMPUTE_PGM_RSRC2:TRAP_HANDLER: 0
; COMPUTE_PGM_RSRC2:TGID_X_EN: 1
; COMPUTE_PGM_RSRC2:TGID_Y_EN: 1
; COMPUTE_PGM_RSRC2:TGID_Z_EN: 1
; COMPUTE_PGM_RSRC2:TIDIG_COMP_CNT: 0
	.section	.text._ZN4vllm4gptq33gemm_half_q_half_gptq_8bit_kernelILb1ELi8EEEvPK6__halfPKjS6_S4_PS2_iiiibPKi,"axG",@progbits,_ZN4vllm4gptq33gemm_half_q_half_gptq_8bit_kernelILb1ELi8EEEvPK6__halfPKjS6_S4_PS2_iiiibPKi,comdat
	.protected	_ZN4vllm4gptq33gemm_half_q_half_gptq_8bit_kernelILb1ELi8EEEvPK6__halfPKjS6_S4_PS2_iiiibPKi ; -- Begin function _ZN4vllm4gptq33gemm_half_q_half_gptq_8bit_kernelILb1ELi8EEEvPK6__halfPKjS6_S4_PS2_iiiibPKi
	.globl	_ZN4vllm4gptq33gemm_half_q_half_gptq_8bit_kernelILb1ELi8EEEvPK6__halfPKjS6_S4_PS2_iiiibPKi
	.p2align	8
	.type	_ZN4vllm4gptq33gemm_half_q_half_gptq_8bit_kernelILb1ELi8EEEvPK6__halfPKjS6_S4_PS2_iiiibPKi,@function
_ZN4vllm4gptq33gemm_half_q_half_gptq_8bit_kernelILb1ELi8EEEvPK6__halfPKjS6_S4_PS2_iiiibPKi: ; @_ZN4vllm4gptq33gemm_half_q_half_gptq_8bit_kernelILb1ELi8EEEvPK6__halfPKjS6_S4_PS2_iiiibPKi
; %bb.0:
	s_mov_b64 s[30:31], s[2:3]
	s_load_dwordx4 s[16:19], s[4:5], 0x2c
	s_mov_b64 s[28:29], s[0:1]
	s_add_u32 s28, s28, s9
	s_addc_u32 s29, s29, 0
	s_lshl_b32 s24, s8, 7
	s_add_i32 s0, s24, 0x80
	v_cvt_f64_u32_e32 v[1:2], s0
	s_waitcnt lgkmcnt(0)
	v_cvt_f64_i32_e32 v[3:4], s17
	s_load_dwordx8 s[8:15], s[4:5], 0x8
	s_lshl_b32 s7, s7, 3
	v_min_f64 v[1:2], v[1:2], v[3:4]
	v_cvt_i32_f64_e32 v2, v[1:2]
	v_add_u32_e32 v1, s24, v0
	v_readfirstlane_b32 s25, v2
	v_cmp_lt_u32_e32 vcc, v1, v2
	s_and_saveexec_b64 s[2:3], vcc
	s_cbranch_execz .LBB46_18
; %bb.1:
	s_load_dwordx2 s[0:1], s[4:5], 0x40
	s_load_dwordx2 s[20:21], s[4:5], 0x0
	v_mov_b32_e32 v2, 0
	v_lshlrev_b64 v[3:4], 2, v[1:2]
	s_waitcnt lgkmcnt(0)
	v_mov_b32_e32 v5, s1
	v_add_co_u32_e32 v3, vcc, s0, v3
	s_cmp_lg_u64 s[0:1], 0
	v_addc_co_u32_e32 v4, vcc, v5, v4, vcc
	v_mov_b32_e32 v6, v2
	s_cselect_b64 s[4:5], -1, 0
	s_cmp_eq_u64 s[0:1], 0
	v_mov_b32_e32 v5, v1
	s_cbranch_scc1 .LBB46_3
; %bb.2:
	global_load_dword v5, v[3:4], off
	s_waitcnt vmcnt(0)
	v_ashrrev_i32_e32 v6, 31, v5
.LBB46_3:
	s_mul_i32 s22, s7, s17
	s_ashr_i32 s23, s22, 31
	s_lshl_b64 s[0:1], s[22:23], 1
	s_add_u32 s0, s20, s0
	v_lshlrev_b64 v[5:6], 1, v[5:6]
	s_addc_u32 s1, s21, s1
	v_mov_b32_e32 v7, s1
	v_add_co_u32_e32 v5, vcc, s0, v5
	v_addc_co_u32_e32 v6, vcc, v7, v6, vcc
	global_load_ushort v5, v[5:6], off
	v_lshlrev_b32_e32 v7, 1, v0
	v_cndmask_b32_e64 v6, 0, 1, s[4:5]
	v_cmp_ne_u32_e64 s[0:1], 1, v6
	s_andn2_b64 vcc, exec, s[4:5]
	s_waitcnt vmcnt(0)
	ds_write_b16 v7, v5
	v_mov_b32_e32 v6, v2
	v_mov_b32_e32 v5, v1
	s_cbranch_vccnz .LBB46_5
; %bb.4:
	global_load_dword v5, v[3:4], off
	s_waitcnt vmcnt(0)
	v_ashrrev_i32_e32 v6, 31, v5
.LBB46_5:
	s_add_i32 s4, s22, s17
	s_ashr_i32 s5, s4, 31
	s_lshl_b64 s[22:23], s[4:5], 1
	s_add_u32 s5, s20, s22
	v_lshlrev_b64 v[5:6], 1, v[5:6]
	s_addc_u32 s22, s21, s23
	v_mov_b32_e32 v8, s22
	v_add_co_u32_e32 v5, vcc, s5, v5
	v_addc_co_u32_e32 v6, vcc, v8, v6, vcc
	global_load_ushort v5, v[5:6], off
	s_and_b64 vcc, exec, s[0:1]
	s_waitcnt vmcnt(0)
	ds_write_b16 v7, v5 offset:256
	v_mov_b32_e32 v6, v2
	v_mov_b32_e32 v5, v1
	s_cbranch_vccnz .LBB46_7
; %bb.6:
	global_load_dword v5, v[3:4], off
	s_waitcnt vmcnt(0)
	v_ashrrev_i32_e32 v6, 31, v5
.LBB46_7:
	s_add_i32 s4, s4, s17
	s_ashr_i32 s5, s4, 31
	s_lshl_b64 s[22:23], s[4:5], 1
	s_add_u32 s5, s20, s22
	v_lshlrev_b64 v[5:6], 1, v[5:6]
	s_addc_u32 s22, s21, s23
	v_mov_b32_e32 v8, s22
	v_add_co_u32_e32 v5, vcc, s5, v5
	v_addc_co_u32_e32 v6, vcc, v8, v6, vcc
	global_load_ushort v5, v[5:6], off
	s_and_b64 vcc, exec, s[0:1]
	s_waitcnt vmcnt(0)
	ds_write_b16 v7, v5 offset:512
	;; [unrolled: 21-line block ×6, first 2 shown]
	s_cbranch_vccnz .LBB46_17
; %bb.16:
	global_load_dword v1, v[3:4], off
	s_waitcnt vmcnt(0)
	v_ashrrev_i32_e32 v2, 31, v1
.LBB46_17:
	s_add_i32 s0, s4, s17
	s_ashr_i32 s1, s0, 31
	s_lshl_b64 s[0:1], s[0:1], 1
	s_add_u32 s0, s20, s0
	v_lshlrev_b64 v[1:2], 1, v[1:2]
	s_addc_u32 s1, s21, s1
	v_mov_b32_e32 v3, s1
	v_add_co_u32_e32 v1, vcc, s0, v1
	v_addc_co_u32_e32 v2, vcc, v3, v2, vcc
	global_load_ushort v1, v[1:2], off
	s_waitcnt vmcnt(0)
	ds_write_b16 v7, v1 offset:1792
.LBB46_18:
	s_or_b64 exec, exec, s[2:3]
	v_lshlrev_b32_e32 v0, 2, v0
	v_lshl_add_u32 v1, s6, 9, v0
	v_mov_b32_e32 v0, v1
	buffer_store_dword v0, off, s[28:31], 0 offset:180 ; 4-byte Folded Spill
	s_nop 0
	buffer_store_dword v1, off, s[28:31], 0 offset:184 ; 4-byte Folded Spill
	v_cmp_gt_i32_e32 vcc, s16, v1
	s_and_saveexec_b64 s[0:1], vcc
	s_cbranch_execz .LBB46_57
; %bb.19:
	s_abs_i32 s0, s18
	v_cvt_f32_u32_e32 v0, s0
	s_mov_b32 s2, 0
	v_mov_b32_e32 v22, 0
	v_mov_b32_e32 v27, 0
	v_rcp_iflag_f32_e32 v0, v0
	v_mov_b32_e32 v24, 0
	v_mov_b32_e32 v11, 0
	s_cmp_ge_i32 s24, s25
	v_mul_f32_e32 v0, 0x4f7ffffe, v0
	v_cvt_u32_f32_e32 v0, v0
	v_mov_b32_e32 v15, 0
	v_mov_b32_e32 v14, 0
	;; [unrolled: 1-line block ×3, first 2 shown]
	v_readfirstlane_b32 s1, v0
	v_mov_b32_e32 v17, 0
	v_mov_b32_e32 v26, 0
	;; [unrolled: 1-line block ×9, first 2 shown]
	s_waitcnt vmcnt(0) lgkmcnt(0)
	s_barrier
	s_cbranch_scc1 .LBB46_25
; %bb.20:
	buffer_load_dword v1, off, s[28:31], 0 offset:180 ; 4-byte Folded Reload
	buffer_load_dword v2, off, s[28:31], 0 offset:184 ; 4-byte Folded Reload
	s_sub_i32 s6, 0, s0
	s_mul_i32 s6, s6, s1
	s_mul_hi_u32 s6, s1, s6
	s_abs_i32 s5, s17
	s_add_i32 s1, s1, s6
	s_ashr_i32 s3, s17, 31
	s_ashr_i32 s4, s18, 31
	s_mul_hi_u32 s1, s5, s1
	s_xor_b32 s3, s3, s4
	s_mul_i32 s4, s1, s0
	s_sub_i32 s4, s5, s4
	s_add_i32 s5, s1, 1
	s_sub_i32 s6, s4, s0
	s_cmp_ge_u32 s4, s0
	s_cselect_b32 s1, s5, s1
	s_cselect_b32 s4, s6, s4
	s_add_i32 s5, s1, 1
	s_cmp_ge_u32 s4, s0
	s_cselect_b32 s0, s5, s1
	s_xor_b32 s0, s0, s3
	s_sub_i32 s3, s0, s3
	v_cvt_f32_u32_e32 v0, s3
	s_bitcmp1_b32 s19, 0
	s_cselect_b64 s[0:1], -1, 0
	s_sub_i32 s4, 0, s3
	v_rcp_iflag_f32_e32 v0, v0
	s_xor_b64 s[0:1], s[0:1], -1
	v_mov_b32_e32 v5, s11
	v_mov_b32_e32 v4, s13
	v_mul_f32_e32 v0, 0x4f7ffffe, v0
	v_cvt_u32_f32_e32 v0, v0
	v_mov_b32_e32 v25, 0
	v_mov_b32_e32 v8, 0
	;; [unrolled: 1-line block ×3, first 2 shown]
	v_readfirstlane_b32 s5, v0
	s_mul_i32 s4, s4, s5
	s_mul_hi_u32 s4, s5, s4
	s_add_i32 s5, s5, s4
	s_mul_hi_u32 s4, s24, s5
	s_mul_i32 s5, s4, s3
	s_sub_i32 s5, s24, s5
	s_add_i32 s6, s4, 1
	s_sub_i32 s17, s5, s3
	s_cmp_ge_u32 s5, s3
	s_cselect_b32 s4, s6, s4
	s_cselect_b32 s5, s17, s5
	s_add_i32 s6, s4, 1
	s_cmp_ge_u32 s5, s3
	s_cselect_b32 s4, s6, s4
	s_mul_i32 s5, s4, s16
	s_ashr_i32 s6, s5, 31
	s_lshr_b32 s6, s6, 30
	v_mov_b32_e32 v58, 0
	v_mov_b32_e32 v31, 0
	;; [unrolled: 1-line block ×13, first 2 shown]
	s_waitcnt vmcnt(1)
	v_mov_b32_e32 v6, v1
	v_add_u32_e32 v0, s5, v6
	s_add_i32 s5, s5, s6
	s_waitcnt vmcnt(0)
	v_ashrrev_i32_e32 v2, 2, v6
	s_ashr_i32 s5, s5, 2
	buffer_store_dword v2, off, s[28:31], 0 offset:188 ; 4-byte Folded Spill
	v_add_u32_e32 v2, s5, v2
	v_ashrrev_i32_e32 v3, 31, v2
	v_lshlrev_b64 v[2:3], 2, v[2:3]
	v_ashrrev_i32_e32 v1, 31, v0
	v_lshlrev_b64 v[0:1], 1, v[0:1]
	v_add_co_u32_e32 v2, vcc, s10, v2
	v_addc_co_u32_e32 v3, vcc, v5, v3, vcc
	v_add_co_u32_e32 v0, vcc, s12, v0
	global_load_dword v2, v[2:3], off
	v_addc_co_u32_e32 v1, vcc, v4, v1, vcc
	global_load_dwordx2 v[29:30], v[0:1], off
	v_cndmask_b32_e64 v3, 0, 1, s[0:1]
	s_lshr_b32 s0, s24, 2
	s_mul_i32 s0, s16, s0
	v_mov_b32_e32 v0, v6
	s_ashr_i32 s1, s0, 31
	v_ashrrev_i32_e32 v7, 31, v6
	buffer_store_dword v0, off, s[28:31], 0 offset:180 ; 4-byte Folded Spill
	s_nop 0
	buffer_store_dword v1, off, s[28:31], 0 offset:184 ; 4-byte Folded Spill
	s_lshl_b64 s[0:1], s[0:1], 2
	v_lshlrev_b64 v[0:1], 2, v[6:7]
	s_add_u32 s6, s8, s0
	s_addc_u32 s0, s9, s1
	buffer_store_dword v3, off, s[28:31], 0 offset:176 ; 4-byte Folded Spill
	s_ashr_i32 s17, s16, 31
	v_mov_b32_e32 v3, s0
	v_add_co_u32_e32 v0, vcc, s6, v0
	s_add_i32 s5, s3, s24
	s_lshl_b64 s[0:1], s[16:17], 2
	v_addc_co_u32_e32 v1, vcc, v3, v1, vcc
	s_waitcnt vmcnt(4)
	v_and_b32_e32 v3, 0xff, v2
	v_bfe_u32 v5, v2, 8, 8
	v_bfe_u32 v6, v2, 16, 8
	v_lshrrev_b32_e32 v4, 24, v2
.LBB46_21:                              ; =>This Inner Loop Header: Depth=1
	s_cmp_lg_u32 s24, s5
	buffer_store_dword v11, off, s[28:31], 0 ; 4-byte Folded Spill
	buffer_store_dword v14, off, s[28:31], 0 offset:4 ; 4-byte Folded Spill
	buffer_store_dword v15, off, s[28:31], 0 offset:8 ; 4-byte Folded Spill
	;; [unrolled: 1-line block ×11, first 2 shown]
	s_cbranch_scc1 .LBB46_23
; %bb.22:                               ;   in Loop: Header=BB46_21 Depth=1
	buffer_load_dword v2, off, s[28:31], 0 offset:188 ; 4-byte Folded Reload
	s_add_i32 s4, s4, 1
	s_mul_i32 s6, s4, s16
	s_ashr_i32 s8, s6, 31
	s_lshr_b32 s8, s8, 30
	s_add_i32 s8, s6, s8
	s_ashr_i32 s8, s8, 2
	s_waitcnt vmcnt(13)
	v_mov_b32_e32 v4, s11
	v_mov_b32_e32 v5, s13
	s_add_i32 s5, s5, s3
	s_waitcnt vmcnt(0)
	v_add_u32_e32 v2, s8, v2
	v_ashrrev_i32_e32 v3, 31, v2
	v_lshlrev_b64 v[2:3], 2, v[2:3]
	v_add_co_u32_e32 v2, vcc, s10, v2
	v_addc_co_u32_e32 v3, vcc, v4, v3, vcc
	global_load_dword v4, v[2:3], off
	s_nop 0
	buffer_load_dword v2, off, s[28:31], 0 offset:180 ; 4-byte Folded Reload
	buffer_load_dword v3, off, s[28:31], 0 offset:184 ; 4-byte Folded Reload
	s_waitcnt vmcnt(1)
	v_add_u32_e32 v2, s6, v2
	s_waitcnt vmcnt(0)
	v_ashrrev_i32_e32 v3, 31, v2
	v_lshlrev_b64 v[2:3], 1, v[2:3]
	v_bfe_u32 v6, v4, 16, 8
	v_add_co_u32_e32 v2, vcc, s12, v2
	v_addc_co_u32_e32 v3, vcc, v5, v3, vcc
	global_load_dwordx2 v[29:30], v[2:3], off
	v_and_b32_e32 v3, 0xff, v4
	v_bfe_u32 v5, v4, 8, 8
	v_lshrrev_b32_e32 v4, 24, v4
.LBB46_23:                              ;   in Loop: Header=BB46_21 Depth=1
	buffer_load_dword v2, off, s[28:31], 0 offset:176 ; 4-byte Folded Reload
	v_add_co_u32_e32 v12, vcc, s0, v0
	s_waitcnt vmcnt(15)
	buffer_store_dword v5, off, s[28:31], 0 offset:164 ; 4-byte Folded Spill
	s_waitcnt vmcnt(15)
	buffer_store_dword v6, off, s[28:31], 0 offset:168 ; 4-byte Folded Spill
	;; [unrolled: 2-line block ×3, first 2 shown]
	buffer_store_dword v3, off, s[28:31], 0 offset:160 ; 4-byte Folded Spill
	v_mov_b32_e32 v28, s2
	s_add_i32 s2, s2, 64
	s_add_i32 s24, s24, 32
	s_cmp_ge_i32 s24, s25
	s_waitcnt vmcnt(4)
	v_add_u32_e32 v31, v5, v2
	v_add_u32_e32 v17, v6, v2
	;; [unrolled: 1-line block ×3, first 2 shown]
	global_load_dwordx4 v[4:7], v[0:1], off
	v_mov_b32_e32 v0, s1
	v_addc_co_u32_e32 v13, vcc, v1, v0, vcc
	v_add_u32_e32 v32, v3, v2
	buffer_store_dword v0, off, s[28:31], 0 offset:156 ; 4-byte Folded Spill
	global_load_dwordx4 v[0:3], v[12:13], off
	s_waitcnt vmcnt(2)
	v_sub_u32_sdwa v8, v4, v32 dst_sel:DWORD dst_unused:UNUSED_PAD src0_sel:BYTE_0 src1_sel:DWORD
	v_cvt_f32_i32_e32 v8, v8
	v_cvt_f16_f32_e32 v37, v8
	v_sub_u32_sdwa v8, v4, v32 dst_sel:DWORD dst_unused:UNUSED_PAD src0_sel:BYTE_1 src1_sel:DWORD
	v_cvt_f32_i32_e32 v8, v8
	v_cvt_f16_f32_e32 v38, v8
	v_sub_u32_sdwa v8, v4, v32 dst_sel:DWORD dst_unused:UNUSED_PAD src0_sel:BYTE_2 src1_sel:DWORD
	v_sub_u32_sdwa v4, v4, v32 dst_sel:DWORD dst_unused:UNUSED_PAD src0_sel:BYTE_3 src1_sel:DWORD
	v_cvt_f32_i32_e32 v4, v4
	v_cvt_f32_i32_e32 v8, v8
	v_cvt_f16_f32_e32 v40, v4
	s_waitcnt vmcnt(0)
	v_sub_u32_sdwa v4, v0, v32 dst_sel:DWORD dst_unused:UNUSED_PAD src0_sel:BYTE_0 src1_sel:DWORD
	v_cvt_f32_i32_e32 v4, v4
	v_cvt_f16_f32_e32 v39, v8
	v_cvt_f16_f32_e32 v41, v4
	v_sub_u32_sdwa v4, v0, v32 dst_sel:DWORD dst_unused:UNUSED_PAD src0_sel:BYTE_1 src1_sel:DWORD
	v_cvt_f32_i32_e32 v4, v4
	v_cvt_f16_f32_e32 v42, v4
	v_sub_u32_sdwa v4, v0, v32 dst_sel:DWORD dst_unused:UNUSED_PAD src0_sel:BYTE_2 src1_sel:DWORD
	v_sub_u32_sdwa v0, v0, v32 dst_sel:DWORD dst_unused:UNUSED_PAD src0_sel:BYTE_3 src1_sel:DWORD
	v_cvt_f32_i32_e32 v0, v0
	v_cvt_f32_i32_e32 v4, v4
	v_cvt_f16_f32_e32 v44, v0
	v_sub_u32_sdwa v0, v5, v31 dst_sel:DWORD dst_unused:UNUSED_PAD src0_sel:BYTE_0 src1_sel:DWORD
	v_cvt_f32_i32_e32 v0, v0
	v_cvt_f16_f32_e32 v43, v4
	v_cvt_f16_f32_e32 v45, v0
	v_sub_u32_sdwa v0, v5, v31 dst_sel:DWORD dst_unused:UNUSED_PAD src0_sel:BYTE_1 src1_sel:DWORD
	v_cvt_f32_i32_e32 v0, v0
	v_cvt_f16_f32_e32 v46, v0
	v_sub_u32_sdwa v0, v5, v31 dst_sel:DWORD dst_unused:UNUSED_PAD src0_sel:BYTE_2 src1_sel:DWORD
	v_cvt_f32_i32_e32 v0, v0
	v_cvt_f16_f32_e32 v48, v0
	v_sub_u32_sdwa v0, v5, v31 dst_sel:DWORD dst_unused:UNUSED_PAD src0_sel:BYTE_3 src1_sel:DWORD
	v_cvt_f32_i32_e32 v0, v0
	v_cvt_f16_f32_e32 v49, v0
	v_sub_u32_sdwa v0, v1, v31 dst_sel:DWORD dst_unused:UNUSED_PAD src0_sel:BYTE_0 src1_sel:DWORD
	v_cvt_f32_i32_e32 v0, v0
	v_cvt_f16_f32_e32 v50, v0
	v_sub_u32_sdwa v0, v1, v31 dst_sel:DWORD dst_unused:UNUSED_PAD src0_sel:BYTE_1 src1_sel:DWORD
	v_cvt_f32_i32_e32 v0, v0
	v_cvt_f16_f32_e32 v51, v0
	v_sub_u32_sdwa v0, v1, v31 dst_sel:DWORD dst_unused:UNUSED_PAD src0_sel:BYTE_2 src1_sel:DWORD
	v_cvt_f32_i32_e32 v0, v0
	v_cvt_f16_f32_e32 v52, v0
	v_sub_u32_sdwa v0, v1, v31 dst_sel:DWORD dst_unused:UNUSED_PAD src0_sel:BYTE_3 src1_sel:DWORD
	v_cvt_f32_i32_e32 v0, v0
	v_cvt_f16_f32_e32 v53, v0
	v_sub_u32_sdwa v0, v6, v17 dst_sel:DWORD dst_unused:UNUSED_PAD src0_sel:BYTE_0 src1_sel:DWORD
	v_cvt_f32_i32_e32 v0, v0
	;; [unrolled: 12-line block ×5, first 2 shown]
	v_cvt_f16_f32_e32 v18, v0
	v_sub_u32_sdwa v0, v3, v63 dst_sel:DWORD dst_unused:UNUSED_PAD src0_sel:BYTE_1 src1_sel:DWORD
	v_cvt_f32_i32_e32 v0, v0
	v_cvt_f16_f32_e32 v20, v0
	v_sub_u32_sdwa v0, v3, v63 dst_sel:DWORD dst_unused:UNUSED_PAD src0_sel:BYTE_2 src1_sel:DWORD
	v_cvt_f32_i32_e32 v0, v0
	v_sub_u32_sdwa v3, v3, v63 dst_sel:DWORD dst_unused:UNUSED_PAD src0_sel:BYTE_3 src1_sel:DWORD
	v_cvt_f16_f32_e32 v19, v0
	v_cvt_f32_i32_e32 v0, v3
	v_cvt_f16_f32_e32 v62, v0
	ds_read_b128 v[0:3], v28
	ds_read_b128 v[8:11], v28 offset:16
	ds_read_b128 v[33:36], v28 offset:32
	;; [unrolled: 1-line block ×3, first 2 shown]
	s_waitcnt lgkmcnt(3)
	v_fma_mix_f32 v7, v37, v0, 0 op_sel_hi:[1,1,0]
	v_fma_mix_f32 v7, v38, v0, v7 op_sel:[0,1,0] op_sel_hi:[1,1,0]
	v_fma_mix_f32 v7, v39, v1, v7 op_sel_hi:[1,1,0]
	v_fma_mix_f32 v7, v40, v1, v7 op_sel:[0,1,0] op_sel_hi:[1,1,0]
	v_fma_mix_f32 v7, v41, v2, v7 op_sel_hi:[1,1,0]
	v_fma_mix_f32 v7, v42, v2, v7 op_sel:[0,1,0] op_sel_hi:[1,1,0]
	v_fma_mix_f32 v7, v43, v3, v7 op_sel_hi:[1,1,0]
	v_fma_mix_f32 v7, v44, v3, v7 op_sel:[0,1,0] op_sel_hi:[1,1,0]
	v_fma_mixlo_f16 v7, v7, v29, 0 op_sel_hi:[0,1,0]
	v_add_f16_e32 v26, v22, v7
	v_fma_mix_f32 v7, v45, v0, 0 op_sel_hi:[1,1,0]
	v_fma_mix_f32 v7, v46, v0, v7 op_sel:[0,1,0] op_sel_hi:[1,1,0]
	v_fma_mix_f32 v7, v48, v1, v7 op_sel_hi:[1,1,0]
	v_fma_mix_f32 v7, v49, v1, v7 op_sel:[0,1,0] op_sel_hi:[1,1,0]
	;; [unrolled: 2-line block ×4, first 2 shown]
	v_fma_mixlo_f16 v7, v7, v29, 0 op_sel:[0,1,0] op_sel_hi:[0,1,0]
	v_add_f16_sdwa v22, v22, v7 dst_sel:DWORD dst_unused:UNUSED_PAD src0_sel:WORD_1 src1_sel:DWORD
	v_fma_mix_f32 v7, v54, v0, 0 op_sel_hi:[1,1,0]
	v_fma_mix_f32 v7, v55, v0, v7 op_sel:[0,1,0] op_sel_hi:[1,1,0]
	v_fma_mix_f32 v7, v56, v1, v7 op_sel_hi:[1,1,0]
	v_fma_mix_f32 v7, v57, v1, v7 op_sel:[0,1,0] op_sel_hi:[1,1,0]
	v_fma_mix_f32 v7, v4, v2, v7 op_sel_hi:[1,1,0]
	v_fma_mix_f32 v7, v6, v2, v7 op_sel:[0,1,0] op_sel_hi:[1,1,0]
	v_fma_mix_f32 v7, v21, v3, v7 op_sel_hi:[1,1,0]
	v_fma_mix_f32 v7, v16, v3, v7 op_sel:[0,1,0] op_sel_hi:[1,1,0]
	v_fma_mixlo_f16 v7, v7, v30, 0 op_sel_hi:[0,1,0]
	v_add_f16_e32 v23, v27, v7
	v_fma_mix_f32 v7, v47, v0, 0 op_sel_hi:[1,1,0]
	v_fma_mix_f32 v0, v5, v0, v7 op_sel:[0,1,0] op_sel_hi:[1,1,0]
	v_fma_mix_f32 v0, v14, v1, v0 op_sel_hi:[1,1,0]
	v_fma_mix_f32 v0, v15, v1, v0 op_sel:[0,1,0] op_sel_hi:[1,1,0]
	;; [unrolled: 2-line block ×4, first 2 shown]
	v_fma_mixlo_f16 v0, v0, v30, 0 op_sel:[0,1,0] op_sel_hi:[0,1,0]
	v_add_f16_sdwa v27, v27, v0 dst_sel:DWORD dst_unused:UNUSED_PAD src0_sel:WORD_1 src1_sel:DWORD
	ds_read_b128 v[0:3], v28 offset:256
	s_waitcnt lgkmcnt(0)
	v_fma_mix_f32 v7, v37, v0, 0 op_sel_hi:[1,1,0]
	v_fma_mix_f32 v7, v38, v0, v7 op_sel:[0,1,0] op_sel_hi:[1,1,0]
	v_fma_mix_f32 v7, v39, v1, v7 op_sel_hi:[1,1,0]
	v_fma_mix_f32 v7, v40, v1, v7 op_sel:[0,1,0] op_sel_hi:[1,1,0]
	;; [unrolled: 2-line block ×4, first 2 shown]
	v_fma_mixlo_f16 v7, v7, v29, 0 op_sel_hi:[0,1,0]
	v_add_f16_e32 v7, v24, v7
	buffer_store_dword v7, off, s[28:31], 0 offset:128 ; 4-byte Folded Spill
	v_fma_mix_f32 v7, v45, v0, 0 op_sel_hi:[1,1,0]
	v_fma_mix_f32 v7, v46, v0, v7 op_sel:[0,1,0] op_sel_hi:[1,1,0]
	v_fma_mix_f32 v7, v48, v1, v7 op_sel_hi:[1,1,0]
	v_fma_mix_f32 v7, v49, v1, v7 op_sel:[0,1,0] op_sel_hi:[1,1,0]
	;; [unrolled: 2-line block ×4, first 2 shown]
	v_fma_mixlo_f16 v7, v7, v29, 0 op_sel:[0,1,0] op_sel_hi:[0,1,0]
	v_add_f16_sdwa v7, v24, v7 dst_sel:DWORD dst_unused:UNUSED_PAD src0_sel:WORD_1 src1_sel:DWORD
	buffer_load_dword v24, off, s[28:31], 0 ; 4-byte Folded Reload
	s_nop 0
	buffer_store_dword v7, off, s[28:31], 0 offset:132 ; 4-byte Folded Spill
	v_fma_mix_f32 v7, v54, v0, 0 op_sel_hi:[1,1,0]
	v_fma_mix_f32 v7, v55, v0, v7 op_sel:[0,1,0] op_sel_hi:[1,1,0]
	v_fma_mix_f32 v7, v56, v1, v7 op_sel_hi:[1,1,0]
	v_fma_mix_f32 v7, v57, v1, v7 op_sel:[0,1,0] op_sel_hi:[1,1,0]
	v_fma_mix_f32 v7, v4, v2, v7 op_sel_hi:[1,1,0]
	v_fma_mix_f32 v7, v6, v2, v7 op_sel:[0,1,0] op_sel_hi:[1,1,0]
	v_fma_mix_f32 v7, v21, v3, v7 op_sel_hi:[1,1,0]
	v_fma_mix_f32 v7, v16, v3, v7 op_sel:[0,1,0] op_sel_hi:[1,1,0]
	v_fma_mixlo_f16 v7, v7, v30, 0 op_sel_hi:[0,1,0]
	s_waitcnt vmcnt(1)
	v_add_f16_e32 v7, v24, v7
	buffer_store_dword v7, off, s[28:31], 0 offset:136 ; 4-byte Folded Spill
	v_fma_mix_f32 v7, v47, v0, 0 op_sel_hi:[1,1,0]
	v_fma_mix_f32 v0, v5, v0, v7 op_sel:[0,1,0] op_sel_hi:[1,1,0]
	v_fma_mix_f32 v0, v14, v1, v0 op_sel_hi:[1,1,0]
	v_fma_mix_f32 v0, v15, v1, v0 op_sel:[0,1,0] op_sel_hi:[1,1,0]
	v_fma_mix_f32 v0, v18, v2, v0 op_sel_hi:[1,1,0]
	v_fma_mix_f32 v0, v20, v2, v0 op_sel:[0,1,0] op_sel_hi:[1,1,0]
	v_fma_mix_f32 v0, v19, v3, v0 op_sel_hi:[1,1,0]
	v_fma_mix_f32 v0, v62, v3, v0 op_sel:[0,1,0] op_sel_hi:[1,1,0]
	v_fma_mixlo_f16 v0, v0, v30, 0 op_sel:[0,1,0] op_sel_hi:[0,1,0]
	v_add_f16_sdwa v0, v24, v0 dst_sel:DWORD dst_unused:UNUSED_PAD src0_sel:WORD_1 src1_sel:DWORD
	buffer_load_dword v24, off, s[28:31], 0 offset:8 ; 4-byte Folded Reload
	s_nop 0
	buffer_store_dword v0, off, s[28:31], 0 offset:140 ; 4-byte Folded Spill
	ds_read_b128 v[0:3], v28 offset:512
	s_waitcnt lgkmcnt(0)
	v_fma_mix_f32 v7, v37, v0, 0 op_sel_hi:[1,1,0]
	v_fma_mix_f32 v7, v38, v0, v7 op_sel:[0,1,0] op_sel_hi:[1,1,0]
	v_fma_mix_f32 v7, v39, v1, v7 op_sel_hi:[1,1,0]
	v_fma_mix_f32 v7, v40, v1, v7 op_sel:[0,1,0] op_sel_hi:[1,1,0]
	v_fma_mix_f32 v7, v41, v2, v7 op_sel_hi:[1,1,0]
	v_fma_mix_f32 v7, v42, v2, v7 op_sel:[0,1,0] op_sel_hi:[1,1,0]
	v_fma_mix_f32 v7, v43, v3, v7 op_sel_hi:[1,1,0]
	v_fma_mix_f32 v7, v44, v3, v7 op_sel:[0,1,0] op_sel_hi:[1,1,0]
	v_fma_mixlo_f16 v7, v7, v29, 0 op_sel_hi:[0,1,0]
	s_waitcnt vmcnt(1)
	v_add_f16_e32 v7, v24, v7
	buffer_store_dword v7, off, s[28:31], 0 offset:48 ; 4-byte Folded Spill
	v_fma_mix_f32 v7, v45, v0, 0 op_sel_hi:[1,1,0]
	v_fma_mix_f32 v7, v46, v0, v7 op_sel:[0,1,0] op_sel_hi:[1,1,0]
	v_fma_mix_f32 v7, v48, v1, v7 op_sel_hi:[1,1,0]
	v_fma_mix_f32 v7, v49, v1, v7 op_sel:[0,1,0] op_sel_hi:[1,1,0]
	v_fma_mix_f32 v7, v50, v2, v7 op_sel_hi:[1,1,0]
	v_fma_mix_f32 v7, v51, v2, v7 op_sel:[0,1,0] op_sel_hi:[1,1,0]
	v_fma_mix_f32 v7, v52, v3, v7 op_sel_hi:[1,1,0]
	v_fma_mix_f32 v7, v53, v3, v7 op_sel:[0,1,0] op_sel_hi:[1,1,0]
	v_fma_mixlo_f16 v7, v7, v29, 0 op_sel:[0,1,0] op_sel_hi:[0,1,0]
	v_add_f16_sdwa v7, v24, v7 dst_sel:DWORD dst_unused:UNUSED_PAD src0_sel:WORD_1 src1_sel:DWORD
	buffer_load_dword v24, off, s[28:31], 0 offset:4 ; 4-byte Folded Reload
	s_nop 0
	buffer_store_dword v7, off, s[28:31], 0 offset:52 ; 4-byte Folded Spill
	v_fma_mix_f32 v7, v54, v0, 0 op_sel_hi:[1,1,0]
	v_fma_mix_f32 v7, v55, v0, v7 op_sel:[0,1,0] op_sel_hi:[1,1,0]
	v_fma_mix_f32 v7, v56, v1, v7 op_sel_hi:[1,1,0]
	v_fma_mix_f32 v7, v57, v1, v7 op_sel:[0,1,0] op_sel_hi:[1,1,0]
	v_fma_mix_f32 v7, v4, v2, v7 op_sel_hi:[1,1,0]
	v_fma_mix_f32 v7, v6, v2, v7 op_sel:[0,1,0] op_sel_hi:[1,1,0]
	v_fma_mix_f32 v7, v21, v3, v7 op_sel_hi:[1,1,0]
	v_fma_mix_f32 v7, v16, v3, v7 op_sel:[0,1,0] op_sel_hi:[1,1,0]
	v_fma_mixlo_f16 v7, v7, v30, 0 op_sel_hi:[0,1,0]
	s_waitcnt vmcnt(1)
	v_add_f16_e32 v7, v24, v7
	buffer_store_dword v7, off, s[28:31], 0 offset:120 ; 4-byte Folded Spill
	v_fma_mix_f32 v7, v47, v0, 0 op_sel_hi:[1,1,0]
	v_fma_mix_f32 v0, v5, v0, v7 op_sel:[0,1,0] op_sel_hi:[1,1,0]
	v_fma_mix_f32 v0, v14, v1, v0 op_sel_hi:[1,1,0]
	v_fma_mix_f32 v0, v15, v1, v0 op_sel:[0,1,0] op_sel_hi:[1,1,0]
	v_fma_mix_f32 v0, v18, v2, v0 op_sel_hi:[1,1,0]
	v_fma_mix_f32 v0, v20, v2, v0 op_sel:[0,1,0] op_sel_hi:[1,1,0]
	v_fma_mix_f32 v0, v19, v3, v0 op_sel_hi:[1,1,0]
	v_fma_mix_f32 v0, v62, v3, v0 op_sel:[0,1,0] op_sel_hi:[1,1,0]
	v_fma_mixlo_f16 v0, v0, v30, 0 op_sel:[0,1,0] op_sel_hi:[0,1,0]
	v_add_f16_sdwa v0, v24, v0 dst_sel:DWORD dst_unused:UNUSED_PAD src0_sel:WORD_1 src1_sel:DWORD
	buffer_load_dword v24, off, s[28:31], 0 offset:16 ; 4-byte Folded Reload
	s_nop 0
	buffer_store_dword v0, off, s[28:31], 0 offset:124 ; 4-byte Folded Spill
	ds_read_b128 v[0:3], v28 offset:768
	s_waitcnt lgkmcnt(0)
	v_fma_mix_f32 v7, v37, v0, 0 op_sel_hi:[1,1,0]
	v_fma_mix_f32 v7, v38, v0, v7 op_sel:[0,1,0] op_sel_hi:[1,1,0]
	v_fma_mix_f32 v7, v39, v1, v7 op_sel_hi:[1,1,0]
	v_fma_mix_f32 v7, v40, v1, v7 op_sel:[0,1,0] op_sel_hi:[1,1,0]
	v_fma_mix_f32 v7, v41, v2, v7 op_sel_hi:[1,1,0]
	v_fma_mix_f32 v7, v42, v2, v7 op_sel:[0,1,0] op_sel_hi:[1,1,0]
	v_fma_mix_f32 v7, v43, v3, v7 op_sel_hi:[1,1,0]
	v_fma_mix_f32 v7, v44, v3, v7 op_sel:[0,1,0] op_sel_hi:[1,1,0]
	v_fma_mixlo_f16 v7, v7, v29, 0 op_sel_hi:[0,1,0]
	s_waitcnt vmcnt(1)
	v_add_f16_e32 v7, v24, v7
	buffer_store_dword v7, off, s[28:31], 0 offset:72 ; 4-byte Folded Spill
	v_fma_mix_f32 v7, v45, v0, 0 op_sel_hi:[1,1,0]
	v_fma_mix_f32 v7, v46, v0, v7 op_sel:[0,1,0] op_sel_hi:[1,1,0]
	v_fma_mix_f32 v7, v48, v1, v7 op_sel_hi:[1,1,0]
	v_fma_mix_f32 v7, v49, v1, v7 op_sel:[0,1,0] op_sel_hi:[1,1,0]
	v_fma_mix_f32 v7, v50, v2, v7 op_sel_hi:[1,1,0]
	v_fma_mix_f32 v7, v51, v2, v7 op_sel:[0,1,0] op_sel_hi:[1,1,0]
	v_fma_mix_f32 v7, v52, v3, v7 op_sel_hi:[1,1,0]
	v_fma_mix_f32 v7, v53, v3, v7 op_sel:[0,1,0] op_sel_hi:[1,1,0]
	v_fma_mixlo_f16 v7, v7, v29, 0 op_sel:[0,1,0] op_sel_hi:[0,1,0]
	v_add_f16_sdwa v7, v24, v7 dst_sel:DWORD dst_unused:UNUSED_PAD src0_sel:WORD_1 src1_sel:DWORD
	buffer_load_dword v24, off, s[28:31], 0 offset:12 ; 4-byte Folded Reload
	;; [unrolled: 52-line block ×5, first 2 shown]
	s_nop 0
	buffer_store_dword v7, off, s[28:31], 0 offset:60 ; 4-byte Folded Spill
	v_fma_mix_f32 v7, v54, v0, 0 op_sel_hi:[1,1,0]
	v_fma_mix_f32 v7, v55, v0, v7 op_sel:[0,1,0] op_sel_hi:[1,1,0]
	v_fma_mix_f32 v7, v56, v1, v7 op_sel_hi:[1,1,0]
	v_fma_mix_f32 v7, v57, v1, v7 op_sel:[0,1,0] op_sel_hi:[1,1,0]
	;; [unrolled: 2-line block ×4, first 2 shown]
	v_fma_mixlo_f16 v7, v7, v30, 0 op_sel_hi:[0,1,0]
	s_waitcnt vmcnt(1)
	v_add_f16_e32 v7, v24, v7
	buffer_store_dword v7, off, s[28:31], 0 offset:64 ; 4-byte Folded Spill
	v_fma_mix_f32 v7, v47, v0, 0 op_sel_hi:[1,1,0]
	v_fma_mix_f32 v0, v5, v0, v7 op_sel:[0,1,0] op_sel_hi:[1,1,0]
	v_fma_mix_f32 v0, v14, v1, v0 op_sel_hi:[1,1,0]
	v_fma_mix_f32 v0, v15, v1, v0 op_sel:[0,1,0] op_sel_hi:[1,1,0]
	;; [unrolled: 2-line block ×4, first 2 shown]
	v_fma_mixlo_f16 v0, v0, v30, 0 op_sel:[0,1,0] op_sel_hi:[0,1,0]
	v_add_f16_sdwa v0, v24, v0 dst_sel:DWORD dst_unused:UNUSED_PAD src0_sel:WORD_1 src1_sel:DWORD
	buffer_load_dword v24, off, s[28:31], 0 offset:44 ; 4-byte Folded Reload
	s_nop 0
	buffer_store_dword v0, off, s[28:31], 0 offset:68 ; 4-byte Folded Spill
	ds_read_b128 v[0:3], v28 offset:1792
	s_waitcnt lgkmcnt(0)
	v_fma_mix_f32 v7, v37, v0, 0 op_sel_hi:[1,1,0]
	v_fma_mix_f32 v7, v38, v0, v7 op_sel:[0,1,0] op_sel_hi:[1,1,0]
	v_fma_mix_f32 v7, v39, v1, v7 op_sel_hi:[1,1,0]
	v_fma_mix_f32 v7, v40, v1, v7 op_sel:[0,1,0] op_sel_hi:[1,1,0]
	;; [unrolled: 2-line block ×4, first 2 shown]
	v_fma_mixlo_f16 v7, v7, v29, 0 op_sel_hi:[0,1,0]
	s_waitcnt vmcnt(1)
	v_add_f16_e32 v7, v24, v7
	buffer_store_dword v7, off, s[28:31], 0 offset:20 ; 4-byte Folded Spill
	v_fma_mix_f32 v7, v45, v0, 0 op_sel_hi:[1,1,0]
	v_fma_mix_f32 v7, v46, v0, v7 op_sel:[0,1,0] op_sel_hi:[1,1,0]
	v_fma_mix_f32 v7, v48, v1, v7 op_sel_hi:[1,1,0]
	v_fma_mix_f32 v7, v49, v1, v7 op_sel:[0,1,0] op_sel_hi:[1,1,0]
	;; [unrolled: 2-line block ×4, first 2 shown]
	v_fma_mixlo_f16 v7, v7, v29, 0 op_sel:[0,1,0] op_sel_hi:[0,1,0]
	v_add_f16_sdwa v7, v24, v7 dst_sel:DWORD dst_unused:UNUSED_PAD src0_sel:WORD_1 src1_sel:DWORD
	buffer_store_dword v7, off, s[28:31], 0 offset:16 ; 4-byte Folded Spill
	v_fma_mix_f32 v7, v54, v0, 0 op_sel_hi:[1,1,0]
	v_fma_mix_f32 v7, v55, v0, v7 op_sel:[0,1,0] op_sel_hi:[1,1,0]
	v_fma_mix_f32 v7, v56, v1, v7 op_sel_hi:[1,1,0]
	v_fma_mix_f32 v7, v57, v1, v7 op_sel:[0,1,0] op_sel_hi:[1,1,0]
	;; [unrolled: 2-line block ×3, first 2 shown]
	buffer_load_dword v6, off, s[28:31], 0 offset:156 ; 4-byte Folded Reload
	buffer_load_dword v7, off, s[28:31], 0 offset:128 ; 4-byte Folded Reload
	v_fma_mix_f32 v4, v21, v3, v4 op_sel_hi:[1,1,0]
	v_fma_mix_f32 v4, v16, v3, v4 op_sel:[0,1,0] op_sel_hi:[1,1,0]
	v_fma_mixlo_f16 v4, v4, v30, 0 op_sel_hi:[0,1,0]
	v_add_f16_e32 v4, v25, v4
	buffer_store_dword v4, off, s[28:31], 0 offset:12 ; 4-byte Folded Spill
	v_fma_mix_f32 v4, v47, v0, 0 op_sel_hi:[1,1,0]
	v_fma_mix_f32 v0, v5, v0, v4 op_sel:[0,1,0] op_sel_hi:[1,1,0]
	v_fma_mix_f32 v0, v14, v1, v0 op_sel_hi:[1,1,0]
	v_fma_mix_f32 v0, v15, v1, v0 op_sel:[0,1,0] op_sel_hi:[1,1,0]
	;; [unrolled: 2-line block ×4, first 2 shown]
	v_fma_mixlo_f16 v0, v0, v30, 0 op_sel:[0,1,0] op_sel_hi:[0,1,0]
	v_add_co_u32_e32 v4, vcc, s0, v12
	v_add_f16_sdwa v0, v25, v0 dst_sel:DWORD dst_unused:UNUSED_PAD src0_sel:WORD_1 src1_sel:DWORD
	buffer_store_dword v0, off, s[28:31], 0 offset:8 ; 4-byte Folded Spill
	s_waitcnt vmcnt(3)
	v_addc_co_u32_e32 v5, vcc, v13, v6, vcc
	global_load_dwordx4 v[0:3], v[4:5], off
	v_add_co_u32_e32 v12, vcc, s0, v4
	v_addc_co_u32_e32 v13, vcc, v5, v6, vcc
	global_load_dwordx4 v[18:21], v[12:13], off
	v_mov_b32_e32 v62, v6
	s_waitcnt vmcnt(1)
	v_sub_u32_sdwa v4, v0, v32 dst_sel:DWORD dst_unused:UNUSED_PAD src0_sel:BYTE_0 src1_sel:DWORD
	v_sub_u32_sdwa v5, v0, v32 dst_sel:DWORD dst_unused:UNUSED_PAD src0_sel:BYTE_1 src1_sel:DWORD
	v_sub_u32_sdwa v6, v0, v32 dst_sel:DWORD dst_unused:UNUSED_PAD src0_sel:BYTE_2 src1_sel:DWORD
	v_sub_u32_sdwa v0, v0, v32 dst_sel:DWORD dst_unused:UNUSED_PAD src0_sel:BYTE_3 src1_sel:DWORD
	v_cvt_f32_i32_e32 v0, v0
	v_cvt_f32_i32_e32 v6, v6
	;; [unrolled: 1-line block ×4, first 2 shown]
	v_cvt_f16_f32_e32 v37, v0
	s_waitcnt vmcnt(0)
	v_sub_u32_sdwa v0, v18, v32 dst_sel:DWORD dst_unused:UNUSED_PAD src0_sel:BYTE_0 src1_sel:DWORD
	v_cvt_f32_i32_e32 v0, v0
	v_cvt_f16_f32_e32 v14, v6
	v_sub_u32_sdwa v6, v21, v63 dst_sel:DWORD dst_unused:UNUSED_PAD src0_sel:BYTE_0 src1_sel:DWORD
	v_cvt_f32_i32_e32 v6, v6
	v_cvt_f16_f32_e32 v38, v0
	v_sub_u32_sdwa v0, v18, v32 dst_sel:DWORD dst_unused:UNUSED_PAD src0_sel:BYTE_1 src1_sel:DWORD
	v_cvt_f32_i32_e32 v0, v0
	v_cvt_f16_f32_e32 v15, v6
	v_sub_u32_sdwa v6, v21, v63 dst_sel:DWORD dst_unused:UNUSED_PAD src0_sel:BYTE_1 src1_sel:DWORD
	v_cvt_f32_i32_e32 v6, v6
	v_cvt_f16_f32_e32 v40, v0
	v_sub_u32_sdwa v0, v18, v32 dst_sel:DWORD dst_unused:UNUSED_PAD src0_sel:BYTE_2 src1_sel:DWORD
	v_cvt_f32_i32_e32 v0, v0
	v_cvt_f16_f32_e32 v16, v6
	v_sub_u32_sdwa v6, v21, v63 dst_sel:DWORD dst_unused:UNUSED_PAD src0_sel:BYTE_2 src1_sel:DWORD
	v_cvt_f32_i32_e32 v6, v6
	v_cvt_f16_f32_e32 v42, v0
	v_sub_u32_sdwa v0, v18, v32 dst_sel:DWORD dst_unused:UNUSED_PAD src0_sel:BYTE_3 src1_sel:DWORD
	v_cvt_f32_i32_e32 v0, v0
	v_cvt_f16_f32_e32 v24, v6
	v_sub_u32_sdwa v6, v21, v63 dst_sel:DWORD dst_unused:UNUSED_PAD src0_sel:BYTE_3 src1_sel:DWORD
	v_cvt_f16_f32_e32 v4, v4
	v_cvt_f16_f32_e32 v44, v0
	v_sub_u32_sdwa v0, v1, v31 dst_sel:DWORD dst_unused:UNUSED_PAD src0_sel:BYTE_0 src1_sel:DWORD
	v_cvt_f32_i32_e32 v0, v0
	v_cvt_f32_i32_e32 v6, v6
	v_cvt_f16_f32_e32 v5, v5
	v_cvt_f16_f32_e32 v39, v0
	v_sub_u32_sdwa v0, v1, v31 dst_sel:DWORD dst_unused:UNUSED_PAD src0_sel:BYTE_1 src1_sel:DWORD
	v_cvt_f32_i32_e32 v0, v0
	v_cvt_f16_f32_e32 v25, v6
	v_fma_mix_f32 v6, v4, v8, 0 op_sel_hi:[1,1,0]
	v_fma_mix_f32 v6, v5, v8, v6 op_sel:[0,1,0] op_sel_hi:[1,1,0]
	v_cvt_f16_f32_e32 v41, v0
	v_sub_u32_sdwa v0, v1, v31 dst_sel:DWORD dst_unused:UNUSED_PAD src0_sel:BYTE_2 src1_sel:DWORD
	v_cvt_f32_i32_e32 v0, v0
	v_fma_mix_f32 v6, v14, v9, v6 op_sel_hi:[1,1,0]
	v_fma_mix_f32 v6, v37, v9, v6 op_sel:[0,1,0] op_sel_hi:[1,1,0]
	v_fma_mix_f32 v6, v38, v10, v6 op_sel_hi:[1,1,0]
	v_cvt_f16_f32_e32 v43, v0
	v_sub_u32_sdwa v0, v1, v31 dst_sel:DWORD dst_unused:UNUSED_PAD src0_sel:BYTE_3 src1_sel:DWORD
	v_cvt_f32_i32_e32 v0, v0
	v_fma_mix_f32 v6, v40, v10, v6 op_sel:[0,1,0] op_sel_hi:[1,1,0]
	v_fma_mix_f32 v6, v42, v11, v6 op_sel_hi:[1,1,0]
	v_sub_u32_sdwa v1, v20, v17 dst_sel:DWORD dst_unused:UNUSED_PAD src0_sel:BYTE_3 src1_sel:DWORD
	v_cvt_f16_f32_e32 v45, v0
	v_sub_u32_sdwa v0, v19, v31 dst_sel:DWORD dst_unused:UNUSED_PAD src0_sel:BYTE_0 src1_sel:DWORD
	v_cvt_f32_i32_e32 v0, v0
	v_fma_mix_f32 v6, v44, v11, v6 op_sel:[0,1,0] op_sel_hi:[1,1,0]
	v_cvt_f32_i32_e32 v1, v1
	v_fma_mixlo_f16 v6, v6, v29, 0 op_sel_hi:[0,1,0]
	v_cvt_f16_f32_e32 v46, v0
	v_sub_u32_sdwa v0, v19, v31 dst_sel:DWORD dst_unused:UNUSED_PAD src0_sel:BYTE_1 src1_sel:DWORD
	v_cvt_f32_i32_e32 v0, v0
	v_add_f16_e32 v6, v26, v6
	buffer_store_dword v6, off, s[28:31], 0 offset:4 ; 4-byte Folded Spill
	v_fma_mix_f32 v6, v39, v8, 0 op_sel_hi:[1,1,0]
	v_cvt_f16_f32_e32 v48, v0
	v_sub_u32_sdwa v0, v19, v31 dst_sel:DWORD dst_unused:UNUSED_PAD src0_sel:BYTE_2 src1_sel:DWORD
	v_cvt_f32_i32_e32 v0, v0
	v_fma_mix_f32 v6, v41, v8, v6 op_sel:[0,1,0] op_sel_hi:[1,1,0]
	v_fma_mix_f32 v6, v43, v9, v6 op_sel_hi:[1,1,0]
	v_fma_mix_f32 v6, v45, v9, v6 op_sel:[0,1,0] op_sel_hi:[1,1,0]
	v_cvt_f16_f32_e32 v50, v0
	v_sub_u32_sdwa v0, v19, v31 dst_sel:DWORD dst_unused:UNUSED_PAD src0_sel:BYTE_3 src1_sel:DWORD
	v_cvt_f32_i32_e32 v0, v0
	v_fma_mix_f32 v6, v46, v10, v6 op_sel_hi:[1,1,0]
	v_fma_mix_f32 v6, v48, v10, v6 op_sel:[0,1,0] op_sel_hi:[1,1,0]
	v_fma_mix_f32 v6, v50, v11, v6 op_sel_hi:[1,1,0]
	v_cvt_f16_f32_e32 v52, v0
	v_sub_u32_sdwa v0, v2, v17 dst_sel:DWORD dst_unused:UNUSED_PAD src0_sel:BYTE_0 src1_sel:DWORD
	v_cvt_f32_i32_e32 v0, v0
	v_fma_mix_f32 v6, v52, v11, v6 op_sel:[0,1,0] op_sel_hi:[1,1,0]
	v_fma_mixlo_f16 v6, v6, v29, 0 op_sel:[0,1,0] op_sel_hi:[0,1,0]
	v_cvt_f16_f32_e32 v47, v0
	v_sub_u32_sdwa v0, v2, v17 dst_sel:DWORD dst_unused:UNUSED_PAD src0_sel:BYTE_1 src1_sel:DWORD
	v_cvt_f32_i32_e32 v0, v0
	v_add_f16_e32 v6, v22, v6
	buffer_store_dword v6, off, s[28:31], 0 ; 4-byte Folded Spill
	v_fma_mix_f32 v6, v47, v8, 0 op_sel_hi:[1,1,0]
	v_cvt_f16_f32_e32 v49, v0
	v_sub_u32_sdwa v0, v2, v17 dst_sel:DWORD dst_unused:UNUSED_PAD src0_sel:BYTE_2 src1_sel:DWORD
	v_cvt_f32_i32_e32 v0, v0
	v_fma_mix_f32 v6, v49, v8, v6 op_sel:[0,1,0] op_sel_hi:[1,1,0]
	v_cvt_f16_f32_e32 v51, v0
	v_sub_u32_sdwa v0, v2, v17 dst_sel:DWORD dst_unused:UNUSED_PAD src0_sel:BYTE_3 src1_sel:DWORD
	v_cvt_f32_i32_e32 v0, v0
	v_cvt_f16_f32_e32 v2, v1
	v_sub_u32_sdwa v1, v3, v63 dst_sel:DWORD dst_unused:UNUSED_PAD src0_sel:BYTE_0 src1_sel:DWORD
	v_cvt_f32_i32_e32 v1, v1
	v_cvt_f16_f32_e32 v53, v0
	v_sub_u32_sdwa v0, v20, v17 dst_sel:DWORD dst_unused:UNUSED_PAD src0_sel:BYTE_0 src1_sel:DWORD
	v_cvt_f32_i32_e32 v0, v0
	v_cvt_f16_f32_e32 v55, v1
	v_sub_u32_sdwa v1, v3, v63 dst_sel:DWORD dst_unused:UNUSED_PAD src0_sel:BYTE_1 src1_sel:DWORD
	v_cvt_f32_i32_e32 v1, v1
	v_cvt_f16_f32_e32 v54, v0
	v_sub_u32_sdwa v0, v20, v17 dst_sel:DWORD dst_unused:UNUSED_PAD src0_sel:BYTE_1 src1_sel:DWORD
	v_cvt_f32_i32_e32 v0, v0
	v_cvt_f16_f32_e32 v57, v1
	v_sub_u32_sdwa v1, v3, v63 dst_sel:DWORD dst_unused:UNUSED_PAD src0_sel:BYTE_2 src1_sel:DWORD
	v_fma_mix_f32 v6, v51, v9, v6 op_sel_hi:[1,1,0]
	v_cvt_f16_f32_e32 v56, v0
	v_sub_u32_sdwa v0, v20, v17 dst_sel:DWORD dst_unused:UNUSED_PAD src0_sel:BYTE_2 src1_sel:DWORD
	v_cvt_f32_i32_e32 v0, v0
	v_cvt_f32_i32_e32 v1, v1
	v_sub_u32_sdwa v3, v3, v63 dst_sel:DWORD dst_unused:UNUSED_PAD src0_sel:BYTE_3 src1_sel:DWORD
	v_fma_mix_f32 v6, v53, v9, v6 op_sel:[0,1,0] op_sel_hi:[1,1,0]
	v_cvt_f16_f32_e32 v0, v0
	v_cvt_f32_i32_e32 v3, v3
	v_fma_mix_f32 v6, v54, v10, v6 op_sel_hi:[1,1,0]
	v_fma_mix_f32 v6, v56, v10, v6 op_sel:[0,1,0] op_sel_hi:[1,1,0]
	v_fma_mix_f32 v6, v0, v11, v6 op_sel_hi:[1,1,0]
	v_cvt_f16_f32_e32 v1, v1
	v_fma_mix_f32 v6, v2, v11, v6 op_sel:[0,1,0] op_sel_hi:[1,1,0]
	v_cvt_f16_f32_e32 v3, v3
	v_fma_mixlo_f16 v6, v6, v30, 0 op_sel_hi:[0,1,0]
	v_add_f16_e32 v23, v23, v6
	v_fma_mix_f32 v6, v55, v8, 0 op_sel_hi:[1,1,0]
	v_fma_mix_f32 v6, v57, v8, v6 op_sel:[0,1,0] op_sel_hi:[1,1,0]
	v_fma_mix_f32 v6, v1, v9, v6 op_sel_hi:[1,1,0]
	v_fma_mix_f32 v6, v3, v9, v6 op_sel:[0,1,0] op_sel_hi:[1,1,0]
	;; [unrolled: 2-line block ×4, first 2 shown]
	ds_read_b128 v[8:11], v28 offset:272
	v_fma_mixlo_f16 v6, v6, v30, 0 op_sel:[0,1,0] op_sel_hi:[0,1,0]
	v_add_f16_e32 v19, v27, v6
	s_waitcnt lgkmcnt(0)
	v_fma_mix_f32 v6, v4, v8, 0 op_sel_hi:[1,1,0]
	v_fma_mix_f32 v6, v5, v8, v6 op_sel:[0,1,0] op_sel_hi:[1,1,0]
	v_fma_mix_f32 v6, v14, v9, v6 op_sel_hi:[1,1,0]
	v_fma_mix_f32 v6, v37, v9, v6 op_sel:[0,1,0] op_sel_hi:[1,1,0]
	;; [unrolled: 2-line block ×4, first 2 shown]
	v_fma_mixlo_f16 v6, v6, v29, 0 op_sel_hi:[0,1,0]
	v_add_f16_e32 v6, v7, v6
	buffer_load_dword v7, off, s[28:31], 0 offset:132 ; 4-byte Folded Reload
	s_nop 0
	buffer_store_dword v6, off, s[28:31], 0 offset:24 ; 4-byte Folded Spill
	v_fma_mix_f32 v6, v39, v8, 0 op_sel_hi:[1,1,0]
	v_fma_mix_f32 v6, v41, v8, v6 op_sel:[0,1,0] op_sel_hi:[1,1,0]
	v_fma_mix_f32 v6, v43, v9, v6 op_sel_hi:[1,1,0]
	v_fma_mix_f32 v6, v45, v9, v6 op_sel:[0,1,0] op_sel_hi:[1,1,0]
	;; [unrolled: 2-line block ×4, first 2 shown]
	v_fma_mixlo_f16 v6, v6, v29, 0 op_sel:[0,1,0] op_sel_hi:[0,1,0]
	s_waitcnt vmcnt(1)
	v_add_f16_e32 v6, v7, v6
	buffer_load_dword v7, off, s[28:31], 0 offset:136 ; 4-byte Folded Reload
	s_nop 0
	buffer_store_dword v6, off, s[28:31], 0 offset:28 ; 4-byte Folded Spill
	v_fma_mix_f32 v6, v47, v8, 0 op_sel_hi:[1,1,0]
	v_fma_mix_f32 v6, v49, v8, v6 op_sel:[0,1,0] op_sel_hi:[1,1,0]
	v_fma_mix_f32 v6, v51, v9, v6 op_sel_hi:[1,1,0]
	v_fma_mix_f32 v6, v53, v9, v6 op_sel:[0,1,0] op_sel_hi:[1,1,0]
	;; [unrolled: 2-line block ×4, first 2 shown]
	v_fma_mixlo_f16 v6, v6, v30, 0 op_sel_hi:[0,1,0]
	s_waitcnt vmcnt(1)
	v_add_f16_e32 v6, v7, v6
	buffer_load_dword v7, off, s[28:31], 0 offset:140 ; 4-byte Folded Reload
	s_nop 0
	buffer_store_dword v6, off, s[28:31], 0 offset:32 ; 4-byte Folded Spill
	v_fma_mix_f32 v6, v55, v8, 0 op_sel_hi:[1,1,0]
	v_fma_mix_f32 v6, v57, v8, v6 op_sel:[0,1,0] op_sel_hi:[1,1,0]
	v_fma_mix_f32 v6, v1, v9, v6 op_sel_hi:[1,1,0]
	v_fma_mix_f32 v6, v3, v9, v6 op_sel:[0,1,0] op_sel_hi:[1,1,0]
	;; [unrolled: 2-line block ×4, first 2 shown]
	buffer_load_dword v11, off, s[28:31], 0 offset:48 ; 4-byte Folded Reload
	v_fma_mixlo_f16 v6, v6, v30, 0 op_sel:[0,1,0] op_sel_hi:[0,1,0]
	s_waitcnt vmcnt(2)
	v_add_f16_e32 v6, v7, v6
	buffer_store_dword v6, off, s[28:31], 0 offset:36 ; 4-byte Folded Spill
	ds_read_b128 v[6:9], v28 offset:528
	s_waitcnt lgkmcnt(0)
	v_fma_mix_f32 v10, v4, v6, 0 op_sel_hi:[1,1,0]
	v_fma_mix_f32 v10, v5, v6, v10 op_sel:[0,1,0] op_sel_hi:[1,1,0]
	v_fma_mix_f32 v10, v14, v7, v10 op_sel_hi:[1,1,0]
	v_fma_mix_f32 v10, v37, v7, v10 op_sel:[0,1,0] op_sel_hi:[1,1,0]
	v_fma_mix_f32 v10, v38, v8, v10 op_sel_hi:[1,1,0]
	v_fma_mix_f32 v10, v40, v8, v10 op_sel:[0,1,0] op_sel_hi:[1,1,0]
	v_fma_mix_f32 v10, v42, v9, v10 op_sel_hi:[1,1,0]
	v_fma_mix_f32 v10, v44, v9, v10 op_sel:[0,1,0] op_sel_hi:[1,1,0]
	v_fma_mixlo_f16 v10, v10, v29, 0 op_sel_hi:[0,1,0]
	s_waitcnt vmcnt(1)
	v_add_f16_e32 v10, v11, v10
	buffer_load_dword v11, off, s[28:31], 0 offset:52 ; 4-byte Folded Reload
	s_nop 0
	buffer_store_dword v10, off, s[28:31], 0 offset:40 ; 4-byte Folded Spill
	v_fma_mix_f32 v10, v39, v6, 0 op_sel_hi:[1,1,0]
	v_fma_mix_f32 v10, v41, v6, v10 op_sel:[0,1,0] op_sel_hi:[1,1,0]
	v_fma_mix_f32 v10, v43, v7, v10 op_sel_hi:[1,1,0]
	v_fma_mix_f32 v10, v45, v7, v10 op_sel:[0,1,0] op_sel_hi:[1,1,0]
	v_fma_mix_f32 v10, v46, v8, v10 op_sel_hi:[1,1,0]
	v_fma_mix_f32 v10, v48, v8, v10 op_sel:[0,1,0] op_sel_hi:[1,1,0]
	v_fma_mix_f32 v10, v50, v9, v10 op_sel_hi:[1,1,0]
	v_fma_mix_f32 v10, v52, v9, v10 op_sel:[0,1,0] op_sel_hi:[1,1,0]
	v_fma_mixlo_f16 v10, v10, v29, 0 op_sel:[0,1,0] op_sel_hi:[0,1,0]
	s_waitcnt vmcnt(1)
	v_add_f16_e32 v10, v11, v10
	buffer_load_dword v11, off, s[28:31], 0 offset:120 ; 4-byte Folded Reload
	s_nop 0
	buffer_store_dword v10, off, s[28:31], 0 offset:44 ; 4-byte Folded Spill
	v_fma_mix_f32 v10, v47, v6, 0 op_sel_hi:[1,1,0]
	v_fma_mix_f32 v10, v49, v6, v10 op_sel:[0,1,0] op_sel_hi:[1,1,0]
	v_fma_mix_f32 v10, v51, v7, v10 op_sel_hi:[1,1,0]
	v_fma_mix_f32 v10, v53, v7, v10 op_sel:[0,1,0] op_sel_hi:[1,1,0]
	v_fma_mix_f32 v10, v54, v8, v10 op_sel_hi:[1,1,0]
	v_fma_mix_f32 v10, v56, v8, v10 op_sel:[0,1,0] op_sel_hi:[1,1,0]
	v_fma_mix_f32 v10, v0, v9, v10 op_sel_hi:[1,1,0]
	v_fma_mix_f32 v10, v2, v9, v10 op_sel:[0,1,0] op_sel_hi:[1,1,0]
	v_fma_mixlo_f16 v10, v10, v30, 0 op_sel_hi:[0,1,0]
	s_waitcnt vmcnt(1)
	v_add_f16_e32 v10, v11, v10
	buffer_store_dword v10, off, s[28:31], 0 offset:48 ; 4-byte Folded Spill
	v_fma_mix_f32 v10, v55, v6, 0 op_sel_hi:[1,1,0]
	v_fma_mix_f32 v6, v57, v6, v10 op_sel:[0,1,0] op_sel_hi:[1,1,0]
	v_fma_mix_f32 v6, v1, v7, v6 op_sel_hi:[1,1,0]
	v_fma_mix_f32 v6, v3, v7, v6 op_sel:[0,1,0] op_sel_hi:[1,1,0]
	buffer_load_dword v7, off, s[28:31], 0 offset:124 ; 4-byte Folded Reload
	buffer_load_dword v11, off, s[28:31], 0 offset:72 ; 4-byte Folded Reload
	v_fma_mix_f32 v6, v15, v8, v6 op_sel_hi:[1,1,0]
	v_fma_mix_f32 v6, v16, v8, v6 op_sel:[0,1,0] op_sel_hi:[1,1,0]
	v_fma_mix_f32 v6, v24, v9, v6 op_sel_hi:[1,1,0]
	v_fma_mix_f32 v6, v25, v9, v6 op_sel:[0,1,0] op_sel_hi:[1,1,0]
	v_fma_mixlo_f16 v6, v6, v30, 0 op_sel:[0,1,0] op_sel_hi:[0,1,0]
	s_waitcnt vmcnt(1)
	v_add_f16_e32 v6, v7, v6
	buffer_store_dword v6, off, s[28:31], 0 offset:52 ; 4-byte Folded Spill
	ds_read_b128 v[6:9], v28 offset:784
	s_waitcnt lgkmcnt(0)
	v_fma_mix_f32 v10, v4, v6, 0 op_sel_hi:[1,1,0]
	v_fma_mix_f32 v10, v5, v6, v10 op_sel:[0,1,0] op_sel_hi:[1,1,0]
	v_fma_mix_f32 v10, v14, v7, v10 op_sel_hi:[1,1,0]
	v_fma_mix_f32 v10, v37, v7, v10 op_sel:[0,1,0] op_sel_hi:[1,1,0]
	v_fma_mix_f32 v10, v38, v8, v10 op_sel_hi:[1,1,0]
	v_fma_mix_f32 v10, v40, v8, v10 op_sel:[0,1,0] op_sel_hi:[1,1,0]
	v_fma_mix_f32 v10, v42, v9, v10 op_sel_hi:[1,1,0]
	v_fma_mix_f32 v10, v44, v9, v10 op_sel:[0,1,0] op_sel_hi:[1,1,0]
	v_fma_mixlo_f16 v10, v10, v29, 0 op_sel_hi:[0,1,0]
	s_waitcnt vmcnt(1)
	v_add_f16_e32 v10, v11, v10
	buffer_load_dword v11, off, s[28:31], 0 offset:76 ; 4-byte Folded Reload
	s_nop 0
	buffer_store_dword v10, off, s[28:31], 0 offset:72 ; 4-byte Folded Spill
	v_fma_mix_f32 v10, v39, v6, 0 op_sel_hi:[1,1,0]
	v_fma_mix_f32 v10, v41, v6, v10 op_sel:[0,1,0] op_sel_hi:[1,1,0]
	v_fma_mix_f32 v10, v43, v7, v10 op_sel_hi:[1,1,0]
	v_fma_mix_f32 v10, v45, v7, v10 op_sel:[0,1,0] op_sel_hi:[1,1,0]
	v_fma_mix_f32 v10, v46, v8, v10 op_sel_hi:[1,1,0]
	v_fma_mix_f32 v10, v48, v8, v10 op_sel:[0,1,0] op_sel_hi:[1,1,0]
	v_fma_mix_f32 v10, v50, v9, v10 op_sel_hi:[1,1,0]
	v_fma_mix_f32 v10, v52, v9, v10 op_sel:[0,1,0] op_sel_hi:[1,1,0]
	v_fma_mixlo_f16 v10, v10, v29, 0 op_sel:[0,1,0] op_sel_hi:[0,1,0]
	s_waitcnt vmcnt(1)
	v_add_f16_e32 v10, v11, v10
	buffer_load_dword v11, off, s[28:31], 0 offset:80 ; 4-byte Folded Reload
	s_nop 0
	buffer_store_dword v10, off, s[28:31], 0 offset:76 ; 4-byte Folded Spill
	v_fma_mix_f32 v10, v47, v6, 0 op_sel_hi:[1,1,0]
	v_fma_mix_f32 v10, v49, v6, v10 op_sel:[0,1,0] op_sel_hi:[1,1,0]
	v_fma_mix_f32 v10, v51, v7, v10 op_sel_hi:[1,1,0]
	v_fma_mix_f32 v10, v53, v7, v10 op_sel:[0,1,0] op_sel_hi:[1,1,0]
	v_fma_mix_f32 v10, v54, v8, v10 op_sel_hi:[1,1,0]
	v_fma_mix_f32 v10, v56, v8, v10 op_sel:[0,1,0] op_sel_hi:[1,1,0]
	v_fma_mix_f32 v10, v0, v9, v10 op_sel_hi:[1,1,0]
	v_fma_mix_f32 v10, v2, v9, v10 op_sel:[0,1,0] op_sel_hi:[1,1,0]
	v_fma_mixlo_f16 v10, v10, v30, 0 op_sel_hi:[0,1,0]
	s_waitcnt vmcnt(1)
	v_add_f16_e32 v10, v11, v10
	buffer_store_dword v10, off, s[28:31], 0 offset:80 ; 4-byte Folded Spill
	v_fma_mix_f32 v10, v55, v6, 0 op_sel_hi:[1,1,0]
	v_fma_mix_f32 v6, v57, v6, v10 op_sel:[0,1,0] op_sel_hi:[1,1,0]
	v_fma_mix_f32 v6, v1, v7, v6 op_sel_hi:[1,1,0]
	v_fma_mix_f32 v6, v3, v7, v6 op_sel:[0,1,0] op_sel_hi:[1,1,0]
	buffer_load_dword v7, off, s[28:31], 0 offset:84 ; 4-byte Folded Reload
	buffer_load_dword v11, off, s[28:31], 0 offset:104 ; 4-byte Folded Reload
	v_fma_mix_f32 v6, v15, v8, v6 op_sel_hi:[1,1,0]
	v_fma_mix_f32 v6, v16, v8, v6 op_sel:[0,1,0] op_sel_hi:[1,1,0]
	v_fma_mix_f32 v6, v24, v9, v6 op_sel_hi:[1,1,0]
	v_fma_mix_f32 v6, v25, v9, v6 op_sel:[0,1,0] op_sel_hi:[1,1,0]
	;; [unrolled: 56-line block ×4, first 2 shown]
	v_fma_mixlo_f16 v6, v6, v30, 0 op_sel:[0,1,0] op_sel_hi:[0,1,0]
	s_waitcnt vmcnt(1)
	v_add_f16_e32 v6, v7, v6
	buffer_store_dword v6, off, s[28:31], 0 offset:100 ; 4-byte Folded Spill
	ds_read_b128 v[6:9], v28 offset:1552
	s_waitcnt lgkmcnt(0)
	v_fma_mix_f32 v10, v4, v6, 0 op_sel_hi:[1,1,0]
	v_fma_mix_f32 v10, v5, v6, v10 op_sel:[0,1,0] op_sel_hi:[1,1,0]
	v_fma_mix_f32 v10, v14, v7, v10 op_sel_hi:[1,1,0]
	v_fma_mix_f32 v10, v37, v7, v10 op_sel:[0,1,0] op_sel_hi:[1,1,0]
	;; [unrolled: 2-line block ×4, first 2 shown]
	v_fma_mixlo_f16 v10, v10, v29, 0 op_sel_hi:[0,1,0]
	s_waitcnt vmcnt(1)
	v_add_f16_e32 v10, v11, v10
	buffer_load_dword v11, off, s[28:31], 0 offset:60 ; 4-byte Folded Reload
	s_nop 0
	buffer_store_dword v10, off, s[28:31], 0 offset:120 ; 4-byte Folded Spill
	v_fma_mix_f32 v10, v39, v6, 0 op_sel_hi:[1,1,0]
	v_fma_mix_f32 v10, v41, v6, v10 op_sel:[0,1,0] op_sel_hi:[1,1,0]
	v_fma_mix_f32 v10, v43, v7, v10 op_sel_hi:[1,1,0]
	v_fma_mix_f32 v10, v45, v7, v10 op_sel:[0,1,0] op_sel_hi:[1,1,0]
	;; [unrolled: 2-line block ×4, first 2 shown]
	v_fma_mixlo_f16 v10, v10, v29, 0 op_sel:[0,1,0] op_sel_hi:[0,1,0]
	s_waitcnt vmcnt(1)
	v_add_f16_e32 v10, v11, v10
	buffer_load_dword v11, off, s[28:31], 0 offset:64 ; 4-byte Folded Reload
	s_nop 0
	buffer_store_dword v10, off, s[28:31], 0 offset:124 ; 4-byte Folded Spill
	v_fma_mix_f32 v10, v47, v6, 0 op_sel_hi:[1,1,0]
	v_fma_mix_f32 v10, v49, v6, v10 op_sel:[0,1,0] op_sel_hi:[1,1,0]
	v_fma_mix_f32 v10, v51, v7, v10 op_sel_hi:[1,1,0]
	v_fma_mix_f32 v10, v53, v7, v10 op_sel:[0,1,0] op_sel_hi:[1,1,0]
	;; [unrolled: 2-line block ×4, first 2 shown]
	v_fma_mixlo_f16 v10, v10, v30, 0 op_sel_hi:[0,1,0]
	s_waitcnt vmcnt(1)
	v_add_f16_e32 v10, v11, v10
	buffer_store_dword v10, off, s[28:31], 0 offset:128 ; 4-byte Folded Spill
	v_fma_mix_f32 v10, v55, v6, 0 op_sel_hi:[1,1,0]
	v_fma_mix_f32 v6, v57, v6, v10 op_sel:[0,1,0] op_sel_hi:[1,1,0]
	v_fma_mix_f32 v6, v1, v7, v6 op_sel_hi:[1,1,0]
	v_fma_mix_f32 v6, v3, v7, v6 op_sel:[0,1,0] op_sel_hi:[1,1,0]
	;; [unrolled: 2-line block ×4, first 2 shown]
	ds_read_b128 v[8:11], v28 offset:1808
	buffer_load_dword v7, off, s[28:31], 0 offset:68 ; 4-byte Folded Reload
	v_fma_mixlo_f16 v6, v6, v30, 0 op_sel:[0,1,0] op_sel_hi:[0,1,0]
	s_waitcnt lgkmcnt(0)
	v_fma_mix_f32 v4, v4, v8, 0 op_sel_hi:[1,1,0]
	v_fma_mix_f32 v4, v5, v8, v4 op_sel:[0,1,0] op_sel_hi:[1,1,0]
	buffer_load_dword v5, off, s[28:31], 0 offset:20 ; 4-byte Folded Reload
	v_fma_mix_f32 v4, v14, v9, v4 op_sel_hi:[1,1,0]
	v_fma_mix_f32 v4, v37, v9, v4 op_sel:[0,1,0] op_sel_hi:[1,1,0]
	v_fma_mix_f32 v4, v38, v10, v4 op_sel_hi:[1,1,0]
	v_fma_mix_f32 v4, v40, v10, v4 op_sel:[0,1,0] op_sel_hi:[1,1,0]
	v_fma_mix_f32 v4, v42, v11, v4 op_sel_hi:[1,1,0]
	v_fma_mix_f32 v4, v44, v11, v4 op_sel:[0,1,0] op_sel_hi:[1,1,0]
	v_fma_mixlo_f16 v4, v4, v29, 0 op_sel_hi:[0,1,0]
	v_mov_b32_e32 v37, v62
	s_waitcnt vmcnt(0)
	v_add_f16_e32 v4, v5, v4
	buffer_load_dword v5, off, s[28:31], 0 offset:16 ; 4-byte Folded Reload
	s_nop 0
	buffer_store_dword v4, off, s[28:31], 0 offset:152 ; 4-byte Folded Spill
	v_fma_mix_f32 v4, v39, v8, 0 op_sel_hi:[1,1,0]
	v_fma_mix_f32 v4, v41, v8, v4 op_sel:[0,1,0] op_sel_hi:[1,1,0]
	v_fma_mix_f32 v4, v43, v9, v4 op_sel_hi:[1,1,0]
	v_fma_mix_f32 v4, v45, v9, v4 op_sel:[0,1,0] op_sel_hi:[1,1,0]
	;; [unrolled: 2-line block ×4, first 2 shown]
	v_fma_mixlo_f16 v4, v4, v29, 0 op_sel:[0,1,0] op_sel_hi:[0,1,0]
	s_waitcnt vmcnt(1)
	v_add_f16_e32 v38, v5, v4
	v_fma_mix_f32 v4, v47, v8, 0 op_sel_hi:[1,1,0]
	v_fma_mix_f32 v4, v49, v8, v4 op_sel:[0,1,0] op_sel_hi:[1,1,0]
	v_fma_mix_f32 v4, v51, v9, v4 op_sel_hi:[1,1,0]
	v_fma_mix_f32 v4, v53, v9, v4 op_sel:[0,1,0] op_sel_hi:[1,1,0]
	;; [unrolled: 2-line block ×4, first 2 shown]
	buffer_load_dword v2, off, s[28:31], 0 offset:12 ; 4-byte Folded Reload
	v_fma_mixlo_f16 v0, v0, v30, 0 op_sel_hi:[0,1,0]
	s_waitcnt vmcnt(0)
	v_add_f16_e32 v39, v2, v0
	v_fma_mix_f32 v0, v55, v8, 0 op_sel_hi:[1,1,0]
	v_fma_mix_f32 v0, v57, v8, v0 op_sel:[0,1,0] op_sel_hi:[1,1,0]
	v_fma_mix_f32 v0, v1, v9, v0 op_sel_hi:[1,1,0]
	buffer_load_dword v1, off, s[28:31], 0 offset:8 ; 4-byte Folded Reload
	v_fma_mix_f32 v0, v3, v9, v0 op_sel:[0,1,0] op_sel_hi:[1,1,0]
	v_fma_mix_f32 v0, v15, v10, v0 op_sel_hi:[1,1,0]
	v_fma_mix_f32 v0, v16, v10, v0 op_sel:[0,1,0] op_sel_hi:[1,1,0]
	v_fma_mix_f32 v0, v24, v11, v0 op_sel_hi:[1,1,0]
	v_fma_mix_f32 v0, v25, v11, v0 op_sel:[0,1,0] op_sel_hi:[1,1,0]
	v_fma_mixlo_f16 v0, v0, v30, 0 op_sel:[0,1,0] op_sel_hi:[0,1,0]
	s_waitcnt vmcnt(0)
	v_add_f16_e32 v40, v1, v0
	v_add_co_u32_e32 v0, vcc, s0, v12
	v_addc_co_u32_e32 v1, vcc, v13, v37, vcc
	global_load_dwordx4 v[12:15], v[0:1], off
	v_add_co_u32_e32 v20, vcc, s0, v0
	v_addc_co_u32_e32 v21, vcc, v1, v37, vcc
	global_load_dwordx4 v[8:11], v[20:21], off
	buffer_load_dword v1, off, s[28:31], 0 offset:4 ; 4-byte Folded Reload
	v_add_f16_e32 v6, v7, v6
	buffer_store_dword v6, off, s[28:31], 0 offset:132 ; 4-byte Folded Spill
	s_waitcnt vmcnt(3)
	v_sub_u32_sdwa v0, v12, v32 dst_sel:DWORD dst_unused:UNUSED_PAD src0_sel:BYTE_0 src1_sel:DWORD
	v_cvt_f32_i32_e32 v0, v0
	v_cvt_f16_f32_e32 v41, v0
	v_sub_u32_sdwa v0, v12, v32 dst_sel:DWORD dst_unused:UNUSED_PAD src0_sel:BYTE_1 src1_sel:DWORD
	v_cvt_f32_i32_e32 v0, v0
	v_cvt_f16_f32_e32 v42, v0
	v_sub_u32_sdwa v0, v12, v32 dst_sel:DWORD dst_unused:UNUSED_PAD src0_sel:BYTE_2 src1_sel:DWORD
	v_cvt_f32_i32_e32 v0, v0
	v_cvt_f16_f32_e32 v43, v0
	v_sub_u32_sdwa v0, v12, v32 dst_sel:DWORD dst_unused:UNUSED_PAD src0_sel:BYTE_3 src1_sel:DWORD
	v_cvt_f32_i32_e32 v0, v0
	v_cvt_f16_f32_e32 v12, v0
	s_waitcnt vmcnt(2)
	v_sub_u32_sdwa v0, v8, v32 dst_sel:DWORD dst_unused:UNUSED_PAD src0_sel:BYTE_0 src1_sel:DWORD
	v_cvt_f32_i32_e32 v0, v0
	v_cvt_f16_f32_e32 v44, v0
	v_sub_u32_sdwa v0, v8, v32 dst_sel:DWORD dst_unused:UNUSED_PAD src0_sel:BYTE_1 src1_sel:DWORD
	v_cvt_f32_i32_e32 v0, v0
	v_cvt_f16_f32_e32 v45, v0
	v_sub_u32_sdwa v0, v8, v32 dst_sel:DWORD dst_unused:UNUSED_PAD src0_sel:BYTE_2 src1_sel:DWORD
	v_cvt_f32_i32_e32 v0, v0
	v_cvt_f16_f32_e32 v46, v0
	v_sub_u32_sdwa v0, v8, v32 dst_sel:DWORD dst_unused:UNUSED_PAD src0_sel:BYTE_3 src1_sel:DWORD
	v_cvt_f32_i32_e32 v0, v0
	v_sub_u32_sdwa v8, v11, v63 dst_sel:DWORD dst_unused:UNUSED_PAD src0_sel:BYTE_3 src1_sel:DWORD
	v_cvt_f16_f32_e32 v48, v0
	v_sub_u32_sdwa v0, v13, v31 dst_sel:DWORD dst_unused:UNUSED_PAD src0_sel:BYTE_0 src1_sel:DWORD
	v_cvt_f32_i32_e32 v0, v0
	v_cvt_f16_f32_e32 v49, v0
	v_sub_u32_sdwa v0, v13, v31 dst_sel:DWORD dst_unused:UNUSED_PAD src0_sel:BYTE_1 src1_sel:DWORD
	v_cvt_f32_i32_e32 v0, v0
	v_cvt_f16_f32_e32 v50, v0
	v_sub_u32_sdwa v0, v13, v31 dst_sel:DWORD dst_unused:UNUSED_PAD src0_sel:BYTE_2 src1_sel:DWORD
	v_cvt_f32_i32_e32 v0, v0
	v_cvt_f16_f32_e32 v51, v0
	v_sub_u32_sdwa v0, v13, v31 dst_sel:DWORD dst_unused:UNUSED_PAD src0_sel:BYTE_3 src1_sel:DWORD
	v_cvt_f32_i32_e32 v0, v0
	v_cvt_f16_f32_e32 v13, v0
	v_sub_u32_sdwa v0, v9, v31 dst_sel:DWORD dst_unused:UNUSED_PAD src0_sel:BYTE_0 src1_sel:DWORD
	v_cvt_f32_i32_e32 v0, v0
	v_cvt_f16_f32_e32 v52, v0
	v_sub_u32_sdwa v0, v9, v31 dst_sel:DWORD dst_unused:UNUSED_PAD src0_sel:BYTE_1 src1_sel:DWORD
	v_cvt_f32_i32_e32 v0, v0
	v_cvt_f16_f32_e32 v53, v0
	v_sub_u32_sdwa v0, v9, v31 dst_sel:DWORD dst_unused:UNUSED_PAD src0_sel:BYTE_2 src1_sel:DWORD
	v_cvt_f32_i32_e32 v0, v0
	v_cvt_f16_f32_e32 v54, v0
	v_sub_u32_sdwa v0, v9, v31 dst_sel:DWORD dst_unused:UNUSED_PAD src0_sel:BYTE_3 src1_sel:DWORD
	v_cvt_f32_i32_e32 v0, v0
	;; [unrolled: 12-line block ×5, first 2 shown]
	buffer_load_dword v15, off, s[28:31], 0 offset:24 ; 4-byte Folded Reload
	v_cvt_f16_f32_e32 v18, v0
	v_sub_u32_sdwa v0, v11, v63 dst_sel:DWORD dst_unused:UNUSED_PAD src0_sel:BYTE_0 src1_sel:DWORD
	v_cvt_f32_i32_e32 v0, v0
	v_cvt_f16_f32_e32 v26, v0
	v_sub_u32_sdwa v0, v11, v63 dst_sel:DWORD dst_unused:UNUSED_PAD src0_sel:BYTE_1 src1_sel:DWORD
	v_cvt_f32_i32_e32 v0, v0
	v_cvt_f16_f32_e32 v16, v0
	v_sub_u32_sdwa v0, v11, v63 dst_sel:DWORD dst_unused:UNUSED_PAD src0_sel:BYTE_2 src1_sel:DWORD
	v_cvt_f32_i32_e32 v0, v0
	v_cvt_f16_f32_e32 v22, v0
	v_cvt_f32_i32_e32 v0, v8
	v_cvt_f16_f32_e32 v62, v0
	v_fma_mix_f32 v0, v41, v33, 0 op_sel_hi:[1,1,0]
	v_fma_mix_f32 v0, v42, v33, v0 op_sel:[0,1,0] op_sel_hi:[1,1,0]
	v_fma_mix_f32 v0, v43, v34, v0 op_sel_hi:[1,1,0]
	v_fma_mix_f32 v0, v12, v34, v0 op_sel:[0,1,0] op_sel_hi:[1,1,0]
	;; [unrolled: 2-line block ×4, first 2 shown]
	v_fma_mixlo_f16 v0, v0, v29, 0 op_sel_hi:[0,1,0]
	s_waitcnt vmcnt(2)
	v_add_f16_e32 v9, v1, v0
	buffer_load_dword v1, off, s[28:31], 0  ; 4-byte Folded Reload
	v_fma_mix_f32 v0, v49, v33, 0 op_sel_hi:[1,1,0]
	v_fma_mix_f32 v0, v50, v33, v0 op_sel:[0,1,0] op_sel_hi:[1,1,0]
	v_fma_mix_f32 v0, v51, v34, v0 op_sel_hi:[1,1,0]
	v_fma_mix_f32 v0, v13, v34, v0 op_sel:[0,1,0] op_sel_hi:[1,1,0]
	;; [unrolled: 2-line block ×4, first 2 shown]
	v_fma_mixlo_f16 v0, v0, v29, 0 op_sel:[0,1,0] op_sel_hi:[0,1,0]
	s_waitcnt vmcnt(0)
	v_add_f16_e32 v11, v1, v0
	v_fma_mix_f32 v0, v56, v33, 0 op_sel_hi:[1,1,0]
	v_fma_mix_f32 v0, v57, v33, v0 op_sel:[0,1,0] op_sel_hi:[1,1,0]
	v_fma_mix_f32 v0, v7, v34, v0 op_sel_hi:[1,1,0]
	v_fma_mix_f32 v0, v5, v34, v0 op_sel:[0,1,0] op_sel_hi:[1,1,0]
	;; [unrolled: 2-line block ×4, first 2 shown]
	v_fma_mixlo_f16 v0, v0, v30, 0 op_sel_hi:[0,1,0]
	v_add_f16_e32 v8, v23, v0
	v_fma_mix_f32 v0, v6, v33, 0 op_sel_hi:[1,1,0]
	v_fma_mix_f32 v0, v24, v33, v0 op_sel:[0,1,0] op_sel_hi:[1,1,0]
	v_fma_mix_f32 v0, v27, v34, v0 op_sel_hi:[1,1,0]
	v_fma_mix_f32 v0, v18, v34, v0 op_sel:[0,1,0] op_sel_hi:[1,1,0]
	;; [unrolled: 2-line block ×4, first 2 shown]
	v_fma_mixlo_f16 v0, v0, v30, 0 op_sel:[0,1,0] op_sel_hi:[0,1,0]
	v_add_f16_e32 v33, v19, v0
	buffer_load_dword v19, off, s[28:31], 0 offset:28 ; 4-byte Folded Reload
	buffer_load_dword v23, off, s[28:31], 0 offset:32 ; 4-byte Folded Reload
	;; [unrolled: 1-line block ×3, first 2 shown]
	ds_read_b128 v[0:3], v28 offset:288
	s_waitcnt lgkmcnt(0)
	v_fma_mix_f32 v14, v41, v0, 0 op_sel_hi:[1,1,0]
	v_fma_mix_f32 v14, v42, v0, v14 op_sel:[0,1,0] op_sel_hi:[1,1,0]
	v_fma_mix_f32 v14, v43, v1, v14 op_sel_hi:[1,1,0]
	v_fma_mix_f32 v14, v12, v1, v14 op_sel:[0,1,0] op_sel_hi:[1,1,0]
	;; [unrolled: 2-line block ×4, first 2 shown]
	v_fma_mixlo_f16 v14, v14, v29, 0 op_sel_hi:[0,1,0]
	v_add_f16_e32 v15, v15, v14
	v_fma_mix_f32 v14, v49, v0, 0 op_sel_hi:[1,1,0]
	v_fma_mix_f32 v14, v50, v0, v14 op_sel:[0,1,0] op_sel_hi:[1,1,0]
	v_fma_mix_f32 v14, v51, v1, v14 op_sel_hi:[1,1,0]
	v_fma_mix_f32 v14, v13, v1, v14 op_sel:[0,1,0] op_sel_hi:[1,1,0]
	;; [unrolled: 2-line block ×4, first 2 shown]
	v_fma_mixlo_f16 v14, v14, v29, 0 op_sel:[0,1,0] op_sel_hi:[0,1,0]
	s_waitcnt vmcnt(2)
	v_add_f16_e32 v14, v19, v14
	v_fma_mix_f32 v19, v56, v0, 0 op_sel_hi:[1,1,0]
	v_fma_mix_f32 v19, v57, v0, v19 op_sel:[0,1,0] op_sel_hi:[1,1,0]
	v_fma_mix_f32 v19, v7, v1, v19 op_sel_hi:[1,1,0]
	v_fma_mix_f32 v19, v5, v1, v19 op_sel:[0,1,0] op_sel_hi:[1,1,0]
	;; [unrolled: 2-line block ×4, first 2 shown]
	v_fma_mixlo_f16 v19, v19, v30, 0 op_sel_hi:[0,1,0]
	s_waitcnt vmcnt(1)
	v_add_f16_e32 v19, v23, v19
	v_fma_mix_f32 v23, v6, v0, 0 op_sel_hi:[1,1,0]
	v_fma_mix_f32 v0, v24, v0, v23 op_sel:[0,1,0] op_sel_hi:[1,1,0]
	v_fma_mix_f32 v0, v27, v1, v0 op_sel_hi:[1,1,0]
	v_fma_mix_f32 v0, v18, v1, v0 op_sel:[0,1,0] op_sel_hi:[1,1,0]
	buffer_load_dword v1, off, s[28:31], 0 offset:36 ; 4-byte Folded Reload
	v_fma_mix_f32 v0, v26, v2, v0 op_sel_hi:[1,1,0]
	v_fma_mix_f32 v0, v16, v2, v0 op_sel:[0,1,0] op_sel_hi:[1,1,0]
	v_fma_mix_f32 v0, v22, v3, v0 op_sel_hi:[1,1,0]
	v_fma_mix_f32 v0, v62, v3, v0 op_sel:[0,1,0] op_sel_hi:[1,1,0]
	v_fma_mixlo_f16 v0, v0, v30, 0 op_sel:[0,1,0] op_sel_hi:[0,1,0]
	s_waitcnt vmcnt(0)
	v_add_f16_e32 v23, v1, v0
	ds_read_b128 v[0:3], v28 offset:544
	s_waitcnt lgkmcnt(0)
	v_fma_mix_f32 v34, v41, v0, 0 op_sel_hi:[1,1,0]
	v_fma_mix_f32 v34, v42, v0, v34 op_sel:[0,1,0] op_sel_hi:[1,1,0]
	v_fma_mix_f32 v34, v43, v1, v34 op_sel_hi:[1,1,0]
	v_fma_mix_f32 v34, v12, v1, v34 op_sel:[0,1,0] op_sel_hi:[1,1,0]
	;; [unrolled: 2-line block ×4, first 2 shown]
	v_fma_mixlo_f16 v34, v34, v29, 0 op_sel_hi:[0,1,0]
	v_add_f16_e32 v34, v35, v34
	buffer_load_dword v35, off, s[28:31], 0 offset:44 ; 4-byte Folded Reload
	s_nop 0
	buffer_store_dword v34, off, s[28:31], 0 offset:144 ; 4-byte Folded Spill
	v_fma_mix_f32 v34, v49, v0, 0 op_sel_hi:[1,1,0]
	v_fma_mix_f32 v34, v50, v0, v34 op_sel:[0,1,0] op_sel_hi:[1,1,0]
	v_fma_mix_f32 v34, v51, v1, v34 op_sel_hi:[1,1,0]
	v_fma_mix_f32 v34, v13, v1, v34 op_sel:[0,1,0] op_sel_hi:[1,1,0]
	v_fma_mix_f32 v34, v52, v2, v34 op_sel_hi:[1,1,0]
	v_fma_mix_f32 v34, v53, v2, v34 op_sel:[0,1,0] op_sel_hi:[1,1,0]
	v_fma_mix_f32 v34, v54, v3, v34 op_sel_hi:[1,1,0]
	v_fma_mix_f32 v34, v55, v3, v34 op_sel:[0,1,0] op_sel_hi:[1,1,0]
	v_fma_mixlo_f16 v34, v34, v29, 0 op_sel:[0,1,0] op_sel_hi:[0,1,0]
	s_waitcnt vmcnt(1)
	v_add_f16_e32 v34, v35, v34
	buffer_load_dword v35, off, s[28:31], 0 offset:48 ; 4-byte Folded Reload
	s_nop 0
	buffer_store_dword v34, off, s[28:31], 0 offset:148 ; 4-byte Folded Spill
	v_fma_mix_f32 v34, v56, v0, 0 op_sel_hi:[1,1,0]
	v_fma_mix_f32 v34, v57, v0, v34 op_sel:[0,1,0] op_sel_hi:[1,1,0]
	v_fma_mix_f32 v34, v7, v1, v34 op_sel_hi:[1,1,0]
	v_fma_mix_f32 v34, v5, v1, v34 op_sel:[0,1,0] op_sel_hi:[1,1,0]
	v_fma_mix_f32 v34, v4, v2, v34 op_sel_hi:[1,1,0]
	v_fma_mix_f32 v34, v25, v2, v34 op_sel:[0,1,0] op_sel_hi:[1,1,0]
	v_fma_mix_f32 v34, v47, v3, v34 op_sel_hi:[1,1,0]
	v_fma_mix_f32 v34, v10, v3, v34 op_sel:[0,1,0] op_sel_hi:[1,1,0]
	v_fma_mixlo_f16 v34, v34, v30, 0 op_sel_hi:[0,1,0]
	s_waitcnt vmcnt(1)
	v_add_f16_e32 v34, v35, v34
	buffer_store_dword v34, off, s[28:31], 0 offset:136 ; 4-byte Folded Spill
	v_fma_mix_f32 v34, v6, v0, 0 op_sel_hi:[1,1,0]
	v_fma_mix_f32 v0, v24, v0, v34 op_sel:[0,1,0] op_sel_hi:[1,1,0]
	v_fma_mix_f32 v0, v27, v1, v0 op_sel_hi:[1,1,0]
	v_fma_mix_f32 v0, v18, v1, v0 op_sel:[0,1,0] op_sel_hi:[1,1,0]
	buffer_load_dword v1, off, s[28:31], 0 offset:52 ; 4-byte Folded Reload
	buffer_load_dword v35, off, s[28:31], 0 offset:72 ; 4-byte Folded Reload
	v_fma_mix_f32 v0, v26, v2, v0 op_sel_hi:[1,1,0]
	v_fma_mix_f32 v0, v16, v2, v0 op_sel:[0,1,0] op_sel_hi:[1,1,0]
	v_fma_mix_f32 v0, v22, v3, v0 op_sel_hi:[1,1,0]
	v_fma_mix_f32 v0, v62, v3, v0 op_sel:[0,1,0] op_sel_hi:[1,1,0]
	v_fma_mixlo_f16 v0, v0, v30, 0 op_sel:[0,1,0] op_sel_hi:[0,1,0]
	s_waitcnt vmcnt(1)
	v_add_f16_e32 v0, v1, v0
	buffer_store_dword v0, off, s[28:31], 0 offset:140 ; 4-byte Folded Spill
	ds_read_b128 v[0:3], v28 offset:800
	s_waitcnt lgkmcnt(0)
	v_fma_mix_f32 v34, v41, v0, 0 op_sel_hi:[1,1,0]
	v_fma_mix_f32 v34, v42, v0, v34 op_sel:[0,1,0] op_sel_hi:[1,1,0]
	v_fma_mix_f32 v34, v43, v1, v34 op_sel_hi:[1,1,0]
	v_fma_mix_f32 v34, v12, v1, v34 op_sel:[0,1,0] op_sel_hi:[1,1,0]
	v_fma_mix_f32 v34, v44, v2, v34 op_sel_hi:[1,1,0]
	v_fma_mix_f32 v34, v45, v2, v34 op_sel:[0,1,0] op_sel_hi:[1,1,0]
	v_fma_mix_f32 v34, v46, v3, v34 op_sel_hi:[1,1,0]
	v_fma_mix_f32 v34, v48, v3, v34 op_sel:[0,1,0] op_sel_hi:[1,1,0]
	v_fma_mixlo_f16 v34, v34, v29, 0 op_sel_hi:[0,1,0]
	s_waitcnt vmcnt(1)
	v_add_f16_e32 v34, v35, v34
	buffer_load_dword v35, off, s[28:31], 0 offset:76 ; 4-byte Folded Reload
	s_nop 0
	buffer_store_dword v34, off, s[28:31], 0 offset:68 ; 4-byte Folded Spill
	v_fma_mix_f32 v34, v49, v0, 0 op_sel_hi:[1,1,0]
	v_fma_mix_f32 v34, v50, v0, v34 op_sel:[0,1,0] op_sel_hi:[1,1,0]
	v_fma_mix_f32 v34, v51, v1, v34 op_sel_hi:[1,1,0]
	v_fma_mix_f32 v34, v13, v1, v34 op_sel:[0,1,0] op_sel_hi:[1,1,0]
	v_fma_mix_f32 v34, v52, v2, v34 op_sel_hi:[1,1,0]
	v_fma_mix_f32 v34, v53, v2, v34 op_sel:[0,1,0] op_sel_hi:[1,1,0]
	v_fma_mix_f32 v34, v54, v3, v34 op_sel_hi:[1,1,0]
	v_fma_mix_f32 v34, v55, v3, v34 op_sel:[0,1,0] op_sel_hi:[1,1,0]
	v_fma_mixlo_f16 v34, v34, v29, 0 op_sel:[0,1,0] op_sel_hi:[0,1,0]
	s_waitcnt vmcnt(1)
	v_add_f16_e32 v34, v35, v34
	buffer_load_dword v35, off, s[28:31], 0 offset:80 ; 4-byte Folded Reload
	s_nop 0
	buffer_store_dword v34, off, s[28:31], 0 offset:72 ; 4-byte Folded Spill
	v_fma_mix_f32 v34, v56, v0, 0 op_sel_hi:[1,1,0]
	v_fma_mix_f32 v34, v57, v0, v34 op_sel:[0,1,0] op_sel_hi:[1,1,0]
	v_fma_mix_f32 v34, v7, v1, v34 op_sel_hi:[1,1,0]
	v_fma_mix_f32 v34, v5, v1, v34 op_sel:[0,1,0] op_sel_hi:[1,1,0]
	v_fma_mix_f32 v34, v4, v2, v34 op_sel_hi:[1,1,0]
	v_fma_mix_f32 v34, v25, v2, v34 op_sel:[0,1,0] op_sel_hi:[1,1,0]
	v_fma_mix_f32 v34, v47, v3, v34 op_sel_hi:[1,1,0]
	v_fma_mix_f32 v34, v10, v3, v34 op_sel:[0,1,0] op_sel_hi:[1,1,0]
	v_fma_mixlo_f16 v34, v34, v30, 0 op_sel_hi:[0,1,0]
	s_waitcnt vmcnt(1)
	v_add_f16_e32 v34, v35, v34
	buffer_store_dword v34, off, s[28:31], 0 offset:60 ; 4-byte Folded Spill
	v_fma_mix_f32 v34, v6, v0, 0 op_sel_hi:[1,1,0]
	v_fma_mix_f32 v0, v24, v0, v34 op_sel:[0,1,0] op_sel_hi:[1,1,0]
	v_fma_mix_f32 v0, v27, v1, v0 op_sel_hi:[1,1,0]
	v_fma_mix_f32 v0, v18, v1, v0 op_sel:[0,1,0] op_sel_hi:[1,1,0]
	buffer_load_dword v1, off, s[28:31], 0 offset:84 ; 4-byte Folded Reload
	buffer_load_dword v35, off, s[28:31], 0 offset:104 ; 4-byte Folded Reload
	v_fma_mix_f32 v0, v26, v2, v0 op_sel_hi:[1,1,0]
	v_fma_mix_f32 v0, v16, v2, v0 op_sel:[0,1,0] op_sel_hi:[1,1,0]
	v_fma_mix_f32 v0, v22, v3, v0 op_sel_hi:[1,1,0]
	v_fma_mix_f32 v0, v62, v3, v0 op_sel:[0,1,0] op_sel_hi:[1,1,0]
	v_fma_mixlo_f16 v0, v0, v30, 0 op_sel:[0,1,0] op_sel_hi:[0,1,0]
	s_waitcnt vmcnt(1)
	v_add_f16_e32 v0, v1, v0
	buffer_store_dword v0, off, s[28:31], 0 offset:64 ; 4-byte Folded Spill
	ds_read_b128 v[0:3], v28 offset:1056
	s_waitcnt lgkmcnt(0)
	v_fma_mix_f32 v34, v41, v0, 0 op_sel_hi:[1,1,0]
	v_fma_mix_f32 v34, v42, v0, v34 op_sel:[0,1,0] op_sel_hi:[1,1,0]
	v_fma_mix_f32 v34, v43, v1, v34 op_sel_hi:[1,1,0]
	v_fma_mix_f32 v34, v12, v1, v34 op_sel:[0,1,0] op_sel_hi:[1,1,0]
	v_fma_mix_f32 v34, v44, v2, v34 op_sel_hi:[1,1,0]
	v_fma_mix_f32 v34, v45, v2, v34 op_sel:[0,1,0] op_sel_hi:[1,1,0]
	v_fma_mix_f32 v34, v46, v3, v34 op_sel_hi:[1,1,0]
	v_fma_mix_f32 v34, v48, v3, v34 op_sel:[0,1,0] op_sel_hi:[1,1,0]
	v_fma_mixlo_f16 v34, v34, v29, 0 op_sel_hi:[0,1,0]
	s_waitcnt vmcnt(1)
	;; [unrolled: 56-line block ×4, first 2 shown]
	v_add_f16_e32 v34, v35, v34
	buffer_load_dword v35, off, s[28:31], 0 offset:124 ; 4-byte Folded Reload
	s_nop 0
	buffer_store_dword v34, off, s[28:31], 0 offset:20 ; 4-byte Folded Spill
	v_fma_mix_f32 v34, v49, v0, 0 op_sel_hi:[1,1,0]
	v_fma_mix_f32 v34, v50, v0, v34 op_sel:[0,1,0] op_sel_hi:[1,1,0]
	v_fma_mix_f32 v34, v51, v1, v34 op_sel_hi:[1,1,0]
	v_fma_mix_f32 v34, v13, v1, v34 op_sel:[0,1,0] op_sel_hi:[1,1,0]
	;; [unrolled: 2-line block ×4, first 2 shown]
	v_fma_mixlo_f16 v34, v34, v29, 0 op_sel:[0,1,0] op_sel_hi:[0,1,0]
	s_waitcnt vmcnt(1)
	v_add_f16_e32 v34, v35, v34
	buffer_load_dword v35, off, s[28:31], 0 offset:128 ; 4-byte Folded Reload
	s_nop 0
	buffer_store_dword v34, off, s[28:31], 0 offset:24 ; 4-byte Folded Spill
	v_fma_mix_f32 v34, v56, v0, 0 op_sel_hi:[1,1,0]
	v_fma_mix_f32 v34, v57, v0, v34 op_sel:[0,1,0] op_sel_hi:[1,1,0]
	v_fma_mix_f32 v34, v7, v1, v34 op_sel_hi:[1,1,0]
	v_fma_mix_f32 v34, v5, v1, v34 op_sel:[0,1,0] op_sel_hi:[1,1,0]
	;; [unrolled: 2-line block ×4, first 2 shown]
	v_fma_mixlo_f16 v34, v34, v30, 0 op_sel_hi:[0,1,0]
	s_waitcnt vmcnt(1)
	v_add_f16_e32 v34, v35, v34
	buffer_store_dword v34, off, s[28:31], 0 offset:12 ; 4-byte Folded Spill
	v_fma_mix_f32 v34, v6, v0, 0 op_sel_hi:[1,1,0]
	v_fma_mix_f32 v0, v24, v0, v34 op_sel:[0,1,0] op_sel_hi:[1,1,0]
	v_fma_mix_f32 v0, v27, v1, v0 op_sel_hi:[1,1,0]
	v_fma_mix_f32 v0, v18, v1, v0 op_sel:[0,1,0] op_sel_hi:[1,1,0]
	buffer_load_dword v1, off, s[28:31], 0 offset:132 ; 4-byte Folded Reload
	v_fma_mix_f32 v0, v26, v2, v0 op_sel_hi:[1,1,0]
	v_fma_mix_f32 v0, v16, v2, v0 op_sel:[0,1,0] op_sel_hi:[1,1,0]
	v_fma_mix_f32 v0, v22, v3, v0 op_sel_hi:[1,1,0]
	v_fma_mix_f32 v0, v62, v3, v0 op_sel:[0,1,0] op_sel_hi:[1,1,0]
	v_fma_mixlo_f16 v0, v0, v30, 0 op_sel:[0,1,0] op_sel_hi:[0,1,0]
	s_waitcnt vmcnt(0)
	v_add_f16_e32 v0, v1, v0
	buffer_store_dword v0, off, s[28:31], 0 offset:16 ; 4-byte Folded Spill
	ds_read_b128 v[0:3], v28 offset:1824
	s_waitcnt lgkmcnt(0)
	v_fma_mix_f32 v34, v41, v0, 0 op_sel_hi:[1,1,0]
	v_fma_mix_f32 v34, v42, v0, v34 op_sel:[0,1,0] op_sel_hi:[1,1,0]
	v_fma_mix_f32 v34, v43, v1, v34 op_sel_hi:[1,1,0]
	v_fma_mix_f32 v12, v12, v1, v34 op_sel:[0,1,0] op_sel_hi:[1,1,0]
	buffer_load_dword v34, off, s[28:31], 0 offset:152 ; 4-byte Folded Reload
	v_fma_mix_f32 v12, v44, v2, v12 op_sel_hi:[1,1,0]
	v_fma_mix_f32 v12, v45, v2, v12 op_sel:[0,1,0] op_sel_hi:[1,1,0]
	v_fma_mix_f32 v12, v46, v3, v12 op_sel_hi:[1,1,0]
	v_fma_mix_f32 v12, v48, v3, v12 op_sel:[0,1,0] op_sel_hi:[1,1,0]
	v_fma_mixlo_f16 v12, v12, v29, 0 op_sel_hi:[0,1,0]
	s_waitcnt vmcnt(0)
	v_add_f16_e32 v12, v34, v12
	buffer_store_dword v12, off, s[28:31], 0 offset:8 ; 4-byte Folded Spill
	v_fma_mix_f32 v12, v49, v0, 0 op_sel_hi:[1,1,0]
	v_fma_mix_f32 v12, v50, v0, v12 op_sel:[0,1,0] op_sel_hi:[1,1,0]
	v_fma_mix_f32 v12, v51, v1, v12 op_sel_hi:[1,1,0]
	v_fma_mix_f32 v12, v13, v1, v12 op_sel:[0,1,0] op_sel_hi:[1,1,0]
	;; [unrolled: 2-line block ×4, first 2 shown]
	v_fma_mixlo_f16 v12, v12, v29, 0 op_sel:[0,1,0] op_sel_hi:[0,1,0]
	v_add_f16_e32 v12, v38, v12
	buffer_store_dword v12, off, s[28:31], 0 offset:4 ; 4-byte Folded Spill
	v_fma_mix_f32 v12, v56, v0, 0 op_sel_hi:[1,1,0]
	v_fma_mix_f32 v12, v57, v0, v12 op_sel:[0,1,0] op_sel_hi:[1,1,0]
	v_fma_mix_f32 v7, v7, v1, v12 op_sel_hi:[1,1,0]
	v_fma_mix_f32 v5, v5, v1, v7 op_sel:[0,1,0] op_sel_hi:[1,1,0]
	;; [unrolled: 2-line block ×4, first 2 shown]
	v_fma_mixlo_f16 v4, v4, v30, 0 op_sel_hi:[0,1,0]
	v_add_f16_e32 v4, v39, v4
	buffer_store_dword v4, off, s[28:31], 0 ; 4-byte Folded Spill
	v_fma_mix_f32 v4, v6, v0, 0 op_sel_hi:[1,1,0]
	v_fma_mix_f32 v0, v24, v0, v4 op_sel:[0,1,0] op_sel_hi:[1,1,0]
	v_fma_mix_f32 v0, v27, v1, v0 op_sel_hi:[1,1,0]
	v_fma_mix_f32 v0, v18, v1, v0 op_sel:[0,1,0] op_sel_hi:[1,1,0]
	v_fma_mix_f32 v0, v26, v2, v0 op_sel_hi:[1,1,0]
	v_fma_mix_f32 v0, v16, v2, v0 op_sel:[0,1,0] op_sel_hi:[1,1,0]
	v_fma_mix_f32 v0, v22, v3, v0 op_sel_hi:[1,1,0]
	v_fma_mix_f32 v0, v62, v3, v0 op_sel:[0,1,0] op_sel_hi:[1,1,0]
	v_add_co_u32_e32 v4, vcc, s0, v20
	v_fma_mixlo_f16 v0, v0, v30, 0 op_sel:[0,1,0] op_sel_hi:[0,1,0]
	v_addc_co_u32_e32 v5, vcc, v21, v37, vcc
	v_add_f16_e32 v47, v40, v0
	global_load_dwordx4 v[0:3], v[4:5], off
	v_add_co_u32_e32 v4, vcc, s0, v4
	v_addc_co_u32_e32 v5, vcc, v5, v37, vcc
	global_load_dwordx4 v[24:27], v[4:5], off
	v_mov_b32_e32 v16, v37
	s_waitcnt vmcnt(1)
	v_sub_u32_sdwa v6, v0, v32 dst_sel:DWORD dst_unused:UNUSED_PAD src0_sel:BYTE_0 src1_sel:DWORD
	v_cvt_f32_i32_e32 v6, v6
	v_sub_u32_sdwa v7, v0, v32 dst_sel:DWORD dst_unused:UNUSED_PAD src0_sel:BYTE_2 src1_sel:DWORD
	v_cvt_f32_i32_e32 v7, v7
	v_cvt_f16_f32_e32 v10, v6
	v_sub_u32_sdwa v6, v0, v32 dst_sel:DWORD dst_unused:UNUSED_PAD src0_sel:BYTE_1 src1_sel:DWORD
	v_sub_u32_sdwa v0, v0, v32 dst_sel:DWORD dst_unused:UNUSED_PAD src0_sel:BYTE_3 src1_sel:DWORD
	v_cvt_f32_i32_e32 v0, v0
	v_cvt_f16_f32_e32 v12, v7
	v_cvt_f32_i32_e32 v6, v6
	v_cvt_f16_f32_e32 v13, v0
	s_waitcnt vmcnt(0)
	v_sub_u32_sdwa v0, v24, v32 dst_sel:DWORD dst_unused:UNUSED_PAD src0_sel:BYTE_0 src1_sel:DWORD
	v_cvt_f32_i32_e32 v0, v0
	v_cvt_f16_f32_e32 v6, v6
	v_cvt_f16_f32_e32 v7, v0
	v_sub_u32_sdwa v0, v24, v32 dst_sel:DWORD dst_unused:UNUSED_PAD src0_sel:BYTE_1 src1_sel:DWORD
	v_cvt_f32_i32_e32 v0, v0
	v_cvt_f16_f32_e32 v34, v0
	v_sub_u32_sdwa v0, v24, v32 dst_sel:DWORD dst_unused:UNUSED_PAD src0_sel:BYTE_2 src1_sel:DWORD
	v_cvt_f32_i32_e32 v0, v0
	v_cvt_f16_f32_e32 v35, v0
	v_sub_u32_sdwa v0, v24, v32 dst_sel:DWORD dst_unused:UNUSED_PAD src0_sel:BYTE_3 src1_sel:DWORD
	v_cvt_f32_i32_e32 v0, v0
	v_cvt_f16_f32_e32 v36, v0
	v_sub_u32_sdwa v0, v1, v31 dst_sel:DWORD dst_unused:UNUSED_PAD src0_sel:BYTE_0 src1_sel:DWORD
	v_cvt_f32_i32_e32 v0, v0
	v_cvt_f16_f32_e32 v32, v0
	v_sub_u32_sdwa v0, v1, v31 dst_sel:DWORD dst_unused:UNUSED_PAD src0_sel:BYTE_1 src1_sel:DWORD
	v_cvt_f32_i32_e32 v0, v0
	v_cvt_f16_f32_e32 v37, v0
	v_sub_u32_sdwa v0, v1, v31 dst_sel:DWORD dst_unused:UNUSED_PAD src0_sel:BYTE_2 src1_sel:DWORD
	v_cvt_f32_i32_e32 v0, v0
	v_cvt_f16_f32_e32 v38, v0
	v_sub_u32_sdwa v0, v1, v31 dst_sel:DWORD dst_unused:UNUSED_PAD src0_sel:BYTE_3 src1_sel:DWORD
	v_cvt_f32_i32_e32 v0, v0
	v_fma_mix_f32 v1, v32, v58, 0 op_sel_hi:[1,1,0]
	v_fma_mix_f32 v1, v37, v58, v1 op_sel:[0,1,0] op_sel_hi:[1,1,0]
	v_fma_mix_f32 v1, v38, v59, v1 op_sel_hi:[1,1,0]
	v_cvt_f16_f32_e32 v39, v0
	v_sub_u32_sdwa v0, v25, v31 dst_sel:DWORD dst_unused:UNUSED_PAD src0_sel:BYTE_0 src1_sel:DWORD
	v_cvt_f32_i32_e32 v0, v0
	v_fma_mix_f32 v1, v39, v59, v1 op_sel:[0,1,0] op_sel_hi:[1,1,0]
	v_cvt_f16_f32_e32 v40, v0
	v_sub_u32_sdwa v0, v25, v31 dst_sel:DWORD dst_unused:UNUSED_PAD src0_sel:BYTE_1 src1_sel:DWORD
	v_cvt_f32_i32_e32 v0, v0
	v_fma_mix_f32 v1, v40, v60, v1 op_sel_hi:[1,1,0]
	v_cvt_f16_f32_e32 v41, v0
	v_sub_u32_sdwa v0, v25, v31 dst_sel:DWORD dst_unused:UNUSED_PAD src0_sel:BYTE_2 src1_sel:DWORD
	v_cvt_f32_i32_e32 v0, v0
	v_fma_mix_f32 v1, v41, v60, v1 op_sel:[0,1,0] op_sel_hi:[1,1,0]
	v_cvt_f16_f32_e32 v42, v0
	v_sub_u32_sdwa v0, v25, v31 dst_sel:DWORD dst_unused:UNUSED_PAD src0_sel:BYTE_3 src1_sel:DWORD
	v_cvt_f32_i32_e32 v0, v0
	buffer_load_dword v25, off, s[28:31], 0 offset:40 ; 4-byte Folded Reload
	v_fma_mix_f32 v1, v42, v61, v1 op_sel_hi:[1,1,0]
	v_cvt_f16_f32_e32 v44, v0
	v_sub_u32_sdwa v0, v2, v17 dst_sel:DWORD dst_unused:UNUSED_PAD src0_sel:BYTE_0 src1_sel:DWORD
	v_cvt_f32_i32_e32 v0, v0
	v_fma_mix_f32 v1, v44, v61, v1 op_sel:[0,1,0] op_sel_hi:[1,1,0]
	v_fma_mixlo_f16 v1, v1, v29, 0 op_sel:[0,1,0] op_sel_hi:[0,1,0]
	v_cvt_f16_f32_e32 v21, v0
	v_sub_u32_sdwa v0, v2, v17 dst_sel:DWORD dst_unused:UNUSED_PAD src0_sel:BYTE_1 src1_sel:DWORD
	v_cvt_f32_i32_e32 v0, v0
	v_add_f16_e32 v1, v11, v1
	v_cvt_f16_f32_e32 v43, v0
	v_sub_u32_sdwa v0, v2, v17 dst_sel:DWORD dst_unused:UNUSED_PAD src0_sel:BYTE_2 src1_sel:DWORD
	v_cvt_f32_i32_e32 v0, v0
	v_cvt_f16_f32_e32 v45, v0
	v_sub_u32_sdwa v0, v2, v17 dst_sel:DWORD dst_unused:UNUSED_PAD src0_sel:BYTE_3 src1_sel:DWORD
	v_cvt_f32_i32_e32 v0, v0
	v_cvt_f16_f32_e32 v46, v0
	v_sub_u32_sdwa v0, v26, v17 dst_sel:DWORD dst_unused:UNUSED_PAD src0_sel:BYTE_0 src1_sel:DWORD
	v_cvt_f32_i32_e32 v0, v0
	v_cvt_f16_f32_e32 v48, v0
	v_sub_u32_sdwa v0, v26, v17 dst_sel:DWORD dst_unused:UNUSED_PAD src0_sel:BYTE_1 src1_sel:DWORD
	v_cvt_f32_i32_e32 v0, v0
	v_cvt_f16_f32_e32 v49, v0
	v_sub_u32_sdwa v0, v26, v17 dst_sel:DWORD dst_unused:UNUSED_PAD src0_sel:BYTE_2 src1_sel:DWORD
	v_cvt_f32_i32_e32 v0, v0
	v_cvt_f16_f32_e32 v50, v0
	v_sub_u32_sdwa v0, v26, v17 dst_sel:DWORD dst_unused:UNUSED_PAD src0_sel:BYTE_3 src1_sel:DWORD
	v_cvt_f32_i32_e32 v0, v0
	buffer_load_dword v17, off, s[28:31], 0 offset:72 ; 4-byte Folded Reload
	v_cvt_f16_f32_e32 v51, v0
	v_sub_u32_sdwa v0, v3, v63 dst_sel:DWORD dst_unused:UNUSED_PAD src0_sel:BYTE_0 src1_sel:DWORD
	v_cvt_f32_i32_e32 v0, v0
	v_cvt_f16_f32_e32 v20, v0
	v_sub_u32_sdwa v0, v3, v63 dst_sel:DWORD dst_unused:UNUSED_PAD src0_sel:BYTE_1 src1_sel:DWORD
	v_cvt_f32_i32_e32 v0, v0
	v_cvt_f16_f32_e32 v52, v0
	v_sub_u32_sdwa v0, v3, v63 dst_sel:DWORD dst_unused:UNUSED_PAD src0_sel:BYTE_2 src1_sel:DWORD
	v_cvt_f32_i32_e32 v0, v0
	v_cvt_f16_f32_e32 v53, v0
	v_sub_u32_sdwa v0, v3, v63 dst_sel:DWORD dst_unused:UNUSED_PAD src0_sel:BYTE_3 src1_sel:DWORD
	v_cvt_f32_i32_e32 v0, v0
	v_cvt_f16_f32_e32 v54, v0
	v_sub_u32_sdwa v0, v27, v63 dst_sel:DWORD dst_unused:UNUSED_PAD src0_sel:BYTE_0 src1_sel:DWORD
	v_cvt_f32_i32_e32 v0, v0
	v_cvt_f16_f32_e32 v55, v0
	v_sub_u32_sdwa v0, v27, v63 dst_sel:DWORD dst_unused:UNUSED_PAD src0_sel:BYTE_1 src1_sel:DWORD
	v_cvt_f32_i32_e32 v0, v0
	v_cvt_f16_f32_e32 v56, v0
	v_sub_u32_sdwa v0, v27, v63 dst_sel:DWORD dst_unused:UNUSED_PAD src0_sel:BYTE_2 src1_sel:DWORD
	v_cvt_f32_i32_e32 v0, v0
	v_cvt_f16_f32_e32 v57, v0
	v_sub_u32_sdwa v0, v27, v63 dst_sel:DWORD dst_unused:UNUSED_PAD src0_sel:BYTE_3 src1_sel:DWORD
	v_cvt_f32_i32_e32 v0, v0
	v_cvt_f16_f32_e32 v18, v0
	v_fma_mix_f32 v0, v10, v58, 0 op_sel_hi:[1,1,0]
	v_fma_mix_f32 v0, v6, v58, v0 op_sel:[0,1,0] op_sel_hi:[1,1,0]
	v_fma_mix_f32 v0, v12, v59, v0 op_sel_hi:[1,1,0]
	v_fma_mix_f32 v0, v13, v59, v0 op_sel:[0,1,0] op_sel_hi:[1,1,0]
	v_fma_mix_f32 v0, v7, v60, v0 op_sel_hi:[1,1,0]
	v_fma_mix_f32 v0, v34, v60, v0 op_sel:[0,1,0] op_sel_hi:[1,1,0]
	v_fma_mix_f32 v0, v35, v61, v0 op_sel_hi:[1,1,0]
	v_fma_mix_f32 v0, v36, v61, v0 op_sel:[0,1,0] op_sel_hi:[1,1,0]
	v_fma_mixlo_f16 v0, v0, v29, 0 op_sel_hi:[0,1,0]
	v_add_f16_e32 v0, v9, v0
	v_pack_b32_f16 v22, v0, v1
	v_fma_mix_f32 v0, v21, v58, 0 op_sel_hi:[1,1,0]
	v_fma_mix_f32 v1, v20, v58, 0 op_sel_hi:[1,1,0]
	v_fma_mix_f32 v0, v43, v58, v0 op_sel:[0,1,0] op_sel_hi:[1,1,0]
	v_fma_mix_f32 v1, v52, v58, v1 op_sel:[0,1,0] op_sel_hi:[1,1,0]
	v_fma_mix_f32 v0, v45, v59, v0 op_sel_hi:[1,1,0]
	v_fma_mix_f32 v1, v53, v59, v1 op_sel_hi:[1,1,0]
	v_fma_mix_f32 v0, v46, v59, v0 op_sel:[0,1,0] op_sel_hi:[1,1,0]
	v_fma_mix_f32 v1, v54, v59, v1 op_sel:[0,1,0] op_sel_hi:[1,1,0]
	;; [unrolled: 4-line block ×4, first 2 shown]
	v_fma_mixlo_f16 v0, v0, v30, 0 op_sel_hi:[0,1,0]
	v_fma_mixlo_f16 v1, v1, v30, 0 op_sel:[0,1,0] op_sel_hi:[0,1,0]
	v_add_f16_e32 v0, v8, v0
	v_add_f16_e32 v1, v33, v1
	v_pack_b32_f16 v27, v0, v1
	ds_read_b128 v[0:3], v28 offset:304
	s_waitcnt lgkmcnt(0)
	v_fma_mix_f32 v8, v10, v0, 0 op_sel_hi:[1,1,0]
	v_fma_mix_f32 v9, v32, v0, 0 op_sel_hi:[1,1,0]
	v_fma_mix_f32 v8, v6, v0, v8 op_sel:[0,1,0] op_sel_hi:[1,1,0]
	v_fma_mix_f32 v9, v37, v0, v9 op_sel:[0,1,0] op_sel_hi:[1,1,0]
	v_fma_mix_f32 v8, v12, v1, v8 op_sel_hi:[1,1,0]
	v_fma_mix_f32 v9, v38, v1, v9 op_sel_hi:[1,1,0]
	v_fma_mix_f32 v8, v13, v1, v8 op_sel:[0,1,0] op_sel_hi:[1,1,0]
	v_fma_mix_f32 v9, v39, v1, v9 op_sel:[0,1,0] op_sel_hi:[1,1,0]
	;; [unrolled: 4-line block ×4, first 2 shown]
	v_fma_mixlo_f16 v8, v8, v29, 0 op_sel_hi:[0,1,0]
	v_fma_mixlo_f16 v9, v9, v29, 0 op_sel:[0,1,0] op_sel_hi:[0,1,0]
	v_add_f16_e32 v8, v15, v8
	v_add_f16_e32 v9, v14, v9
	v_pack_b32_f16 v24, v8, v9
	v_fma_mix_f32 v8, v21, v0, 0 op_sel_hi:[1,1,0]
	v_fma_mix_f32 v9, v20, v0, 0 op_sel_hi:[1,1,0]
	v_fma_mix_f32 v8, v43, v0, v8 op_sel:[0,1,0] op_sel_hi:[1,1,0]
	v_fma_mix_f32 v0, v52, v0, v9 op_sel:[0,1,0] op_sel_hi:[1,1,0]
	buffer_load_dword v9, off, s[28:31], 0 offset:144 ; 4-byte Folded Reload
	buffer_load_dword v14, off, s[28:31], 0 offset:148 ; 4-byte Folded Reload
	v_fma_mix_f32 v8, v45, v1, v8 op_sel_hi:[1,1,0]
	v_fma_mix_f32 v0, v53, v1, v0 op_sel_hi:[1,1,0]
	v_fma_mix_f32 v8, v46, v1, v8 op_sel:[0,1,0] op_sel_hi:[1,1,0]
	v_fma_mix_f32 v0, v54, v1, v0 op_sel:[0,1,0] op_sel_hi:[1,1,0]
	v_fma_mix_f32 v8, v48, v2, v8 op_sel_hi:[1,1,0]
	v_fma_mix_f32 v0, v55, v2, v0 op_sel_hi:[1,1,0]
	v_fma_mix_f32 v8, v49, v2, v8 op_sel:[0,1,0] op_sel_hi:[1,1,0]
	v_fma_mix_f32 v0, v56, v2, v0 op_sel:[0,1,0] op_sel_hi:[1,1,0]
	;; [unrolled: 4-line block ×3, first 2 shown]
	v_fma_mixlo_f16 v8, v8, v30, 0 op_sel_hi:[0,1,0]
	v_fma_mixlo_f16 v0, v0, v30, 0 op_sel:[0,1,0] op_sel_hi:[0,1,0]
	v_add_f16_e32 v8, v19, v8
	v_add_f16_e32 v0, v23, v0
	v_pack_b32_f16 v11, v8, v0
	ds_read_b128 v[0:3], v28 offset:560
	buffer_load_dword v23, off, s[28:31], 0 offset:56 ; 4-byte Folded Reload
	s_waitcnt lgkmcnt(0)
	v_fma_mix_f32 v8, v10, v0, 0 op_sel_hi:[1,1,0]
	v_fma_mix_f32 v8, v6, v0, v8 op_sel:[0,1,0] op_sel_hi:[1,1,0]
	v_fma_mix_f32 v8, v12, v1, v8 op_sel_hi:[1,1,0]
	v_fma_mix_f32 v8, v13, v1, v8 op_sel:[0,1,0] op_sel_hi:[1,1,0]
	;; [unrolled: 2-line block ×4, first 2 shown]
	v_fma_mixlo_f16 v8, v8, v29, 0 op_sel_hi:[0,1,0]
	s_waitcnt vmcnt(2)
	v_add_f16_e32 v8, v9, v8
	v_fma_mix_f32 v9, v32, v0, 0 op_sel_hi:[1,1,0]
	v_fma_mix_f32 v9, v37, v0, v9 op_sel:[0,1,0] op_sel_hi:[1,1,0]
	v_fma_mix_f32 v9, v38, v1, v9 op_sel_hi:[1,1,0]
	v_fma_mix_f32 v9, v39, v1, v9 op_sel:[0,1,0] op_sel_hi:[1,1,0]
	;; [unrolled: 2-line block ×4, first 2 shown]
	v_fma_mixlo_f16 v9, v9, v29, 0 op_sel:[0,1,0] op_sel_hi:[0,1,0]
	s_waitcnt vmcnt(1)
	v_add_f16_e32 v9, v14, v9
	v_pack_b32_f16 v15, v8, v9
	buffer_load_dword v9, off, s[28:31], 0 offset:136 ; 4-byte Folded Reload
	v_fma_mix_f32 v8, v21, v0, 0 op_sel_hi:[1,1,0]
	v_fma_mix_f32 v8, v43, v0, v8 op_sel:[0,1,0] op_sel_hi:[1,1,0]
	v_fma_mix_f32 v8, v45, v1, v8 op_sel_hi:[1,1,0]
	v_fma_mix_f32 v8, v46, v1, v8 op_sel:[0,1,0] op_sel_hi:[1,1,0]
	v_fma_mix_f32 v8, v48, v2, v8 op_sel_hi:[1,1,0]
	v_fma_mix_f32 v8, v49, v2, v8 op_sel:[0,1,0] op_sel_hi:[1,1,0]
	v_fma_mix_f32 v8, v50, v3, v8 op_sel_hi:[1,1,0]
	v_fma_mix_f32 v8, v51, v3, v8 op_sel:[0,1,0] op_sel_hi:[1,1,0]
	v_fma_mixlo_f16 v8, v8, v30, 0 op_sel_hi:[0,1,0]
	s_waitcnt vmcnt(0)
	v_add_f16_e32 v8, v9, v8
	v_fma_mix_f32 v9, v20, v0, 0 op_sel_hi:[1,1,0]
	v_fma_mix_f32 v0, v52, v0, v9 op_sel:[0,1,0] op_sel_hi:[1,1,0]
	v_fma_mix_f32 v0, v53, v1, v0 op_sel_hi:[1,1,0]
	v_fma_mix_f32 v0, v54, v1, v0 op_sel:[0,1,0] op_sel_hi:[1,1,0]
	buffer_load_dword v1, off, s[28:31], 0 offset:140 ; 4-byte Folded Reload
	buffer_load_dword v9, off, s[28:31], 0 offset:68 ; 4-byte Folded Reload
	v_fma_mix_f32 v0, v55, v2, v0 op_sel_hi:[1,1,0]
	v_fma_mix_f32 v0, v56, v2, v0 op_sel:[0,1,0] op_sel_hi:[1,1,0]
	v_fma_mix_f32 v0, v57, v3, v0 op_sel_hi:[1,1,0]
	v_fma_mix_f32 v0, v18, v3, v0 op_sel:[0,1,0] op_sel_hi:[1,1,0]
	v_fma_mixlo_f16 v0, v0, v30, 0 op_sel:[0,1,0] op_sel_hi:[0,1,0]
	s_waitcnt vmcnt(1)
	v_add_f16_e32 v0, v1, v0
	v_pack_b32_f16 v14, v8, v0
	ds_read_b128 v[0:3], v28 offset:816
	s_waitcnt lgkmcnt(0)
	v_fma_mix_f32 v8, v10, v0, 0 op_sel_hi:[1,1,0]
	v_fma_mix_f32 v8, v6, v0, v8 op_sel:[0,1,0] op_sel_hi:[1,1,0]
	v_fma_mix_f32 v8, v12, v1, v8 op_sel_hi:[1,1,0]
	v_fma_mix_f32 v8, v13, v1, v8 op_sel:[0,1,0] op_sel_hi:[1,1,0]
	v_fma_mix_f32 v8, v7, v2, v8 op_sel_hi:[1,1,0]
	v_fma_mix_f32 v8, v34, v2, v8 op_sel:[0,1,0] op_sel_hi:[1,1,0]
	v_fma_mix_f32 v8, v35, v3, v8 op_sel_hi:[1,1,0]
	v_fma_mix_f32 v8, v36, v3, v8 op_sel:[0,1,0] op_sel_hi:[1,1,0]
	v_fma_mixlo_f16 v8, v8, v29, 0 op_sel_hi:[0,1,0]
	s_waitcnt vmcnt(0)
	v_add_f16_e32 v8, v9, v8
	v_fma_mix_f32 v9, v32, v0, 0 op_sel_hi:[1,1,0]
	v_fma_mix_f32 v9, v37, v0, v9 op_sel:[0,1,0] op_sel_hi:[1,1,0]
	v_fma_mix_f32 v9, v38, v1, v9 op_sel_hi:[1,1,0]
	v_fma_mix_f32 v9, v39, v1, v9 op_sel:[0,1,0] op_sel_hi:[1,1,0]
	v_fma_mix_f32 v9, v40, v2, v9 op_sel_hi:[1,1,0]
	v_fma_mix_f32 v9, v41, v2, v9 op_sel:[0,1,0] op_sel_hi:[1,1,0]
	v_fma_mix_f32 v9, v42, v3, v9 op_sel_hi:[1,1,0]
	v_fma_mix_f32 v9, v44, v3, v9 op_sel:[0,1,0] op_sel_hi:[1,1,0]
	v_fma_mixlo_f16 v9, v9, v29, 0 op_sel:[0,1,0] op_sel_hi:[0,1,0]
	v_add_f16_e32 v9, v17, v9
	v_pack_b32_f16 v19, v8, v9
	buffer_load_dword v9, off, s[28:31], 0 offset:60 ; 4-byte Folded Reload
	v_fma_mix_f32 v8, v21, v0, 0 op_sel_hi:[1,1,0]
	v_fma_mix_f32 v8, v43, v0, v8 op_sel:[0,1,0] op_sel_hi:[1,1,0]
	v_fma_mix_f32 v8, v45, v1, v8 op_sel_hi:[1,1,0]
	v_fma_mix_f32 v8, v46, v1, v8 op_sel:[0,1,0] op_sel_hi:[1,1,0]
	v_fma_mix_f32 v8, v48, v2, v8 op_sel_hi:[1,1,0]
	v_fma_mix_f32 v8, v49, v2, v8 op_sel:[0,1,0] op_sel_hi:[1,1,0]
	v_fma_mix_f32 v8, v50, v3, v8 op_sel_hi:[1,1,0]
	v_fma_mix_f32 v8, v51, v3, v8 op_sel:[0,1,0] op_sel_hi:[1,1,0]
	v_fma_mixlo_f16 v8, v8, v30, 0 op_sel_hi:[0,1,0]
	s_waitcnt vmcnt(0)
	v_add_f16_e32 v8, v9, v8
	v_fma_mix_f32 v9, v20, v0, 0 op_sel_hi:[1,1,0]
	v_fma_mix_f32 v0, v52, v0, v9 op_sel:[0,1,0] op_sel_hi:[1,1,0]
	v_fma_mix_f32 v0, v53, v1, v0 op_sel_hi:[1,1,0]
	v_fma_mix_f32 v0, v54, v1, v0 op_sel:[0,1,0] op_sel_hi:[1,1,0]
	buffer_load_dword v1, off, s[28:31], 0 offset:64 ; 4-byte Folded Reload
	buffer_load_dword v9, off, s[28:31], 0 offset:52 ; 4-byte Folded Reload
	v_fma_mix_f32 v0, v55, v2, v0 op_sel_hi:[1,1,0]
	v_fma_mix_f32 v0, v56, v2, v0 op_sel:[0,1,0] op_sel_hi:[1,1,0]
	v_fma_mix_f32 v0, v57, v3, v0 op_sel_hi:[1,1,0]
	v_fma_mix_f32 v0, v18, v3, v0 op_sel:[0,1,0] op_sel_hi:[1,1,0]
	v_fma_mixlo_f16 v0, v0, v30, 0 op_sel:[0,1,0] op_sel_hi:[0,1,0]
	s_waitcnt vmcnt(1)
	v_add_f16_e32 v0, v1, v0
	v_pack_b32_f16 v17, v8, v0
	ds_read_b128 v[0:3], v28 offset:1072
	s_waitcnt lgkmcnt(0)
	v_fma_mix_f32 v8, v10, v0, 0 op_sel_hi:[1,1,0]
	v_fma_mix_f32 v8, v6, v0, v8 op_sel:[0,1,0] op_sel_hi:[1,1,0]
	v_fma_mix_f32 v8, v12, v1, v8 op_sel_hi:[1,1,0]
	v_fma_mix_f32 v8, v13, v1, v8 op_sel:[0,1,0] op_sel_hi:[1,1,0]
	v_fma_mix_f32 v8, v7, v2, v8 op_sel_hi:[1,1,0]
	v_fma_mix_f32 v8, v34, v2, v8 op_sel:[0,1,0] op_sel_hi:[1,1,0]
	v_fma_mix_f32 v8, v35, v3, v8 op_sel_hi:[1,1,0]
	v_fma_mix_f32 v8, v36, v3, v8 op_sel:[0,1,0] op_sel_hi:[1,1,0]
	v_fma_mixlo_f16 v8, v8, v29, 0 op_sel_hi:[0,1,0]
	s_waitcnt vmcnt(0)
	v_add_f16_e32 v8, v9, v8
	v_fma_mix_f32 v9, v32, v0, 0 op_sel_hi:[1,1,0]
	v_fma_mix_f32 v9, v37, v0, v9 op_sel:[0,1,0] op_sel_hi:[1,1,0]
	v_fma_mix_f32 v9, v38, v1, v9 op_sel_hi:[1,1,0]
	v_fma_mix_f32 v9, v39, v1, v9 op_sel:[0,1,0] op_sel_hi:[1,1,0]
	v_fma_mix_f32 v9, v40, v2, v9 op_sel_hi:[1,1,0]
	v_fma_mix_f32 v9, v41, v2, v9 op_sel:[0,1,0] op_sel_hi:[1,1,0]
	v_fma_mix_f32 v9, v42, v3, v9 op_sel_hi:[1,1,0]
	v_fma_mix_f32 v9, v44, v3, v9 op_sel:[0,1,0] op_sel_hi:[1,1,0]
	v_fma_mixlo_f16 v9, v9, v29, 0 op_sel:[0,1,0] op_sel_hi:[0,1,0]
	;; [unrolled: 50-line block ×3, first 2 shown]
	v_add_f16_e32 v9, v25, v9
	v_pack_b32_f16 v33, v8, v9
	buffer_load_dword v9, off, s[28:31], 0 offset:28 ; 4-byte Folded Reload
	v_fma_mix_f32 v8, v21, v0, 0 op_sel_hi:[1,1,0]
	v_fma_mix_f32 v8, v43, v0, v8 op_sel:[0,1,0] op_sel_hi:[1,1,0]
	v_fma_mix_f32 v8, v45, v1, v8 op_sel_hi:[1,1,0]
	v_fma_mix_f32 v8, v46, v1, v8 op_sel:[0,1,0] op_sel_hi:[1,1,0]
	;; [unrolled: 2-line block ×4, first 2 shown]
	v_fma_mixlo_f16 v8, v8, v30, 0 op_sel_hi:[0,1,0]
	buffer_load_dword v25, off, s[28:31], 0 offset:24 ; 4-byte Folded Reload
	s_waitcnt vmcnt(1)
	v_add_f16_e32 v8, v9, v8
	v_fma_mix_f32 v9, v20, v0, 0 op_sel_hi:[1,1,0]
	v_fma_mix_f32 v0, v52, v0, v9 op_sel:[0,1,0] op_sel_hi:[1,1,0]
	v_fma_mix_f32 v0, v53, v1, v0 op_sel_hi:[1,1,0]
	v_fma_mix_f32 v0, v54, v1, v0 op_sel:[0,1,0] op_sel_hi:[1,1,0]
	buffer_load_dword v1, off, s[28:31], 0 offset:32 ; 4-byte Folded Reload
	buffer_load_dword v9, off, s[28:31], 0 offset:20 ; 4-byte Folded Reload
	v_fma_mix_f32 v0, v55, v2, v0 op_sel_hi:[1,1,0]
	v_fma_mix_f32 v0, v56, v2, v0 op_sel:[0,1,0] op_sel_hi:[1,1,0]
	v_fma_mix_f32 v0, v57, v3, v0 op_sel_hi:[1,1,0]
	v_fma_mix_f32 v0, v18, v3, v0 op_sel:[0,1,0] op_sel_hi:[1,1,0]
	v_fma_mixlo_f16 v0, v0, v30, 0 op_sel:[0,1,0] op_sel_hi:[0,1,0]
	s_waitcnt vmcnt(1)
	v_add_f16_e32 v0, v1, v0
	v_pack_b32_f16 v31, v8, v0
	ds_read_b128 v[0:3], v28 offset:1584
	s_waitcnt lgkmcnt(0)
	v_fma_mix_f32 v8, v10, v0, 0 op_sel_hi:[1,1,0]
	v_fma_mix_f32 v8, v6, v0, v8 op_sel:[0,1,0] op_sel_hi:[1,1,0]
	v_fma_mix_f32 v8, v12, v1, v8 op_sel_hi:[1,1,0]
	v_fma_mix_f32 v8, v13, v1, v8 op_sel:[0,1,0] op_sel_hi:[1,1,0]
	v_fma_mix_f32 v8, v7, v2, v8 op_sel_hi:[1,1,0]
	v_fma_mix_f32 v8, v34, v2, v8 op_sel:[0,1,0] op_sel_hi:[1,1,0]
	v_fma_mix_f32 v8, v35, v3, v8 op_sel_hi:[1,1,0]
	v_fma_mix_f32 v8, v36, v3, v8 op_sel:[0,1,0] op_sel_hi:[1,1,0]
	v_fma_mixlo_f16 v8, v8, v29, 0 op_sel_hi:[0,1,0]
	s_waitcnt vmcnt(0)
	v_add_f16_e32 v8, v9, v8
	v_fma_mix_f32 v9, v32, v0, 0 op_sel_hi:[1,1,0]
	v_fma_mix_f32 v9, v37, v0, v9 op_sel:[0,1,0] op_sel_hi:[1,1,0]
	v_fma_mix_f32 v9, v38, v1, v9 op_sel_hi:[1,1,0]
	v_fma_mix_f32 v9, v39, v1, v9 op_sel:[0,1,0] op_sel_hi:[1,1,0]
	;; [unrolled: 2-line block ×4, first 2 shown]
	v_fma_mixlo_f16 v9, v9, v29, 0 op_sel:[0,1,0] op_sel_hi:[0,1,0]
	v_add_f16_e32 v9, v25, v9
	v_pack_b32_f16 v58, v8, v9
	buffer_load_dword v9, off, s[28:31], 0 offset:12 ; 4-byte Folded Reload
	v_fma_mix_f32 v8, v21, v0, 0 op_sel_hi:[1,1,0]
	v_fma_mix_f32 v8, v43, v0, v8 op_sel:[0,1,0] op_sel_hi:[1,1,0]
	v_fma_mix_f32 v8, v45, v1, v8 op_sel_hi:[1,1,0]
	v_fma_mix_f32 v8, v46, v1, v8 op_sel:[0,1,0] op_sel_hi:[1,1,0]
	;; [unrolled: 2-line block ×4, first 2 shown]
	v_fma_mixlo_f16 v8, v8, v30, 0 op_sel_hi:[0,1,0]
	s_waitcnt vmcnt(0)
	v_add_f16_e32 v8, v9, v8
	v_fma_mix_f32 v9, v20, v0, 0 op_sel_hi:[1,1,0]
	v_fma_mix_f32 v0, v52, v0, v9 op_sel:[0,1,0] op_sel_hi:[1,1,0]
	v_fma_mix_f32 v0, v53, v1, v0 op_sel_hi:[1,1,0]
	v_fma_mix_f32 v0, v54, v1, v0 op_sel:[0,1,0] op_sel_hi:[1,1,0]
	buffer_load_dword v1, off, s[28:31], 0 offset:16 ; 4-byte Folded Reload
	v_fma_mix_f32 v0, v55, v2, v0 op_sel_hi:[1,1,0]
	v_fma_mix_f32 v0, v56, v2, v0 op_sel:[0,1,0] op_sel_hi:[1,1,0]
	v_fma_mix_f32 v0, v57, v3, v0 op_sel_hi:[1,1,0]
	v_fma_mix_f32 v0, v18, v3, v0 op_sel:[0,1,0] op_sel_hi:[1,1,0]
	v_fma_mixlo_f16 v0, v0, v30, 0 op_sel:[0,1,0] op_sel_hi:[0,1,0]
	s_waitcnt vmcnt(0)
	v_add_f16_e32 v0, v1, v0
	v_pack_b32_f16 v9, v8, v0
	ds_read_b128 v[0:3], v28 offset:1840
	s_waitcnt lgkmcnt(0)
	v_fma_mix_f32 v8, v10, v0, 0 op_sel_hi:[1,1,0]
	v_fma_mix_f32 v6, v6, v0, v8 op_sel:[0,1,0] op_sel_hi:[1,1,0]
	v_fma_mix_f32 v6, v12, v1, v6 op_sel_hi:[1,1,0]
	v_fma_mix_f32 v6, v13, v1, v6 op_sel:[0,1,0] op_sel_hi:[1,1,0]
	v_fma_mix_f32 v6, v7, v2, v6 op_sel_hi:[1,1,0]
	buffer_load_dword v7, off, s[28:31], 0 offset:8 ; 4-byte Folded Reload
	buffer_load_dword v8, off, s[28:31], 0 offset:4 ; 4-byte Folded Reload
	v_fma_mix_f32 v6, v34, v2, v6 op_sel:[0,1,0] op_sel_hi:[1,1,0]
	v_fma_mix_f32 v6, v35, v3, v6 op_sel_hi:[1,1,0]
	v_fma_mix_f32 v6, v36, v3, v6 op_sel:[0,1,0] op_sel_hi:[1,1,0]
	v_fma_mixlo_f16 v6, v6, v29, 0 op_sel_hi:[0,1,0]
	s_waitcnt vmcnt(1)
	v_add_f16_e32 v6, v7, v6
	v_fma_mix_f32 v7, v32, v0, 0 op_sel_hi:[1,1,0]
	v_fma_mix_f32 v7, v37, v0, v7 op_sel:[0,1,0] op_sel_hi:[1,1,0]
	v_fma_mix_f32 v7, v38, v1, v7 op_sel_hi:[1,1,0]
	v_fma_mix_f32 v7, v39, v1, v7 op_sel:[0,1,0] op_sel_hi:[1,1,0]
	;; [unrolled: 2-line block ×4, first 2 shown]
	v_fma_mixlo_f16 v7, v7, v29, 0 op_sel:[0,1,0] op_sel_hi:[0,1,0]
	s_waitcnt vmcnt(0)
	v_add_f16_e32 v7, v8, v7
	v_pack_b32_f16 v8, v6, v7
	buffer_load_dword v7, off, s[28:31], 0  ; 4-byte Folded Reload
	v_fma_mix_f32 v6, v21, v0, 0 op_sel_hi:[1,1,0]
	v_fma_mix_f32 v6, v43, v0, v6 op_sel:[0,1,0] op_sel_hi:[1,1,0]
	v_fma_mix_f32 v6, v45, v1, v6 op_sel_hi:[1,1,0]
	v_fma_mix_f32 v6, v46, v1, v6 op_sel:[0,1,0] op_sel_hi:[1,1,0]
	;; [unrolled: 2-line block ×4, first 2 shown]
	v_fma_mixlo_f16 v6, v6, v30, 0 op_sel_hi:[0,1,0]
	s_waitcnt vmcnt(0)
	v_add_f16_e32 v6, v7, v6
	v_fma_mix_f32 v7, v20, v0, 0 op_sel_hi:[1,1,0]
	v_fma_mix_f32 v0, v52, v0, v7 op_sel:[0,1,0] op_sel_hi:[1,1,0]
	v_fma_mix_f32 v0, v53, v1, v0 op_sel_hi:[1,1,0]
	v_fma_mix_f32 v0, v54, v1, v0 op_sel:[0,1,0] op_sel_hi:[1,1,0]
	;; [unrolled: 2-line block ×4, first 2 shown]
	v_fma_mixlo_f16 v0, v0, v30, 0 op_sel:[0,1,0] op_sel_hi:[0,1,0]
	v_add_f16_e32 v0, v47, v0
	v_pack_b32_f16 v25, v6, v0
	v_add_co_u32_e32 v0, vcc, s0, v4
	v_addc_co_u32_e32 v1, vcc, v5, v16, vcc
	s_cbranch_scc1 .LBB46_25
; %bb.24:                               ;   in Loop: Header=BB46_21 Depth=1
	buffer_load_dword v3, off, s[28:31], 0 offset:160 ; 4-byte Folded Reload
	buffer_load_dword v5, off, s[28:31], 0 offset:164 ; 4-byte Folded Reload
	;; [unrolled: 1-line block ×4, first 2 shown]
	s_branch .LBB46_21
.LBB46_25:
	buffer_load_dword v0, off, s[28:31], 0 offset:180 ; 4-byte Folded Reload
	buffer_load_dword v1, off, s[28:31], 0 offset:184 ; 4-byte Folded Reload
	s_mul_i32 s7, s7, s16
	v_mov_b32_e32 v3, s15
	s_mov_b64 s[0:1], 0
	s_waitcnt vmcnt(1)
	v_add_u32_e32 v0, s7, v0
	s_waitcnt vmcnt(0)
	v_ashrrev_i32_e32 v1, 31, v0
	v_lshlrev_b64 v[1:2], 1, v[0:1]
	v_add_co_u32_e32 v1, vcc, s14, v1
	v_addc_co_u32_e32 v2, vcc, v3, v2, vcc
	global_load_dword v4, v[1:2], off
.LBB46_26:                              ; =>This Inner Loop Header: Depth=1
	s_waitcnt vmcnt(0)
	v_pk_add_f16 v3, v22, v4
	global_atomic_cmpswap v3, v[1:2], v[3:4], off glc
	s_waitcnt vmcnt(0)
	v_cmp_eq_u32_e32 vcc, v4, v3
	s_or_b64 s[0:1], vcc, s[0:1]
	v_mov_b32_e32 v4, v3
	s_andn2_b64 exec, exec, s[0:1]
	s_cbranch_execnz .LBB46_26
; %bb.27:
	s_or_b64 exec, exec, s[0:1]
	global_load_dword v4, v[1:2], off offset:4
	s_mov_b64 s[0:1], 0
.LBB46_28:                              ; =>This Inner Loop Header: Depth=1
	s_waitcnt vmcnt(0)
	v_pk_add_f16 v3, v27, v4
	global_atomic_cmpswap v3, v[1:2], v[3:4], off offset:4 glc
	s_waitcnt vmcnt(0)
	v_cmp_eq_u32_e32 vcc, v4, v3
	s_or_b64 s[0:1], vcc, s[0:1]
	v_mov_b32_e32 v4, v3
	s_andn2_b64 exec, exec, s[0:1]
	s_cbranch_execnz .LBB46_28
; %bb.29:
	s_or_b64 exec, exec, s[0:1]
	v_add_u32_e32 v0, s16, v0
	v_ashrrev_i32_e32 v1, 31, v0
	v_lshlrev_b64 v[1:2], 1, v[0:1]
	v_mov_b32_e32 v3, s15
	v_add_co_u32_e32 v1, vcc, s14, v1
	v_addc_co_u32_e32 v2, vcc, v3, v2, vcc
	global_load_dword v4, v[1:2], off
	s_mov_b64 s[0:1], 0
.LBB46_30:                              ; =>This Inner Loop Header: Depth=1
	s_waitcnt vmcnt(0)
	v_pk_add_f16 v3, v24, v4
	global_atomic_cmpswap v3, v[1:2], v[3:4], off glc
	s_waitcnt vmcnt(0)
	v_cmp_eq_u32_e32 vcc, v4, v3
	s_or_b64 s[0:1], vcc, s[0:1]
	v_mov_b32_e32 v4, v3
	s_andn2_b64 exec, exec, s[0:1]
	s_cbranch_execnz .LBB46_30
; %bb.31:
	s_or_b64 exec, exec, s[0:1]
	global_load_dword v4, v[1:2], off offset:4
	s_mov_b64 s[0:1], 0
.LBB46_32:                              ; =>This Inner Loop Header: Depth=1
	s_waitcnt vmcnt(0)
	v_pk_add_f16 v3, v11, v4
	global_atomic_cmpswap v3, v[1:2], v[3:4], off offset:4 glc
	s_waitcnt vmcnt(0)
	v_cmp_eq_u32_e32 vcc, v4, v3
	s_or_b64 s[0:1], vcc, s[0:1]
	v_mov_b32_e32 v4, v3
	s_andn2_b64 exec, exec, s[0:1]
	s_cbranch_execnz .LBB46_32
; %bb.33:
	s_or_b64 exec, exec, s[0:1]
	v_add_u32_e32 v0, s16, v0
	v_ashrrev_i32_e32 v1, 31, v0
	v_lshlrev_b64 v[1:2], 1, v[0:1]
	v_mov_b32_e32 v3, s15
	v_add_co_u32_e32 v1, vcc, s14, v1
	v_addc_co_u32_e32 v2, vcc, v3, v2, vcc
	global_load_dword v4, v[1:2], off
	s_mov_b64 s[0:1], 0
	;; [unrolled: 34-line block ×7, first 2 shown]
.LBB46_54:                              ; =>This Inner Loop Header: Depth=1
	s_waitcnt vmcnt(0)
	v_pk_add_f16 v2, v8, v3
	global_atomic_cmpswap v2, v[0:1], v[2:3], off glc
	s_waitcnt vmcnt(0)
	v_cmp_eq_u32_e32 vcc, v3, v2
	s_or_b64 s[0:1], vcc, s[0:1]
	v_mov_b32_e32 v3, v2
	s_andn2_b64 exec, exec, s[0:1]
	s_cbranch_execnz .LBB46_54
; %bb.55:
	s_or_b64 exec, exec, s[0:1]
	global_load_dword v3, v[0:1], off offset:4
	s_mov_b64 s[0:1], 0
.LBB46_56:                              ; =>This Inner Loop Header: Depth=1
	s_waitcnt vmcnt(0)
	v_pk_add_f16 v2, v25, v3
	global_atomic_cmpswap v2, v[0:1], v[2:3], off offset:4 glc
	s_waitcnt vmcnt(0)
	v_cmp_eq_u32_e32 vcc, v3, v2
	s_or_b64 s[0:1], vcc, s[0:1]
	v_mov_b32_e32 v3, v2
	s_andn2_b64 exec, exec, s[0:1]
	s_cbranch_execnz .LBB46_56
.LBB46_57:
	s_endpgm
	.section	.rodata,"a",@progbits
	.p2align	6, 0x0
	.amdhsa_kernel _ZN4vllm4gptq33gemm_half_q_half_gptq_8bit_kernelILb1ELi8EEEvPK6__halfPKjS6_S4_PS2_iiiibPKi
		.amdhsa_group_segment_fixed_size 2048
		.amdhsa_private_segment_fixed_size 196
		.amdhsa_kernarg_size 72
		.amdhsa_user_sgpr_count 6
		.amdhsa_user_sgpr_private_segment_buffer 1
		.amdhsa_user_sgpr_dispatch_ptr 0
		.amdhsa_user_sgpr_queue_ptr 0
		.amdhsa_user_sgpr_kernarg_segment_ptr 1
		.amdhsa_user_sgpr_dispatch_id 0
		.amdhsa_user_sgpr_flat_scratch_init 0
		.amdhsa_user_sgpr_private_segment_size 0
		.amdhsa_uses_dynamic_stack 0
		.amdhsa_system_sgpr_private_segment_wavefront_offset 1
		.amdhsa_system_sgpr_workgroup_id_x 1
		.amdhsa_system_sgpr_workgroup_id_y 1
		.amdhsa_system_sgpr_workgroup_id_z 1
		.amdhsa_system_sgpr_workgroup_info 0
		.amdhsa_system_vgpr_workitem_id 0
		.amdhsa_next_free_vgpr 64
		.amdhsa_next_free_sgpr 61
		.amdhsa_reserve_vcc 1
		.amdhsa_reserve_flat_scratch 0
		.amdhsa_float_round_mode_32 0
		.amdhsa_float_round_mode_16_64 0
		.amdhsa_float_denorm_mode_32 3
		.amdhsa_float_denorm_mode_16_64 3
		.amdhsa_dx10_clamp 1
		.amdhsa_ieee_mode 1
		.amdhsa_fp16_overflow 0
		.amdhsa_exception_fp_ieee_invalid_op 0
		.amdhsa_exception_fp_denorm_src 0
		.amdhsa_exception_fp_ieee_div_zero 0
		.amdhsa_exception_fp_ieee_overflow 0
		.amdhsa_exception_fp_ieee_underflow 0
		.amdhsa_exception_fp_ieee_inexact 0
		.amdhsa_exception_int_div_zero 0
	.end_amdhsa_kernel
	.section	.text._ZN4vllm4gptq33gemm_half_q_half_gptq_8bit_kernelILb1ELi8EEEvPK6__halfPKjS6_S4_PS2_iiiibPKi,"axG",@progbits,_ZN4vllm4gptq33gemm_half_q_half_gptq_8bit_kernelILb1ELi8EEEvPK6__halfPKjS6_S4_PS2_iiiibPKi,comdat
.Lfunc_end46:
	.size	_ZN4vllm4gptq33gemm_half_q_half_gptq_8bit_kernelILb1ELi8EEEvPK6__halfPKjS6_S4_PS2_iiiibPKi, .Lfunc_end46-_ZN4vllm4gptq33gemm_half_q_half_gptq_8bit_kernelILb1ELi8EEEvPK6__halfPKjS6_S4_PS2_iiiibPKi
                                        ; -- End function
	.set _ZN4vllm4gptq33gemm_half_q_half_gptq_8bit_kernelILb1ELi8EEEvPK6__halfPKjS6_S4_PS2_iiiibPKi.num_vgpr, 64
	.set _ZN4vllm4gptq33gemm_half_q_half_gptq_8bit_kernelILb1ELi8EEEvPK6__halfPKjS6_S4_PS2_iiiibPKi.num_agpr, 0
	.set _ZN4vllm4gptq33gemm_half_q_half_gptq_8bit_kernelILb1ELi8EEEvPK6__halfPKjS6_S4_PS2_iiiibPKi.numbered_sgpr, 32
	.set _ZN4vllm4gptq33gemm_half_q_half_gptq_8bit_kernelILb1ELi8EEEvPK6__halfPKjS6_S4_PS2_iiiibPKi.num_named_barrier, 0
	.set _ZN4vllm4gptq33gemm_half_q_half_gptq_8bit_kernelILb1ELi8EEEvPK6__halfPKjS6_S4_PS2_iiiibPKi.private_seg_size, 196
	.set _ZN4vllm4gptq33gemm_half_q_half_gptq_8bit_kernelILb1ELi8EEEvPK6__halfPKjS6_S4_PS2_iiiibPKi.uses_vcc, 1
	.set _ZN4vllm4gptq33gemm_half_q_half_gptq_8bit_kernelILb1ELi8EEEvPK6__halfPKjS6_S4_PS2_iiiibPKi.uses_flat_scratch, 0
	.set _ZN4vllm4gptq33gemm_half_q_half_gptq_8bit_kernelILb1ELi8EEEvPK6__halfPKjS6_S4_PS2_iiiibPKi.has_dyn_sized_stack, 0
	.set _ZN4vllm4gptq33gemm_half_q_half_gptq_8bit_kernelILb1ELi8EEEvPK6__halfPKjS6_S4_PS2_iiiibPKi.has_recursion, 0
	.set _ZN4vllm4gptq33gemm_half_q_half_gptq_8bit_kernelILb1ELi8EEEvPK6__halfPKjS6_S4_PS2_iiiibPKi.has_indirect_call, 0
	.section	.AMDGPU.csdata,"",@progbits
; Kernel info:
; codeLenInByte = 17532
; TotalNumSgprs: 36
; NumVgprs: 64
; ScratchSize: 196
; MemoryBound: 0
; FloatMode: 240
; IeeeMode: 1
; LDSByteSize: 2048 bytes/workgroup (compile time only)
; SGPRBlocks: 8
; VGPRBlocks: 15
; NumSGPRsForWavesPerEU: 65
; NumVGPRsForWavesPerEU: 64
; Occupancy: 4
; WaveLimiterHint : 0
; COMPUTE_PGM_RSRC2:SCRATCH_EN: 1
; COMPUTE_PGM_RSRC2:USER_SGPR: 6
; COMPUTE_PGM_RSRC2:TRAP_HANDLER: 0
; COMPUTE_PGM_RSRC2:TGID_X_EN: 1
; COMPUTE_PGM_RSRC2:TGID_Y_EN: 1
; COMPUTE_PGM_RSRC2:TGID_Z_EN: 1
; COMPUTE_PGM_RSRC2:TIDIG_COMP_CNT: 0
	.section	.text._ZN4vllm4gptq23reconstruct_gptq_kernelINS0_17MatrixView_q4_rowELi4EEEvPKjPK6__halfS4_PKiiiibPS5_,"axG",@progbits,_ZN4vllm4gptq23reconstruct_gptq_kernelINS0_17MatrixView_q4_rowELi4EEEvPKjPK6__halfS4_PKiiiibPS5_,comdat
	.protected	_ZN4vllm4gptq23reconstruct_gptq_kernelINS0_17MatrixView_q4_rowELi4EEEvPKjPK6__halfS4_PKiiiibPS5_ ; -- Begin function _ZN4vllm4gptq23reconstruct_gptq_kernelINS0_17MatrixView_q4_rowELi4EEEvPKjPK6__halfS4_PKiiiibPS5_
	.globl	_ZN4vllm4gptq23reconstruct_gptq_kernelINS0_17MatrixView_q4_rowELi4EEEvPKjPK6__halfS4_PKiiiibPS5_
	.p2align	8
	.type	_ZN4vllm4gptq23reconstruct_gptq_kernelINS0_17MatrixView_q4_rowELi4EEEvPKjPK6__halfS4_PKiiiibPS5_,@function
_ZN4vllm4gptq23reconstruct_gptq_kernelINS0_17MatrixView_q4_rowELi4EEEvPKjPK6__halfS4_PKiiiibPS5_: ; @_ZN4vllm4gptq23reconstruct_gptq_kernelINS0_17MatrixView_q4_rowELi4EEEvPKjPK6__halfS4_PKiiiibPS5_
; %bb.0:
	s_load_dword s16, s[4:5], 0x24
	v_lshl_add_u32 v23, s6, 7, v0
	s_waitcnt lgkmcnt(0)
	v_cmp_gt_u32_e32 vcc, s16, v23
	s_and_saveexec_b64 s[0:1], vcc
	s_cbranch_execz .LBB47_2
; %bb.1:
	s_load_dword s2, s[4:5], 0x2c
	s_load_dwordx2 s[0:1], s[4:5], 0x30
	s_load_dwordx8 s[8:15], s[4:5], 0x0
	s_mul_i32 s3, s16, s7
	v_add_u32_e32 v1, s3, v23
	s_waitcnt lgkmcnt(0)
	s_bitcmp1_b32 s2, 0
	s_cselect_b64 s[18:19], -1, 0
	s_lshl_b32 s2, s7, 3
	v_mov_b32_e32 v2, 0
	s_and_b32 s2, s2, 0x3ffffff8
	v_lshlrev_b64 v[1:2], 2, v[1:2]
	s_mul_i32 s2, s16, s2
	v_mov_b32_e32 v4, s9
	v_add_co_u32_e32 v3, vcc, s8, v1
	v_add_u32_e32 v1, s2, v23
	v_addc_co_u32_e32 v4, vcc, v4, v2, vcc
	v_ashrrev_i32_e32 v2, 31, v1
	v_lshlrev_b64 v[1:2], 1, v[1:2]
	s_lshl_b32 s8, s7, 5
	v_mov_b32_e32 v5, s1
	v_add_co_u32_e32 v1, vcc, s0, v1
	s_load_dwordx8 s[0:7], s[14:15], s8 offset:0x0
	v_addc_co_u32_e32 v2, vcc, v5, v2, vcc
	v_ashrrev_i32_e32 v5, 31, v23
	v_lshrrev_b32_e32 v5, 29, v5
	v_add_u32_e32 v5, v23, v5
	s_waitcnt lgkmcnt(0)
	s_mul_i32 s0, s0, s16
	v_ashrrev_i32_e32 v24, 3, v5
	v_add_u32_e32 v5, s0, v23
	v_ashrrev_i32_e32 v6, 31, v5
	s_ashr_i32 s8, s0, 31
	v_lshlrev_b64 v[5:6], 1, v[5:6]
	s_lshr_b32 s8, s8, 29
	s_add_i32 s0, s0, s8
	v_mov_b32_e32 v7, s11
	v_add_co_u32_e32 v5, vcc, s10, v5
	s_ashr_i32 s0, s0, 3
	v_addc_co_u32_e32 v6, vcc, v7, v6, vcc
	v_add_u32_e32 v7, s0, v24
	v_ashrrev_i32_e32 v8, 31, v7
	v_lshlrev_b64 v[7:8], 2, v[7:8]
	s_mul_i32 s0, s1, s16
	v_mov_b32_e32 v10, s13
	v_add_co_u32_e32 v9, vcc, s12, v7
	v_add_u32_e32 v7, s0, v23
	v_addc_co_u32_e32 v10, vcc, v10, v8, vcc
	v_ashrrev_i32_e32 v8, 31, v7
	s_ashr_i32 s1, s0, 31
	v_lshlrev_b64 v[7:8], 1, v[7:8]
	s_lshr_b32 s1, s1, 29
	s_add_i32 s0, s0, s1
	v_mov_b32_e32 v11, s11
	v_add_co_u32_e32 v7, vcc, s10, v7
	s_ashr_i32 s0, s0, 3
	v_addc_co_u32_e32 v8, vcc, v11, v8, vcc
	v_add_u32_e32 v11, s0, v24
	v_ashrrev_i32_e32 v12, 31, v11
	v_lshlrev_b64 v[11:12], 2, v[11:12]
	v_mov_b32_e32 v13, s13
	v_add_co_u32_e32 v11, vcc, s12, v11
	s_mul_i32 s0, s2, s16
	v_addc_co_u32_e32 v12, vcc, v13, v12, vcc
	v_add_u32_e32 v13, s0, v23
	v_ashrrev_i32_e32 v14, 31, v13
	s_ashr_i32 s1, s0, 31
	v_lshlrev_b64 v[13:14], 1, v[13:14]
	s_lshr_b32 s1, s1, 29
	s_add_i32 s0, s0, s1
	v_mov_b32_e32 v15, s11
	v_add_co_u32_e32 v13, vcc, s10, v13
	s_ashr_i32 s0, s0, 3
	v_addc_co_u32_e32 v14, vcc, v15, v14, vcc
	v_add_u32_e32 v15, s0, v24
	v_ashrrev_i32_e32 v16, 31, v15
	v_lshlrev_b64 v[15:16], 2, v[15:16]
	s_mul_i32 s0, s3, s16
	v_mov_b32_e32 v18, s13
	v_add_co_u32_e32 v17, vcc, s12, v15
	v_add_u32_e32 v15, s0, v23
	v_addc_co_u32_e32 v18, vcc, v18, v16, vcc
	v_ashrrev_i32_e32 v16, 31, v15
	s_ashr_i32 s1, s0, 31
	v_lshlrev_b64 v[15:16], 1, v[15:16]
	s_lshr_b32 s1, s1, 29
	s_add_i32 s0, s0, s1
	v_mov_b32_e32 v19, s11
	v_add_co_u32_e32 v15, vcc, s10, v15
	s_ashr_i32 s0, s0, 3
	v_addc_co_u32_e32 v16, vcc, v19, v16, vcc
	v_add_u32_e32 v19, s0, v24
	v_ashrrev_i32_e32 v20, 31, v19
	v_lshlrev_b64 v[19:20], 2, v[19:20]
	s_mul_i32 s0, s4, s16
	v_mov_b32_e32 v22, s13
	v_add_co_u32_e32 v21, vcc, s12, v19
	v_add_u32_e32 v19, s0, v23
	v_addc_co_u32_e32 v22, vcc, v22, v20, vcc
	v_ashrrev_i32_e32 v20, 31, v19
	v_lshlrev_b64 v[19:20], 1, v[19:20]
	v_mov_b32_e32 v25, s11
	v_add_co_u32_e32 v19, vcc, s10, v19
	v_addc_co_u32_e32 v20, vcc, v25, v20, vcc
	global_load_dword v26, v[9:10], off
	global_load_dword v25, v[3:4], off
	s_ashr_i32 s1, s0, 31
	s_lshr_b32 s1, s1, 29
	s_add_i32 s0, s0, s1
	s_ashr_i32 s0, s0, 3
	v_add_u32_e32 v3, s0, v24
	v_ashrrev_i32_e32 v4, 31, v3
	v_lshlrev_b64 v[3:4], 2, v[3:4]
	v_mov_b32_e32 v9, s13
	v_add_co_u32_e32 v3, vcc, s12, v3
	s_mul_i32 s0, s5, s16
	v_addc_co_u32_e32 v4, vcc, v9, v4, vcc
	v_add_u32_e32 v9, s0, v23
	v_ashrrev_i32_e32 v10, 31, v9
	v_lshlrev_b64 v[9:10], 1, v[9:10]
	v_mov_b32_e32 v27, s11
	global_load_ushort v28, v[5:6], off
	s_ashr_i32 s1, s0, 31
	global_load_dword v17, v[17:18], off
	s_lshr_b32 s1, s1, 29
	global_load_ushort v18, v[7:8], off
	s_add_i32 s0, s0, s1
	global_load_ushort v13, v[13:14], off
	s_ashr_i32 s0, s0, 3
	global_load_ushort v15, v[15:16], off
	v_add_co_u32_e32 v5, vcc, s10, v9
	v_addc_co_u32_e32 v6, vcc, v27, v10, vcc
	global_load_dword v27, v[11:12], off
	v_add_u32_e32 v9, s0, v24
	global_load_dword v21, v[21:22], off
	v_ashrrev_i32_e32 v10, 31, v9
	v_lshlrev_b64 v[9:10], 2, v[9:10]
	global_load_dword v14, v[3:4], off
	v_mov_b32_e32 v11, s13
	v_add_co_u32_e32 v9, vcc, s12, v9
	s_mul_i32 s0, s6, s16
	v_addc_co_u32_e32 v10, vcc, v11, v10, vcc
	v_add_u32_e32 v11, s0, v23
	s_ashr_i32 s1, s0, 31
	v_ashrrev_i32_e32 v12, 31, v11
	s_lshr_b32 s1, s1, 29
	v_lshlrev_b64 v[11:12], 1, v[11:12]
	s_add_i32 s0, s0, s1
	s_ashr_i32 s0, s0, 3
	v_mov_b32_e32 v8, s11
	v_add_co_u32_e32 v7, vcc, s10, v11
	v_add_u32_e32 v11, s0, v24
	global_load_dword v16, v[9:10], off
	v_addc_co_u32_e32 v8, vcc, v8, v12, vcc
	v_ashrrev_i32_e32 v12, 31, v11
	s_mul_i32 s0, s7, s16
	v_lshlrev_b64 v[11:12], 2, v[11:12]
	s_ashr_i32 s1, s0, 31
	s_lshr_b32 s1, s1, 29
	v_add_co_u32_e32 v3, vcc, s12, v11
	v_add_u32_e32 v11, s0, v23
	s_add_i32 s0, s0, s1
	v_mov_b32_e32 v4, s13
	s_ashr_i32 s0, s0, 3
	v_addc_co_u32_e32 v4, vcc, v4, v12, vcc
	v_add_u32_e32 v9, s0, v24
	global_load_ushort v23, v[19:20], off
	global_load_dword v24, v[3:4], off
	v_ashrrev_i32_e32 v10, 31, v9
	v_lshlrev_b32_e32 v0, 2, v0
	s_xor_b64 s[0:1], s[18:19], -1
	v_lshlrev_b64 v[9:10], 2, v[9:10]
	v_and_b32_e32 v19, 28, v0
	global_load_ushort v5, v[5:6], off
	v_cndmask_b32_e64 v6, 0, 1, s[0:1]
	s_waitcnt vmcnt(13)
	v_bfe_u32 v0, v26, v19, 4
	s_waitcnt vmcnt(12)
	v_and_b32_e32 v3, 15, v25
	v_sub_u32_e32 v3, v3, v6
	v_mov_b32_e32 v22, s13
	v_sub_u32_e32 v0, v3, v0
	v_add_co_u32_e32 v3, vcc, s12, v9
	v_addc_co_u32_e32 v4, vcc, v22, v10, vcc
	global_load_dword v9, v[3:4], off
	v_ashrrev_i32_e32 v12, 31, v11
	global_load_ushort v7, v[7:8], off
	v_lshlrev_b64 v[11:12], 1, v[11:12]
	v_mov_b32_e32 v4, s11
	v_add_co_u32_e32 v3, vcc, s10, v11
	v_addc_co_u32_e32 v4, vcc, v4, v12, vcc
	global_load_ushort v3, v[3:4], off
	v_cvt_f32_i32_e32 v0, v0
	v_bfe_u32 v4, v25, 4, 4
	v_sub_u32_e32 v4, v4, v6
	v_bfe_u32 v10, v25, 8, 4
	v_cvt_f16_f32_e32 v0, v0
	v_sub_u32_e32 v10, v10, v6
	s_ashr_i32 s17, s16, 31
	s_lshl_b64 s[0:1], s[16:17], 1
	s_waitcnt vmcnt(14)
	v_mul_f16_e32 v0, v28, v0
	global_store_short v[1:2], v0, off
	v_mov_b32_e32 v8, s1
	s_waitcnt vmcnt(10)
	v_bfe_u32 v0, v27, v19, 4
	v_sub_u32_e32 v0, v4, v0
	v_cvt_f32_i32_e32 v0, v0
	v_bfe_u32 v4, v17, v19, 4
	v_sub_u32_e32 v4, v10, v4
	v_cvt_f32_i32_e32 v4, v4
	v_cvt_f16_f32_e32 v10, v0
	v_add_co_u32_e32 v0, vcc, s0, v1
	v_addc_co_u32_e32 v1, vcc, v2, v8, vcc
	v_mul_f16_e32 v2, v18, v10
	v_bfe_u32 v10, v25, 12, 4
	global_store_short v[0:1], v2, off
	v_cvt_f16_f32_e32 v2, v4
	s_waitcnt vmcnt(10)
	v_bfe_u32 v4, v21, v19, 4
	v_sub_u32_e32 v10, v10, v6
	v_sub_u32_e32 v4, v10, v4
	v_cvt_f32_i32_e32 v4, v4
	v_add_co_u32_e32 v0, vcc, s0, v0
	v_addc_co_u32_e32 v1, vcc, v1, v8, vcc
	v_mul_f16_e32 v2, v13, v2
	v_bfe_u32 v10, v25, 16, 4
	global_store_short v[0:1], v2, off
	v_cvt_f16_f32_e32 v2, v4
	s_waitcnt vmcnt(10)
	v_bfe_u32 v4, v14, v19, 4
	v_sub_u32_e32 v10, v10, v6
	v_sub_u32_e32 v4, v10, v4
	v_cvt_f32_i32_e32 v4, v4
	;; [unrolled: 11-line block ×3, first 2 shown]
	v_add_co_u32_e32 v0, vcc, s0, v0
	v_addc_co_u32_e32 v1, vcc, v1, v8, vcc
	s_waitcnt vmcnt(9)
	v_mul_f16_e32 v2, v23, v2
	v_bfe_u32 v10, v25, 24, 4
	global_store_short v[0:1], v2, off
	v_cvt_f16_f32_e32 v2, v4
	s_waitcnt vmcnt(9)
	v_bfe_u32 v4, v24, v19, 4
	v_sub_u32_e32 v10, v10, v6
	v_sub_u32_e32 v4, v10, v4
	v_cvt_f32_i32_e32 v4, v4
	v_add_co_u32_e32 v0, vcc, s0, v0
	v_addc_co_u32_e32 v1, vcc, v1, v8, vcc
	s_waitcnt vmcnt(8)
	v_mul_f16_e32 v2, v5, v2
	v_lshrrev_b32_e32 v5, 28, v25
	global_store_short v[0:1], v2, off
	v_cvt_f16_f32_e32 v2, v4
	s_waitcnt vmcnt(8)
	v_bfe_u32 v4, v9, v19, 4
	v_sub_u32_e32 v5, v5, v6
	v_sub_u32_e32 v4, v5, v4
	v_cvt_f32_i32_e32 v4, v4
	v_add_co_u32_e32 v0, vcc, s0, v0
	v_addc_co_u32_e32 v1, vcc, v1, v8, vcc
	s_waitcnt vmcnt(7)
	v_mul_f16_e32 v2, v7, v2
	global_store_short v[0:1], v2, off
	v_cvt_f16_f32_e32 v2, v4
	v_add_co_u32_e32 v0, vcc, s0, v0
	v_addc_co_u32_e32 v1, vcc, v1, v8, vcc
	s_waitcnt vmcnt(7)
	v_mul_f16_e32 v2, v3, v2
	global_store_short v[0:1], v2, off
.LBB47_2:
	s_endpgm
	.section	.rodata,"a",@progbits
	.p2align	6, 0x0
	.amdhsa_kernel _ZN4vllm4gptq23reconstruct_gptq_kernelINS0_17MatrixView_q4_rowELi4EEEvPKjPK6__halfS4_PKiiiibPS5_
		.amdhsa_group_segment_fixed_size 0
		.amdhsa_private_segment_fixed_size 0
		.amdhsa_kernarg_size 56
		.amdhsa_user_sgpr_count 6
		.amdhsa_user_sgpr_private_segment_buffer 1
		.amdhsa_user_sgpr_dispatch_ptr 0
		.amdhsa_user_sgpr_queue_ptr 0
		.amdhsa_user_sgpr_kernarg_segment_ptr 1
		.amdhsa_user_sgpr_dispatch_id 0
		.amdhsa_user_sgpr_flat_scratch_init 0
		.amdhsa_user_sgpr_private_segment_size 0
		.amdhsa_uses_dynamic_stack 0
		.amdhsa_system_sgpr_private_segment_wavefront_offset 0
		.amdhsa_system_sgpr_workgroup_id_x 1
		.amdhsa_system_sgpr_workgroup_id_y 1
		.amdhsa_system_sgpr_workgroup_id_z 0
		.amdhsa_system_sgpr_workgroup_info 0
		.amdhsa_system_vgpr_workitem_id 0
		.amdhsa_next_free_vgpr 29
		.amdhsa_next_free_sgpr 20
		.amdhsa_reserve_vcc 1
		.amdhsa_reserve_flat_scratch 0
		.amdhsa_float_round_mode_32 0
		.amdhsa_float_round_mode_16_64 0
		.amdhsa_float_denorm_mode_32 3
		.amdhsa_float_denorm_mode_16_64 3
		.amdhsa_dx10_clamp 1
		.amdhsa_ieee_mode 1
		.amdhsa_fp16_overflow 0
		.amdhsa_exception_fp_ieee_invalid_op 0
		.amdhsa_exception_fp_denorm_src 0
		.amdhsa_exception_fp_ieee_div_zero 0
		.amdhsa_exception_fp_ieee_overflow 0
		.amdhsa_exception_fp_ieee_underflow 0
		.amdhsa_exception_fp_ieee_inexact 0
		.amdhsa_exception_int_div_zero 0
	.end_amdhsa_kernel
	.section	.text._ZN4vllm4gptq23reconstruct_gptq_kernelINS0_17MatrixView_q4_rowELi4EEEvPKjPK6__halfS4_PKiiiibPS5_,"axG",@progbits,_ZN4vllm4gptq23reconstruct_gptq_kernelINS0_17MatrixView_q4_rowELi4EEEvPKjPK6__halfS4_PKiiiibPS5_,comdat
.Lfunc_end47:
	.size	_ZN4vllm4gptq23reconstruct_gptq_kernelINS0_17MatrixView_q4_rowELi4EEEvPKjPK6__halfS4_PKiiiibPS5_, .Lfunc_end47-_ZN4vllm4gptq23reconstruct_gptq_kernelINS0_17MatrixView_q4_rowELi4EEEvPKjPK6__halfS4_PKiiiibPS5_
                                        ; -- End function
	.set _ZN4vllm4gptq23reconstruct_gptq_kernelINS0_17MatrixView_q4_rowELi4EEEvPKjPK6__halfS4_PKiiiibPS5_.num_vgpr, 29
	.set _ZN4vllm4gptq23reconstruct_gptq_kernelINS0_17MatrixView_q4_rowELi4EEEvPKjPK6__halfS4_PKiiiibPS5_.num_agpr, 0
	.set _ZN4vllm4gptq23reconstruct_gptq_kernelINS0_17MatrixView_q4_rowELi4EEEvPKjPK6__halfS4_PKiiiibPS5_.numbered_sgpr, 20
	.set _ZN4vllm4gptq23reconstruct_gptq_kernelINS0_17MatrixView_q4_rowELi4EEEvPKjPK6__halfS4_PKiiiibPS5_.num_named_barrier, 0
	.set _ZN4vllm4gptq23reconstruct_gptq_kernelINS0_17MatrixView_q4_rowELi4EEEvPKjPK6__halfS4_PKiiiibPS5_.private_seg_size, 0
	.set _ZN4vllm4gptq23reconstruct_gptq_kernelINS0_17MatrixView_q4_rowELi4EEEvPKjPK6__halfS4_PKiiiibPS5_.uses_vcc, 1
	.set _ZN4vllm4gptq23reconstruct_gptq_kernelINS0_17MatrixView_q4_rowELi4EEEvPKjPK6__halfS4_PKiiiibPS5_.uses_flat_scratch, 0
	.set _ZN4vllm4gptq23reconstruct_gptq_kernelINS0_17MatrixView_q4_rowELi4EEEvPKjPK6__halfS4_PKiiiibPS5_.has_dyn_sized_stack, 0
	.set _ZN4vllm4gptq23reconstruct_gptq_kernelINS0_17MatrixView_q4_rowELi4EEEvPKjPK6__halfS4_PKiiiibPS5_.has_recursion, 0
	.set _ZN4vllm4gptq23reconstruct_gptq_kernelINS0_17MatrixView_q4_rowELi4EEEvPKjPK6__halfS4_PKiiiibPS5_.has_indirect_call, 0
	.section	.AMDGPU.csdata,"",@progbits
; Kernel info:
; codeLenInByte = 1408
; TotalNumSgprs: 24
; NumVgprs: 29
; ScratchSize: 0
; MemoryBound: 0
; FloatMode: 240
; IeeeMode: 1
; LDSByteSize: 0 bytes/workgroup (compile time only)
; SGPRBlocks: 2
; VGPRBlocks: 7
; NumSGPRsForWavesPerEU: 24
; NumVGPRsForWavesPerEU: 29
; Occupancy: 8
; WaveLimiterHint : 1
; COMPUTE_PGM_RSRC2:SCRATCH_EN: 0
; COMPUTE_PGM_RSRC2:USER_SGPR: 6
; COMPUTE_PGM_RSRC2:TRAP_HANDLER: 0
; COMPUTE_PGM_RSRC2:TGID_X_EN: 1
; COMPUTE_PGM_RSRC2:TGID_Y_EN: 1
; COMPUTE_PGM_RSRC2:TGID_Z_EN: 0
; COMPUTE_PGM_RSRC2:TIDIG_COMP_CNT: 0
	.section	.text._ZN4vllm4gptq23reconstruct_gptq_kernelINS0_17MatrixView_q2_rowELi2EEEvPKjPK6__halfS4_PKiiiibPS5_,"axG",@progbits,_ZN4vllm4gptq23reconstruct_gptq_kernelINS0_17MatrixView_q2_rowELi2EEEvPKjPK6__halfS4_PKiiiibPS5_,comdat
	.protected	_ZN4vllm4gptq23reconstruct_gptq_kernelINS0_17MatrixView_q2_rowELi2EEEvPKjPK6__halfS4_PKiiiibPS5_ ; -- Begin function _ZN4vllm4gptq23reconstruct_gptq_kernelINS0_17MatrixView_q2_rowELi2EEEvPKjPK6__halfS4_PKiiiibPS5_
	.globl	_ZN4vllm4gptq23reconstruct_gptq_kernelINS0_17MatrixView_q2_rowELi2EEEvPKjPK6__halfS4_PKiiiibPS5_
	.p2align	8
	.type	_ZN4vllm4gptq23reconstruct_gptq_kernelINS0_17MatrixView_q2_rowELi2EEEvPKjPK6__halfS4_PKiiiibPS5_,@function
_ZN4vllm4gptq23reconstruct_gptq_kernelINS0_17MatrixView_q2_rowELi2EEEvPKjPK6__halfS4_PKiiiibPS5_: ; @_ZN4vllm4gptq23reconstruct_gptq_kernelINS0_17MatrixView_q2_rowELi2EEEvPKjPK6__halfS4_PKiiiibPS5_
; %bb.0:
	s_load_dword s24, s[4:5], 0x24
	v_lshl_add_u32 v2, s6, 7, v0
	s_waitcnt lgkmcnt(0)
	v_cmp_gt_u32_e32 vcc, s24, v2
	s_and_saveexec_b64 s[0:1], vcc
	s_cbranch_execz .LBB48_2
; %bb.1:
	s_load_dwordx8 s[16:23], s[4:5], 0x0
	s_load_dwordx2 s[0:1], s[4:5], 0x30
	s_load_dword s2, s[4:5], 0x2c
	v_mov_b32_e32 v4, 0
	s_mov_b32 s5, 0
	s_waitcnt lgkmcnt(0)
	v_mov_b32_e32 v1, s17
	v_lshlrev_b32_e32 v0, 1, v0
	s_bitcmp1_b32 s2, 0
	s_cselect_b64 s[2:3], -1, 0
	s_lshl_b32 s4, s7, 4
	s_and_b32 s4, s4, 0x7ffffff0
	s_xor_b64 s[26:27], s[2:3], -1
	s_mul_i32 s2, s24, s7
	v_add_u32_e32 v3, s2, v2
	s_mul_i32 s2, s24, s4
	v_lshlrev_b64 v[3:4], 2, v[3:4]
	v_add_u32_e32 v5, s2, v2
	v_ashrrev_i32_e32 v6, 31, v5
	v_add_co_u32_e32 v3, vcc, s16, v3
	v_lshlrev_b64 v[5:6], 1, v[5:6]
	v_addc_co_u32_e32 v4, vcc, v1, v4, vcc
	v_add_co_u32_e32 v7, vcc, s0, v5
	v_mov_b32_e32 v1, s1
	s_ashr_i32 s25, s24, 31
	s_lshl_b64 s[0:1], s[4:5], 2
	s_add_u32 s16, s22, s0
	s_addc_u32 s17, s23, s1
	s_load_dwordx16 s[0:15], s[16:17], 0x0
	v_and_b32_e32 v5, 30, v0
	v_ashrrev_i32_e32 v0, 31, v2
	v_lshrrev_b32_e32 v0, 28, v0
	v_add_u32_e32 v0, v2, v0
	s_waitcnt lgkmcnt(0)
	s_mul_i32 s0, s0, s24
	global_load_dword v4, v[3:4], off
	v_ashrrev_i32_e32 v3, 4, v0
	v_add_u32_e32 v0, s0, v2
	v_addc_co_u32_e32 v8, vcc, v1, v6, vcc
	v_ashrrev_i32_e32 v1, 31, v0
	v_lshlrev_b64 v[0:1], 1, v[0:1]
	s_ashr_i32 s16, s0, 31
	s_lshr_b32 s16, s16, 28
	v_add_co_u32_e32 v0, vcc, s18, v0
	v_mov_b32_e32 v6, s19
	s_add_i32 s0, s0, s16
	v_addc_co_u32_e32 v1, vcc, v6, v1, vcc
	s_ashr_i32 s0, s0, 4
	global_load_ushort v9, v[0:1], off
	v_add_u32_e32 v0, s0, v3
	v_ashrrev_i32_e32 v1, 31, v0
	v_lshlrev_b64 v[0:1], 2, v[0:1]
	v_mov_b32_e32 v6, s21
	v_add_co_u32_e32 v0, vcc, s20, v0
	v_addc_co_u32_e32 v1, vcc, v6, v1, vcc
	global_load_dword v0, v[0:1], off
	v_cndmask_b32_e64 v6, 0, 1, s[26:27]
	s_mul_i32 s0, s1, s24
	s_lshl_b64 s[16:17], s[24:25], 1
	s_ashr_i32 s1, s0, 31
	s_lshr_b32 s1, s1, 28
	v_mov_b32_e32 v11, s21
	s_waitcnt vmcnt(2)
	v_and_b32_e32 v1, 3, v4
	v_sub_u32_e32 v1, v1, v6
	s_waitcnt vmcnt(0)
	v_bfe_u32 v0, v0, v5, 2
	v_sub_u32_e32 v0, v1, v0
	v_cvt_f32_i32_e32 v0, v0
	v_mov_b32_e32 v1, s17
	v_cvt_f16_f32_e32 v0, v0
	v_mul_f16_e32 v0, v9, v0
	v_add_u32_e32 v9, s0, v2
	v_ashrrev_i32_e32 v10, 31, v9
	global_store_short v[7:8], v0, off
	v_add_co_u32_e32 v7, vcc, s16, v7
	v_lshlrev_b64 v[9:10], 1, v[9:10]
	v_addc_co_u32_e32 v8, vcc, v8, v1, vcc
	v_add_co_u32_e32 v9, vcc, s18, v9
	v_mov_b32_e32 v0, s19
	s_add_i32 s0, s0, s1
	v_addc_co_u32_e32 v10, vcc, v0, v10, vcc
	s_ashr_i32 s0, s0, 4
	global_load_ushort v0, v[9:10], off
	v_add_u32_e32 v9, s0, v3
	v_ashrrev_i32_e32 v10, 31, v9
	v_lshlrev_b64 v[9:10], 2, v[9:10]
	s_mul_i32 s0, s2, s24
	v_add_co_u32_e32 v9, vcc, s20, v9
	v_addc_co_u32_e32 v10, vcc, v11, v10, vcc
	global_load_dword v9, v[9:10], off
	v_bfe_u32 v10, v4, 2, 2
	v_sub_u32_e32 v10, v10, v6
	s_ashr_i32 s1, s0, 31
	s_lshr_b32 s1, s1, 28
	s_waitcnt vmcnt(0)
	v_bfe_u32 v9, v9, v5, 2
	v_sub_u32_e32 v9, v10, v9
	v_cvt_f32_i32_e32 v9, v9
	v_cvt_f16_f32_e32 v9, v9
	v_mul_f16_e32 v0, v0, v9
	v_add_u32_e32 v9, s0, v2
	v_ashrrev_i32_e32 v10, 31, v9
	global_store_short v[7:8], v0, off
	v_add_co_u32_e32 v7, vcc, s16, v7
	v_lshlrev_b64 v[9:10], 1, v[9:10]
	v_addc_co_u32_e32 v8, vcc, v8, v1, vcc
	v_add_co_u32_e32 v9, vcc, s18, v9
	v_mov_b32_e32 v0, s19
	s_add_i32 s0, s0, s1
	v_addc_co_u32_e32 v10, vcc, v0, v10, vcc
	s_ashr_i32 s0, s0, 4
	global_load_ushort v0, v[9:10], off
	v_add_u32_e32 v9, s0, v3
	v_ashrrev_i32_e32 v10, 31, v9
	v_lshlrev_b64 v[9:10], 2, v[9:10]
	s_mul_i32 s0, s3, s24
	v_add_co_u32_e32 v9, vcc, s20, v9
	v_addc_co_u32_e32 v10, vcc, v11, v10, vcc
	global_load_dword v9, v[9:10], off
	v_bfe_u32 v10, v4, 4, 2
	v_sub_u32_e32 v10, v10, v6
	s_ashr_i32 s1, s0, 31
	s_lshr_b32 s1, s1, 28
	s_waitcnt vmcnt(0)
	v_bfe_u32 v9, v9, v5, 2
	v_sub_u32_e32 v9, v10, v9
	v_cvt_f32_i32_e32 v9, v9
	;; [unrolled: 29-line block ×14, first 2 shown]
	v_cvt_f16_f32_e32 v9, v9
	v_mul_f16_e32 v0, v0, v9
	global_store_short v[7:8], v0, off
	v_add_co_u32_e32 v0, vcc, s16, v7
	v_add_u32_e32 v7, s0, v2
	v_addc_co_u32_e32 v1, vcc, v8, v1, vcc
	v_ashrrev_i32_e32 v8, 31, v7
	v_lshlrev_b64 v[7:8], 1, v[7:8]
	s_add_i32 s0, s0, s1
	v_add_co_u32_e32 v7, vcc, s18, v7
	v_mov_b32_e32 v2, s19
	s_ashr_i32 s0, s0, 4
	v_addc_co_u32_e32 v8, vcc, v2, v8, vcc
	v_add_u32_e32 v2, s0, v3
	v_ashrrev_i32_e32 v3, 31, v2
	v_lshlrev_b64 v[2:3], 2, v[2:3]
	global_load_ushort v7, v[7:8], off
	v_add_co_u32_e32 v2, vcc, s20, v2
	v_mov_b32_e32 v8, s21
	v_addc_co_u32_e32 v3, vcc, v8, v3, vcc
	global_load_dword v2, v[2:3], off
	v_lshrrev_b32_e32 v3, 30, v4
	v_sub_u32_e32 v3, v3, v6
	s_waitcnt vmcnt(0)
	v_bfe_u32 v2, v2, v5, 2
	v_sub_u32_e32 v2, v3, v2
	v_cvt_f32_i32_e32 v2, v2
	v_cvt_f16_f32_e32 v2, v2
	v_mul_f16_e32 v2, v7, v2
	global_store_short v[0:1], v2, off
.LBB48_2:
	s_endpgm
	.section	.rodata,"a",@progbits
	.p2align	6, 0x0
	.amdhsa_kernel _ZN4vllm4gptq23reconstruct_gptq_kernelINS0_17MatrixView_q2_rowELi2EEEvPKjPK6__halfS4_PKiiiibPS5_
		.amdhsa_group_segment_fixed_size 0
		.amdhsa_private_segment_fixed_size 0
		.amdhsa_kernarg_size 56
		.amdhsa_user_sgpr_count 6
		.amdhsa_user_sgpr_private_segment_buffer 1
		.amdhsa_user_sgpr_dispatch_ptr 0
		.amdhsa_user_sgpr_queue_ptr 0
		.amdhsa_user_sgpr_kernarg_segment_ptr 1
		.amdhsa_user_sgpr_dispatch_id 0
		.amdhsa_user_sgpr_flat_scratch_init 0
		.amdhsa_user_sgpr_private_segment_size 0
		.amdhsa_uses_dynamic_stack 0
		.amdhsa_system_sgpr_private_segment_wavefront_offset 0
		.amdhsa_system_sgpr_workgroup_id_x 1
		.amdhsa_system_sgpr_workgroup_id_y 1
		.amdhsa_system_sgpr_workgroup_id_z 0
		.amdhsa_system_sgpr_workgroup_info 0
		.amdhsa_system_vgpr_workitem_id 0
		.amdhsa_next_free_vgpr 12
		.amdhsa_next_free_sgpr 28
		.amdhsa_reserve_vcc 1
		.amdhsa_reserve_flat_scratch 0
		.amdhsa_float_round_mode_32 0
		.amdhsa_float_round_mode_16_64 0
		.amdhsa_float_denorm_mode_32 3
		.amdhsa_float_denorm_mode_16_64 3
		.amdhsa_dx10_clamp 1
		.amdhsa_ieee_mode 1
		.amdhsa_fp16_overflow 0
		.amdhsa_exception_fp_ieee_invalid_op 0
		.amdhsa_exception_fp_denorm_src 0
		.amdhsa_exception_fp_ieee_div_zero 0
		.amdhsa_exception_fp_ieee_overflow 0
		.amdhsa_exception_fp_ieee_underflow 0
		.amdhsa_exception_fp_ieee_inexact 0
		.amdhsa_exception_int_div_zero 0
	.end_amdhsa_kernel
	.section	.text._ZN4vllm4gptq23reconstruct_gptq_kernelINS0_17MatrixView_q2_rowELi2EEEvPKjPK6__halfS4_PKiiiibPS5_,"axG",@progbits,_ZN4vllm4gptq23reconstruct_gptq_kernelINS0_17MatrixView_q2_rowELi2EEEvPKjPK6__halfS4_PKiiiibPS5_,comdat
.Lfunc_end48:
	.size	_ZN4vllm4gptq23reconstruct_gptq_kernelINS0_17MatrixView_q2_rowELi2EEEvPKjPK6__halfS4_PKiiiibPS5_, .Lfunc_end48-_ZN4vllm4gptq23reconstruct_gptq_kernelINS0_17MatrixView_q2_rowELi2EEEvPKjPK6__halfS4_PKiiiibPS5_
                                        ; -- End function
	.set _ZN4vllm4gptq23reconstruct_gptq_kernelINS0_17MatrixView_q2_rowELi2EEEvPKjPK6__halfS4_PKiiiibPS5_.num_vgpr, 12
	.set _ZN4vllm4gptq23reconstruct_gptq_kernelINS0_17MatrixView_q2_rowELi2EEEvPKjPK6__halfS4_PKiiiibPS5_.num_agpr, 0
	.set _ZN4vllm4gptq23reconstruct_gptq_kernelINS0_17MatrixView_q2_rowELi2EEEvPKjPK6__halfS4_PKiiiibPS5_.numbered_sgpr, 28
	.set _ZN4vllm4gptq23reconstruct_gptq_kernelINS0_17MatrixView_q2_rowELi2EEEvPKjPK6__halfS4_PKiiiibPS5_.num_named_barrier, 0
	.set _ZN4vllm4gptq23reconstruct_gptq_kernelINS0_17MatrixView_q2_rowELi2EEEvPKjPK6__halfS4_PKiiiibPS5_.private_seg_size, 0
	.set _ZN4vllm4gptq23reconstruct_gptq_kernelINS0_17MatrixView_q2_rowELi2EEEvPKjPK6__halfS4_PKiiiibPS5_.uses_vcc, 1
	.set _ZN4vllm4gptq23reconstruct_gptq_kernelINS0_17MatrixView_q2_rowELi2EEEvPKjPK6__halfS4_PKiiiibPS5_.uses_flat_scratch, 0
	.set _ZN4vllm4gptq23reconstruct_gptq_kernelINS0_17MatrixView_q2_rowELi2EEEvPKjPK6__halfS4_PKiiiibPS5_.has_dyn_sized_stack, 0
	.set _ZN4vllm4gptq23reconstruct_gptq_kernelINS0_17MatrixView_q2_rowELi2EEEvPKjPK6__halfS4_PKiiiibPS5_.has_recursion, 0
	.set _ZN4vllm4gptq23reconstruct_gptq_kernelINS0_17MatrixView_q2_rowELi2EEEvPKjPK6__halfS4_PKiiiibPS5_.has_indirect_call, 0
	.section	.AMDGPU.csdata,"",@progbits
; Kernel info:
; codeLenInByte = 2536
; TotalNumSgprs: 32
; NumVgprs: 12
; ScratchSize: 0
; MemoryBound: 0
; FloatMode: 240
; IeeeMode: 1
; LDSByteSize: 0 bytes/workgroup (compile time only)
; SGPRBlocks: 3
; VGPRBlocks: 2
; NumSGPRsForWavesPerEU: 32
; NumVGPRsForWavesPerEU: 12
; Occupancy: 10
; WaveLimiterHint : 1
; COMPUTE_PGM_RSRC2:SCRATCH_EN: 0
; COMPUTE_PGM_RSRC2:USER_SGPR: 6
; COMPUTE_PGM_RSRC2:TRAP_HANDLER: 0
; COMPUTE_PGM_RSRC2:TGID_X_EN: 1
; COMPUTE_PGM_RSRC2:TGID_Y_EN: 1
; COMPUTE_PGM_RSRC2:TGID_Z_EN: 0
; COMPUTE_PGM_RSRC2:TIDIG_COMP_CNT: 0
	.section	.text._ZN4vllm4gptq23reconstruct_gptq_kernelINS0_17MatrixView_q8_rowELi8EEEvPKjPK6__halfS4_PKiiiibPS5_,"axG",@progbits,_ZN4vllm4gptq23reconstruct_gptq_kernelINS0_17MatrixView_q8_rowELi8EEEvPKjPK6__halfS4_PKiiiibPS5_,comdat
	.protected	_ZN4vllm4gptq23reconstruct_gptq_kernelINS0_17MatrixView_q8_rowELi8EEEvPKjPK6__halfS4_PKiiiibPS5_ ; -- Begin function _ZN4vllm4gptq23reconstruct_gptq_kernelINS0_17MatrixView_q8_rowELi8EEEvPKjPK6__halfS4_PKiiiibPS5_
	.globl	_ZN4vllm4gptq23reconstruct_gptq_kernelINS0_17MatrixView_q8_rowELi8EEEvPKjPK6__halfS4_PKiiiibPS5_
	.p2align	8
	.type	_ZN4vllm4gptq23reconstruct_gptq_kernelINS0_17MatrixView_q8_rowELi8EEEvPKjPK6__halfS4_PKiiiibPS5_,@function
_ZN4vllm4gptq23reconstruct_gptq_kernelINS0_17MatrixView_q8_rowELi8EEEvPKjPK6__halfS4_PKiiiibPS5_: ; @_ZN4vllm4gptq23reconstruct_gptq_kernelINS0_17MatrixView_q8_rowELi8EEEvPKjPK6__halfS4_PKiiiibPS5_
; %bb.0:
	s_load_dword s16, s[4:5], 0x24
	v_lshl_add_u32 v1, s6, 7, v0
	s_waitcnt lgkmcnt(0)
	v_cmp_gt_u32_e32 vcc, s16, v1
	s_and_saveexec_b64 s[0:1], vcc
	s_cbranch_execz .LBB49_2
; %bb.1:
	s_load_dword s0, s[4:5], 0x2c
	s_load_dwordx8 s[8:15], s[4:5], 0x0
	s_mul_i32 s1, s16, s7
	v_add_u32_e32 v2, s1, v1
	v_mov_b32_e32 v3, 0
	s_waitcnt lgkmcnt(0)
	s_bitcmp1_b32 s0, 0
	s_cselect_b64 s[18:19], -1, 0
	s_lshl_b32 s0, s7, 2
	s_and_b32 s6, s0, 0x1ffffffc
	s_lshl_b32 s7, s6, 2
	s_load_dwordx4 s[0:3], s[14:15], s7 offset:0x0
	v_lshlrev_b64 v[2:3], 2, v[2:3]
	v_mov_b32_e32 v4, s9
	v_add_co_u32_e32 v2, vcc, s8, v2
	s_waitcnt lgkmcnt(0)
	s_mul_i32 s0, s0, s16
	v_addc_co_u32_e32 v3, vcc, v4, v3, vcc
	v_add_u32_e32 v5, s0, v1
	global_load_dword v2, v[2:3], off
	v_ashrrev_i32_e32 v3, 31, v1
	v_ashrrev_i32_e32 v6, 31, v5
	v_lshrrev_b32_e32 v3, 30, v3
	v_lshlrev_b64 v[5:6], 1, v[5:6]
	s_ashr_i32 s7, s0, 31
	v_add_u32_e32 v3, v1, v3
	s_lshr_b32 s7, s7, 30
	v_ashrrev_i32_e32 v4, 2, v3
	v_mov_b32_e32 v3, s11
	v_add_co_u32_e32 v5, vcc, s10, v5
	s_add_i32 s0, s0, s7
	v_addc_co_u32_e32 v6, vcc, v3, v6, vcc
	s_ashr_i32 s0, s0, 2
	global_load_ushort v3, v[5:6], off
	v_add_u32_e32 v5, s0, v4
	v_ashrrev_i32_e32 v6, 31, v5
	v_lshlrev_b64 v[5:6], 2, v[5:6]
	v_mov_b32_e32 v7, s13
	v_add_co_u32_e32 v5, vcc, s12, v5
	s_mul_i32 s0, s1, s16
	v_addc_co_u32_e32 v6, vcc, v7, v6, vcc
	v_add_u32_e32 v7, s0, v1
	v_ashrrev_i32_e32 v8, 31, v7
	v_lshlrev_b64 v[7:8], 1, v[7:8]
	s_ashr_i32 s1, s0, 31
	s_lshr_b32 s1, s1, 30
	global_load_dword v6, v[5:6], off
	v_mov_b32_e32 v5, s11
	v_add_co_u32_e32 v7, vcc, s10, v7
	s_add_i32 s0, s0, s1
	v_addc_co_u32_e32 v8, vcc, v5, v8, vcc
	s_ashr_i32 s0, s0, 2
	global_load_ushort v5, v[7:8], off
	v_add_u32_e32 v7, s0, v4
	v_ashrrev_i32_e32 v8, 31, v7
	v_lshlrev_b64 v[7:8], 2, v[7:8]
	s_mul_i32 s0, s2, s16
	v_mov_b32_e32 v9, s13
	v_add_co_u32_e32 v7, vcc, s12, v7
	s_ashr_i32 s1, s0, 31
	v_addc_co_u32_e32 v8, vcc, v9, v8, vcc
	s_lshr_b32 s1, s1, 30
	global_load_dword v11, v[7:8], off
	v_add_u32_e32 v7, s0, v1
	s_add_i32 s0, s0, s1
	s_ashr_i32 s0, s0, 2
	v_add_u32_e32 v9, s0, v4
	v_ashrrev_i32_e32 v10, 31, v9
	s_mul_i32 s0, s3, s16
	v_lshlrev_b64 v[9:10], 2, v[9:10]
	s_ashr_i32 s1, s0, 31
	s_lshr_b32 s1, s1, 30
	v_mov_b32_e32 v12, s13
	v_add_co_u32_e32 v9, vcc, s12, v9
	s_add_i32 s1, s0, s1
	v_addc_co_u32_e32 v10, vcc, v12, v10, vcc
	s_ashr_i32 s1, s1, 2
	global_load_dword v12, v[9:10], off
	v_add_u32_e32 v9, s1, v4
	v_ashrrev_i32_e32 v10, 31, v9
	v_lshlrev_b64 v[9:10], 2, v[9:10]
	v_mov_b32_e32 v4, s13
	v_add_co_u32_e32 v9, vcc, s12, v9
	v_ashrrev_i32_e32 v8, 31, v7
	v_addc_co_u32_e32 v10, vcc, v4, v10, vcc
	v_lshlrev_b64 v[7:8], 1, v[7:8]
	global_load_dword v4, v[9:10], off
	v_mov_b32_e32 v9, s11
	v_add_co_u32_e32 v7, vcc, s10, v7
	v_addc_co_u32_e32 v8, vcc, v9, v8, vcc
	global_load_ushort v9, v[7:8], off
	v_add_u32_e32 v7, s0, v1
	v_ashrrev_i32_e32 v8, 31, v7
	v_lshlrev_b64 v[7:8], 1, v[7:8]
	v_mov_b32_e32 v10, s11
	v_add_co_u32_e32 v7, vcc, s10, v7
	v_addc_co_u32_e32 v8, vcc, v10, v8, vcc
	global_load_ushort v10, v[7:8], off
	s_mul_i32 s2, s16, s6
	v_lshlrev_b32_e32 v0, 3, v0
	v_add_u32_e32 v7, s2, v1
	v_and_b32_e32 v13, 24, v0
	s_xor_b64 s[2:3], s[18:19], -1
	s_load_dwordx2 s[0:1], s[4:5], 0x30
	v_ashrrev_i32_e32 v8, 31, v7
	s_ashr_i32 s17, s16, 31
	s_waitcnt vmcnt(6)
	v_bfe_u32 v0, v6, v13, 8
	v_cndmask_b32_e64 v6, 0, 1, s[2:3]
	v_sub_u32_sdwa v1, v2, v6 dst_sel:DWORD dst_unused:UNUSED_PAD src0_sel:BYTE_0 src1_sel:DWORD
	v_sub_u32_e32 v0, v1, v0
	v_cvt_f32_i32_e32 v14, v0
	v_lshlrev_b64 v[0:1], 1, v[7:8]
	s_waitcnt lgkmcnt(0)
	v_mov_b32_e32 v7, s1
	v_add_co_u32_e32 v0, vcc, s0, v0
	v_cvt_f16_f32_e32 v8, v14
	v_addc_co_u32_e32 v1, vcc, v7, v1, vcc
	s_lshl_b64 s[0:1], s[16:17], 1
	v_mul_f16_e32 v3, v3, v8
	v_sub_u32_sdwa v8, v2, v6 dst_sel:DWORD dst_unused:UNUSED_PAD src0_sel:BYTE_1 src1_sel:DWORD
	global_store_short v[0:1], v3, off
	v_mov_b32_e32 v3, s1
	v_add_co_u32_e32 v0, vcc, s0, v0
	v_addc_co_u32_e32 v1, vcc, v1, v3, vcc
	s_waitcnt vmcnt(5)
	v_bfe_u32 v7, v11, v13, 8
	v_sub_u32_e32 v7, v8, v7
	v_cvt_f32_i32_e32 v7, v7
	v_sub_u32_sdwa v11, v2, v6 dst_sel:DWORD dst_unused:UNUSED_PAD src0_sel:BYTE_2 src1_sel:DWORD
	v_sub_u32_sdwa v2, v2, v6 dst_sel:DWORD dst_unused:UNUSED_PAD src0_sel:BYTE_3 src1_sel:DWORD
	v_cvt_f16_f32_e32 v7, v7
	v_mul_f16_e32 v5, v5, v7
	global_store_short v[0:1], v5, off
	v_add_co_u32_e32 v0, vcc, s0, v0
	v_addc_co_u32_e32 v1, vcc, v1, v3, vcc
	s_waitcnt vmcnt(5)
	v_bfe_u32 v8, v12, v13, 8
	v_sub_u32_e32 v8, v11, v8
	v_cvt_f32_i32_e32 v8, v8
	v_cvt_f16_f32_e32 v5, v8
	s_waitcnt vmcnt(4)
	v_bfe_u32 v4, v4, v13, 8
	v_sub_u32_e32 v2, v2, v4
	v_cvt_f32_i32_e32 v2, v2
	v_cvt_f16_f32_e32 v2, v2
	s_waitcnt vmcnt(3)
	v_mul_f16_e32 v4, v9, v5
	global_store_short v[0:1], v4, off
	v_add_co_u32_e32 v0, vcc, s0, v0
	v_addc_co_u32_e32 v1, vcc, v1, v3, vcc
	s_waitcnt vmcnt(3)
	v_mul_f16_e32 v2, v10, v2
	global_store_short v[0:1], v2, off
.LBB49_2:
	s_endpgm
	.section	.rodata,"a",@progbits
	.p2align	6, 0x0
	.amdhsa_kernel _ZN4vllm4gptq23reconstruct_gptq_kernelINS0_17MatrixView_q8_rowELi8EEEvPKjPK6__halfS4_PKiiiibPS5_
		.amdhsa_group_segment_fixed_size 0
		.amdhsa_private_segment_fixed_size 0
		.amdhsa_kernarg_size 56
		.amdhsa_user_sgpr_count 6
		.amdhsa_user_sgpr_private_segment_buffer 1
		.amdhsa_user_sgpr_dispatch_ptr 0
		.amdhsa_user_sgpr_queue_ptr 0
		.amdhsa_user_sgpr_kernarg_segment_ptr 1
		.amdhsa_user_sgpr_dispatch_id 0
		.amdhsa_user_sgpr_flat_scratch_init 0
		.amdhsa_user_sgpr_private_segment_size 0
		.amdhsa_uses_dynamic_stack 0
		.amdhsa_system_sgpr_private_segment_wavefront_offset 0
		.amdhsa_system_sgpr_workgroup_id_x 1
		.amdhsa_system_sgpr_workgroup_id_y 1
		.amdhsa_system_sgpr_workgroup_id_z 0
		.amdhsa_system_sgpr_workgroup_info 0
		.amdhsa_system_vgpr_workitem_id 0
		.amdhsa_next_free_vgpr 15
		.amdhsa_next_free_sgpr 20
		.amdhsa_reserve_vcc 1
		.amdhsa_reserve_flat_scratch 0
		.amdhsa_float_round_mode_32 0
		.amdhsa_float_round_mode_16_64 0
		.amdhsa_float_denorm_mode_32 3
		.amdhsa_float_denorm_mode_16_64 3
		.amdhsa_dx10_clamp 1
		.amdhsa_ieee_mode 1
		.amdhsa_fp16_overflow 0
		.amdhsa_exception_fp_ieee_invalid_op 0
		.amdhsa_exception_fp_denorm_src 0
		.amdhsa_exception_fp_ieee_div_zero 0
		.amdhsa_exception_fp_ieee_overflow 0
		.amdhsa_exception_fp_ieee_underflow 0
		.amdhsa_exception_fp_ieee_inexact 0
		.amdhsa_exception_int_div_zero 0
	.end_amdhsa_kernel
	.section	.text._ZN4vllm4gptq23reconstruct_gptq_kernelINS0_17MatrixView_q8_rowELi8EEEvPKjPK6__halfS4_PKiiiibPS5_,"axG",@progbits,_ZN4vllm4gptq23reconstruct_gptq_kernelINS0_17MatrixView_q8_rowELi8EEEvPKjPK6__halfS4_PKiiiibPS5_,comdat
.Lfunc_end49:
	.size	_ZN4vllm4gptq23reconstruct_gptq_kernelINS0_17MatrixView_q8_rowELi8EEEvPKjPK6__halfS4_PKiiiibPS5_, .Lfunc_end49-_ZN4vllm4gptq23reconstruct_gptq_kernelINS0_17MatrixView_q8_rowELi8EEEvPKjPK6__halfS4_PKiiiibPS5_
                                        ; -- End function
	.set _ZN4vllm4gptq23reconstruct_gptq_kernelINS0_17MatrixView_q8_rowELi8EEEvPKjPK6__halfS4_PKiiiibPS5_.num_vgpr, 15
	.set _ZN4vllm4gptq23reconstruct_gptq_kernelINS0_17MatrixView_q8_rowELi8EEEvPKjPK6__halfS4_PKiiiibPS5_.num_agpr, 0
	.set _ZN4vllm4gptq23reconstruct_gptq_kernelINS0_17MatrixView_q8_rowELi8EEEvPKjPK6__halfS4_PKiiiibPS5_.numbered_sgpr, 20
	.set _ZN4vllm4gptq23reconstruct_gptq_kernelINS0_17MatrixView_q8_rowELi8EEEvPKjPK6__halfS4_PKiiiibPS5_.num_named_barrier, 0
	.set _ZN4vllm4gptq23reconstruct_gptq_kernelINS0_17MatrixView_q8_rowELi8EEEvPKjPK6__halfS4_PKiiiibPS5_.private_seg_size, 0
	.set _ZN4vllm4gptq23reconstruct_gptq_kernelINS0_17MatrixView_q8_rowELi8EEEvPKjPK6__halfS4_PKiiiibPS5_.uses_vcc, 1
	.set _ZN4vllm4gptq23reconstruct_gptq_kernelINS0_17MatrixView_q8_rowELi8EEEvPKjPK6__halfS4_PKiiiibPS5_.uses_flat_scratch, 0
	.set _ZN4vllm4gptq23reconstruct_gptq_kernelINS0_17MatrixView_q8_rowELi8EEEvPKjPK6__halfS4_PKiiiibPS5_.has_dyn_sized_stack, 0
	.set _ZN4vllm4gptq23reconstruct_gptq_kernelINS0_17MatrixView_q8_rowELi8EEEvPKjPK6__halfS4_PKiiiibPS5_.has_recursion, 0
	.set _ZN4vllm4gptq23reconstruct_gptq_kernelINS0_17MatrixView_q8_rowELi8EEEvPKjPK6__halfS4_PKiiiibPS5_.has_indirect_call, 0
	.section	.AMDGPU.csdata,"",@progbits
; Kernel info:
; codeLenInByte = 800
; TotalNumSgprs: 24
; NumVgprs: 15
; ScratchSize: 0
; MemoryBound: 0
; FloatMode: 240
; IeeeMode: 1
; LDSByteSize: 0 bytes/workgroup (compile time only)
; SGPRBlocks: 2
; VGPRBlocks: 3
; NumSGPRsForWavesPerEU: 24
; NumVGPRsForWavesPerEU: 15
; Occupancy: 10
; WaveLimiterHint : 1
; COMPUTE_PGM_RSRC2:SCRATCH_EN: 0
; COMPUTE_PGM_RSRC2:USER_SGPR: 6
; COMPUTE_PGM_RSRC2:TRAP_HANDLER: 0
; COMPUTE_PGM_RSRC2:TGID_X_EN: 1
; COMPUTE_PGM_RSRC2:TGID_Y_EN: 1
; COMPUTE_PGM_RSRC2:TGID_Z_EN: 0
; COMPUTE_PGM_RSRC2:TIDIG_COMP_CNT: 0
	.section	.AMDGPU.gpr_maximums,"",@progbits
	.set amdgpu.max_num_vgpr, 0
	.set amdgpu.max_num_agpr, 0
	.set amdgpu.max_num_sgpr, 0
	.section	.AMDGPU.csdata,"",@progbits
	.type	__hip_cuid_29665ce741c672ce,@object ; @__hip_cuid_29665ce741c672ce
	.section	.bss,"aw",@nobits
	.globl	__hip_cuid_29665ce741c672ce
__hip_cuid_29665ce741c672ce:
	.byte	0                               ; 0x0
	.size	__hip_cuid_29665ce741c672ce, 1

	.ident	"AMD clang version 22.0.0git (https://github.com/RadeonOpenCompute/llvm-project roc-7.2.4 26084 f58b06dce1f9c15707c5f808fd002e18c2accf7e)"
	.section	".note.GNU-stack","",@progbits
	.addrsig
	.addrsig_sym __hip_cuid_29665ce741c672ce
	.amdgpu_metadata
---
amdhsa.kernels:
  - .args:
      - .actual_access:  read_only
        .address_space:  global
        .offset:         0
        .size:           8
        .value_kind:     global_buffer
      - .actual_access:  read_only
        .address_space:  global
        .offset:         8
        .size:           8
        .value_kind:     global_buffer
      - .actual_access:  read_only
        .address_space:  global
        .offset:         16
        .size:           8
        .value_kind:     global_buffer
      - .actual_access:  read_only
        .address_space:  global
        .offset:         24
        .size:           8
        .value_kind:     global_buffer
      - .offset:         32
        .size:           4
        .value_kind:     by_value
      - .offset:         36
        .size:           4
        .value_kind:     by_value
      - .offset:         40
        .size:           4
        .value_kind:     by_value
      - .offset:         44
        .size:           1
        .value_kind:     by_value
      - .actual_access:  write_only
        .address_space:  global
        .offset:         48
        .size:           8
        .value_kind:     global_buffer
    .group_segment_fixed_size: 512
    .kernarg_segment_align: 8
    .kernarg_segment_size: 56
    .language:       OpenCL C
    .language_version:
      - 2
      - 0
    .max_flat_workgroup_size: 1024
    .name:           _ZN4vllm4gptq31reconstruct_exllama_8bit_kernelEPKjPKiS2_PK6__halfiiibPS5_
    .private_segment_fixed_size: 0
    .sgpr_count:     58
    .sgpr_spill_count: 0
    .symbol:         _ZN4vllm4gptq31reconstruct_exllama_8bit_kernelEPKjPKiS2_PK6__halfiiibPS5_.kd
    .uniform_work_group_size: 1
    .uses_dynamic_stack: false
    .vgpr_count:     56
    .vgpr_spill_count: 0
    .wavefront_size: 64
  - .args:
      - .actual_access:  read_only
        .address_space:  global
        .offset:         0
        .size:           8
        .value_kind:     global_buffer
      - .actual_access:  read_only
        .address_space:  global
        .offset:         8
        .size:           8
        .value_kind:     global_buffer
      - .actual_access:  read_only
        .address_space:  global
        .offset:         16
        .size:           8
        .value_kind:     global_buffer
      - .actual_access:  read_only
        .address_space:  global
        .offset:         24
        .size:           8
        .value_kind:     global_buffer
      - .offset:         32
        .size:           4
        .value_kind:     by_value
      - .offset:         36
        .size:           4
        .value_kind:     by_value
      - .offset:         40
        .size:           4
        .value_kind:     by_value
      - .offset:         44
        .size:           1
        .value_kind:     by_value
      - .actual_access:  write_only
        .address_space:  global
        .offset:         48
        .size:           8
        .value_kind:     global_buffer
    .group_segment_fixed_size: 512
    .kernarg_segment_align: 8
    .kernarg_segment_size: 56
    .language:       OpenCL C
    .language_version:
      - 2
      - 0
    .max_flat_workgroup_size: 1024
    .name:           _ZN4vllm4gptq31reconstruct_exllama_4bit_kernelEPKjPKiS2_PK6__halfiiibPS5_
    .private_segment_fixed_size: 0
    .sgpr_count:     59
    .sgpr_spill_count: 0
    .symbol:         _ZN4vllm4gptq31reconstruct_exllama_4bit_kernelEPKjPKiS2_PK6__halfiiibPS5_.kd
    .uniform_work_group_size: 1
    .uses_dynamic_stack: false
    .vgpr_count:     58
    .vgpr_spill_count: 0
    .wavefront_size: 64
  - .args:
      - .actual_access:  read_only
        .address_space:  global
        .offset:         0
        .size:           8
        .value_kind:     global_buffer
      - .actual_access:  read_only
        .address_space:  global
        .offset:         8
        .size:           8
        .value_kind:     global_buffer
      - .actual_access:  read_only
        .address_space:  global
        .offset:         16
        .size:           8
        .value_kind:     global_buffer
      - .actual_access:  read_only
        .address_space:  global
        .offset:         24
        .size:           8
        .value_kind:     global_buffer
      - .offset:         32
        .size:           4
        .value_kind:     by_value
      - .offset:         36
        .size:           4
        .value_kind:     by_value
      - .offset:         40
        .size:           4
        .value_kind:     by_value
      - .offset:         44
        .size:           1
        .value_kind:     by_value
      - .actual_access:  write_only
        .address_space:  global
        .offset:         48
        .size:           8
        .value_kind:     global_buffer
    .group_segment_fixed_size: 512
    .kernarg_segment_align: 8
    .kernarg_segment_size: 56
    .language:       OpenCL C
    .language_version:
      - 2
      - 0
    .max_flat_workgroup_size: 1024
    .name:           _ZN4vllm4gptq31reconstruct_exllama_3bit_kernelEPKjPKiS2_PK6__halfiiibPS5_
    .private_segment_fixed_size: 372
    .sgpr_count:     84
    .sgpr_spill_count: 0
    .symbol:         _ZN4vllm4gptq31reconstruct_exllama_3bit_kernelEPKjPKiS2_PK6__halfiiibPS5_.kd
    .uniform_work_group_size: 1
    .uses_dynamic_stack: false
    .vgpr_count:     64
    .vgpr_spill_count: 109
    .wavefront_size: 64
  - .args:
      - .actual_access:  read_only
        .address_space:  global
        .offset:         0
        .size:           8
        .value_kind:     global_buffer
      - .actual_access:  read_only
        .address_space:  global
        .offset:         8
        .size:           8
        .value_kind:     global_buffer
      - .actual_access:  read_only
        .address_space:  global
        .offset:         16
        .size:           8
        .value_kind:     global_buffer
      - .actual_access:  read_only
        .address_space:  global
        .offset:         24
        .size:           8
        .value_kind:     global_buffer
      - .offset:         32
        .size:           4
        .value_kind:     by_value
      - .offset:         36
        .size:           4
        .value_kind:     by_value
      - .offset:         40
        .size:           4
        .value_kind:     by_value
      - .offset:         44
        .size:           1
        .value_kind:     by_value
      - .actual_access:  write_only
        .address_space:  global
        .offset:         48
        .size:           8
        .value_kind:     global_buffer
    .group_segment_fixed_size: 512
    .kernarg_segment_align: 8
    .kernarg_segment_size: 56
    .language:       OpenCL C
    .language_version:
      - 2
      - 0
    .max_flat_workgroup_size: 1024
    .name:           _ZN4vllm4gptq31reconstruct_exllama_2bit_kernelEPKjPKiS2_PK6__halfiiibPS5_
    .private_segment_fixed_size: 132
    .sgpr_count:     68
    .sgpr_spill_count: 0
    .symbol:         _ZN4vllm4gptq31reconstruct_exllama_2bit_kernelEPKjPKiS2_PK6__halfiiibPS5_.kd
    .uniform_work_group_size: 1
    .uses_dynamic_stack: false
    .vgpr_count:     64
    .vgpr_spill_count: 35
    .wavefront_size: 64
  - .args:
      - .actual_access:  read_only
        .address_space:  global
        .offset:         0
        .size:           8
        .value_kind:     global_buffer
      - .actual_access:  read_only
        .address_space:  global
        .offset:         8
        .size:           8
        .value_kind:     global_buffer
      - .address_space:  global
        .offset:         16
        .size:           8
        .value_kind:     global_buffer
      - .actual_access:  read_only
        .address_space:  global
        .offset:         24
        .size:           8
        .value_kind:     global_buffer
      - .actual_access:  read_only
        .address_space:  global
        .offset:         32
        .size:           8
        .value_kind:     global_buffer
      - .actual_access:  read_only
        .address_space:  global
        .offset:         40
        .size:           8
        .value_kind:     global_buffer
      - .offset:         48
        .size:           4
        .value_kind:     by_value
      - .offset:         52
        .size:           4
        .value_kind:     by_value
      - .offset:         56
        .size:           4
        .value_kind:     by_value
      - .offset:         60
        .size:           1
        .value_kind:     by_value
    .group_segment_fixed_size: 26624
    .kernarg_segment_align: 8
    .kernarg_segment_size: 64
    .language:       OpenCL C
    .language_version:
      - 2
      - 0
    .max_flat_workgroup_size: 1024
    .name:           _ZN4vllm4gptq32gemm_half_q_half_alt_4bit_kernelEPK7__half2PKjP6__halfPKS6_S5_PKiiiib
    .private_segment_fixed_size: 0
    .sgpr_count:     36
    .sgpr_spill_count: 0
    .symbol:         _ZN4vllm4gptq32gemm_half_q_half_alt_4bit_kernelEPK7__half2PKjP6__halfPKS6_S5_PKiiiib.kd
    .uniform_work_group_size: 1
    .uses_dynamic_stack: false
    .vgpr_count:     36
    .vgpr_spill_count: 0
    .wavefront_size: 64
  - .args:
      - .actual_access:  read_only
        .address_space:  global
        .offset:         0
        .size:           8
        .value_kind:     global_buffer
      - .actual_access:  read_only
        .address_space:  global
        .offset:         8
        .size:           8
        .value_kind:     global_buffer
      - .address_space:  global
        .offset:         16
        .size:           8
        .value_kind:     global_buffer
      - .actual_access:  read_only
        .address_space:  global
        .offset:         24
        .size:           8
        .value_kind:     global_buffer
      - .actual_access:  read_only
        .address_space:  global
        .offset:         32
        .size:           8
        .value_kind:     global_buffer
      - .actual_access:  read_only
        .address_space:  global
        .offset:         40
        .size:           8
        .value_kind:     global_buffer
      - .offset:         48
        .size:           4
        .value_kind:     by_value
      - .offset:         52
        .size:           4
        .value_kind:     by_value
      - .offset:         56
        .size:           4
        .value_kind:     by_value
      - .offset:         60
        .size:           1
        .value_kind:     by_value
    .group_segment_fixed_size: 18432
    .kernarg_segment_align: 8
    .kernarg_segment_size: 64
    .language:       OpenCL C
    .language_version:
      - 2
      - 0
    .max_flat_workgroup_size: 1024
    .name:           _ZN4vllm4gptq32gemm_half_q_half_alt_8bit_kernelEPK7__half2PKjP6__halfPKS6_S5_PKiiiib
    .private_segment_fixed_size: 0
    .sgpr_count:     32
    .sgpr_spill_count: 0
    .symbol:         _ZN4vllm4gptq32gemm_half_q_half_alt_8bit_kernelEPK7__half2PKjP6__halfPKS6_S5_PKiiiib.kd
    .uniform_work_group_size: 1
    .uses_dynamic_stack: false
    .vgpr_count:     18
    .vgpr_spill_count: 0
    .wavefront_size: 64
  - .args:
      - .actual_access:  read_only
        .address_space:  global
        .offset:         0
        .size:           8
        .value_kind:     global_buffer
      - .actual_access:  read_only
        .address_space:  global
        .offset:         8
        .size:           8
        .value_kind:     global_buffer
      - .actual_access:  read_only
        .address_space:  global
        .offset:         16
        .size:           8
        .value_kind:     global_buffer
      - .actual_access:  read_only
        .address_space:  global
        .offset:         24
        .size:           8
        .value_kind:     global_buffer
      - .offset:         32
        .size:           4
        .value_kind:     by_value
      - .offset:         36
        .size:           4
        .value_kind:     by_value
      - .offset:         40
        .size:           4
        .value_kind:     by_value
      - .offset:         44
        .size:           1
        .value_kind:     by_value
      - .actual_access:  write_only
        .address_space:  global
        .offset:         48
        .size:           8
        .value_kind:     global_buffer
    .group_segment_fixed_size: 0
    .kernarg_segment_align: 8
    .kernarg_segment_size: 56
    .language:       OpenCL C
    .language_version:
      - 2
      - 0
    .max_flat_workgroup_size: 1024
    .name:           _ZN4vllm4gptq28reconstruct_gptq_3bit_kernelEPKjPK6__halfS2_PKiiiibPS3_
    .private_segment_fixed_size: 0
    .sgpr_count:     31
    .sgpr_spill_count: 0
    .symbol:         _ZN4vllm4gptq28reconstruct_gptq_3bit_kernelEPKjPK6__halfS2_PKiiiibPS3_.kd
    .uniform_work_group_size: 1
    .uses_dynamic_stack: false
    .vgpr_count:     16
    .vgpr_spill_count: 0
    .wavefront_size: 64
  - .args:
      - .address_space:  global
        .offset:         0
        .size:           8
        .value_kind:     global_buffer
      - .offset:         8
        .size:           4
        .value_kind:     by_value
      - .offset:         12
        .size:           4
        .value_kind:     by_value
    .group_segment_fixed_size: 0
    .kernarg_segment_align: 8
    .kernarg_segment_size: 16
    .language:       OpenCL C
    .language_version:
      - 2
      - 0
    .max_flat_workgroup_size: 1024
    .name:           _ZN4vllm4gptq19shuffle_4bit_kernelEPjii
    .private_segment_fixed_size: 0
    .sgpr_count:     14
    .sgpr_spill_count: 0
    .symbol:         _ZN4vllm4gptq19shuffle_4bit_kernelEPjii.kd
    .uniform_work_group_size: 1
    .uses_dynamic_stack: false
    .vgpr_count:     10
    .vgpr_spill_count: 0
    .wavefront_size: 64
  - .args:
      - .actual_access:  read_only
        .address_space:  global
        .offset:         0
        .size:           8
        .value_kind:     global_buffer
      - .offset:         8
        .size:           4
        .value_kind:     by_value
      - .offset:         12
        .size:           4
        .value_kind:     by_value
    .group_segment_fixed_size: 0
    .kernarg_segment_align: 8
    .kernarg_segment_size: 16
    .language:       OpenCL C
    .language_version:
      - 2
      - 0
    .max_flat_workgroup_size: 1024
    .name:           _ZN4vllm4gptq19shuffle_8bit_kernelEPjii
    .private_segment_fixed_size: 0
    .sgpr_count:     4
    .sgpr_spill_count: 0
    .symbol:         _ZN4vllm4gptq19shuffle_8bit_kernelEPjii.kd
    .uniform_work_group_size: 1
    .uses_dynamic_stack: false
    .vgpr_count:     0
    .vgpr_spill_count: 0
    .wavefront_size: 64
  - .args:
      - .address_space:  global
        .offset:         0
        .size:           8
        .value_kind:     global_buffer
      - .offset:         8
        .size:           4
        .value_kind:     by_value
      - .offset:         12
        .size:           4
        .value_kind:     by_value
    .group_segment_fixed_size: 0
    .kernarg_segment_align: 8
    .kernarg_segment_size: 16
    .language:       OpenCL C
    .language_version:
      - 2
      - 0
    .max_flat_workgroup_size: 1024
    .name:           _ZN4vllm4gptq19shuffle_2bit_kernelEPjii
    .private_segment_fixed_size: 0
    .sgpr_count:     14
    .sgpr_spill_count: 0
    .symbol:         _ZN4vllm4gptq19shuffle_2bit_kernelEPjii.kd
    .uniform_work_group_size: 1
    .uses_dynamic_stack: false
    .vgpr_count:     18
    .vgpr_spill_count: 0
    .wavefront_size: 64
  - .args:
      - .address_space:  global
        .offset:         0
        .size:           8
        .value_kind:     global_buffer
      - .offset:         8
        .size:           4
        .value_kind:     by_value
      - .offset:         12
        .size:           4
        .value_kind:     by_value
    .group_segment_fixed_size: 0
    .kernarg_segment_align: 8
    .kernarg_segment_size: 16
    .language:       OpenCL C
    .language_version:
      - 2
      - 0
    .max_flat_workgroup_size: 1024
    .name:           _ZN4vllm4gptq19shuffle_3bit_kernelEPjii
    .private_segment_fixed_size: 0
    .sgpr_count:     14
    .sgpr_spill_count: 0
    .symbol:         _ZN4vllm4gptq19shuffle_3bit_kernelEPjii.kd
    .uniform_work_group_size: 1
    .uses_dynamic_stack: false
    .vgpr_count:     20
    .vgpr_spill_count: 0
    .wavefront_size: 64
  - .args:
      - .actual_access:  read_only
        .address_space:  global
        .offset:         0
        .size:           8
        .value_kind:     global_buffer
      - .actual_access:  write_only
        .address_space:  global
        .offset:         8
        .size:           8
        .value_kind:     global_buffer
      - .actual_access:  read_only
        .address_space:  global
        .offset:         16
        .size:           8
        .value_kind:     global_buffer
      - .offset:         24
        .size:           4
        .value_kind:     by_value
    .group_segment_fixed_size: 0
    .kernarg_segment_align: 8
    .kernarg_segment_size: 28
    .language:       OpenCL C
    .language_version:
      - 2
      - 0
    .max_flat_workgroup_size: 1024
    .name:           _ZN4vllm4gptq27make_sequential_4bit_kernelEPKjPjPKii
    .private_segment_fixed_size: 0
    .sgpr_count:     21
    .sgpr_spill_count: 0
    .symbol:         _ZN4vllm4gptq27make_sequential_4bit_kernelEPKjPjPKii.kd
    .uniform_work_group_size: 1
    .uses_dynamic_stack: false
    .vgpr_count:     33
    .vgpr_spill_count: 0
    .wavefront_size: 64
  - .args:
      - .actual_access:  read_only
        .address_space:  global
        .offset:         0
        .size:           8
        .value_kind:     global_buffer
      - .actual_access:  write_only
        .address_space:  global
        .offset:         8
        .size:           8
        .value_kind:     global_buffer
      - .actual_access:  read_only
        .address_space:  global
        .offset:         16
        .size:           8
        .value_kind:     global_buffer
      - .offset:         24
        .size:           4
        .value_kind:     by_value
    .group_segment_fixed_size: 0
    .kernarg_segment_align: 8
    .kernarg_segment_size: 28
    .language:       OpenCL C
    .language_version:
      - 2
      - 0
    .max_flat_workgroup_size: 1024
    .name:           _ZN4vllm4gptq27make_sequential_2bit_kernelEPKjPjPKii
    .private_segment_fixed_size: 0
    .sgpr_count:     29
    .sgpr_spill_count: 0
    .symbol:         _ZN4vllm4gptq27make_sequential_2bit_kernelEPKjPjPKii.kd
    .uniform_work_group_size: 1
    .uses_dynamic_stack: false
    .vgpr_count:     37
    .vgpr_spill_count: 0
    .wavefront_size: 64
  - .args:
      - .actual_access:  read_only
        .address_space:  global
        .offset:         0
        .size:           8
        .value_kind:     global_buffer
      - .actual_access:  write_only
        .address_space:  global
        .offset:         8
        .size:           8
        .value_kind:     global_buffer
      - .actual_access:  read_only
        .address_space:  global
        .offset:         16
        .size:           8
        .value_kind:     global_buffer
      - .offset:         24
        .size:           4
        .value_kind:     by_value
    .group_segment_fixed_size: 0
    .kernarg_segment_align: 8
    .kernarg_segment_size: 28
    .language:       OpenCL C
    .language_version:
      - 2
      - 0
    .max_flat_workgroup_size: 1024
    .name:           _ZN4vllm4gptq27make_sequential_3bit_kernelEPKjPjPKii
    .private_segment_fixed_size: 0
    .sgpr_count:     21
    .sgpr_spill_count: 0
    .symbol:         _ZN4vllm4gptq27make_sequential_3bit_kernelEPKjPjPKii.kd
    .uniform_work_group_size: 1
    .uses_dynamic_stack: false
    .vgpr_count:     38
    .vgpr_spill_count: 0
    .wavefront_size: 64
  - .args:
      - .actual_access:  read_only
        .address_space:  global
        .offset:         0
        .size:           8
        .value_kind:     global_buffer
      - .actual_access:  write_only
        .address_space:  global
        .offset:         8
        .size:           8
        .value_kind:     global_buffer
      - .actual_access:  read_only
        .address_space:  global
        .offset:         16
        .size:           8
        .value_kind:     global_buffer
      - .offset:         24
        .size:           4
        .value_kind:     by_value
    .group_segment_fixed_size: 0
    .kernarg_segment_align: 8
    .kernarg_segment_size: 28
    .language:       OpenCL C
    .language_version:
      - 2
      - 0
    .max_flat_workgroup_size: 1024
    .name:           _ZN4vllm4gptq27make_sequential_8bit_kernelEPKjPjPKii
    .private_segment_fixed_size: 0
    .sgpr_count:     17
    .sgpr_spill_count: 0
    .symbol:         _ZN4vllm4gptq27make_sequential_8bit_kernelEPKjPjPKii.kd
    .uniform_work_group_size: 1
    .uses_dynamic_stack: false
    .vgpr_count:     16
    .vgpr_spill_count: 0
    .wavefront_size: 64
  - .args:
      - .actual_access:  read_only
        .address_space:  global
        .offset:         0
        .size:           8
        .value_kind:     global_buffer
      - .actual_access:  read_only
        .address_space:  global
        .offset:         8
        .size:           8
        .value_kind:     global_buffer
      - .actual_access:  read_only
        .address_space:  global
        .offset:         16
        .size:           8
        .value_kind:     global_buffer
      - .actual_access:  read_only
        .address_space:  global
        .offset:         24
        .size:           8
        .value_kind:     global_buffer
      - .address_space:  global
        .offset:         32
        .size:           8
        .value_kind:     global_buffer
      - .offset:         40
        .size:           4
        .value_kind:     by_value
      - .offset:         44
        .size:           4
        .value_kind:     by_value
      - .offset:         48
        .size:           4
        .value_kind:     by_value
      - .offset:         52
        .size:           4
        .value_kind:     by_value
      - .offset:         56
        .size:           1
        .value_kind:     by_value
      - .actual_access:  read_only
        .address_space:  global
        .offset:         64
        .size:           8
        .value_kind:     global_buffer
    .group_segment_fixed_size: 256
    .kernarg_segment_align: 8
    .kernarg_segment_size: 72
    .language:       OpenCL C
    .language_version:
      - 2
      - 0
    .max_flat_workgroup_size: 1024
    .name:           _ZN4vllm4gptq33gemm_half_q_half_gptq_2bit_kernelILb1ELi1EEEvPK6__halfPKjS6_S4_PS2_iiiibPKi
    .private_segment_fixed_size: 0
    .sgpr_count:     28
    .sgpr_spill_count: 0
    .symbol:         _ZN4vllm4gptq33gemm_half_q_half_gptq_2bit_kernelILb1ELi1EEEvPK6__halfPKjS6_S4_PS2_iiiibPKi.kd
    .uniform_work_group_size: 1
    .uses_dynamic_stack: false
    .vgpr_count:     58
    .vgpr_spill_count: 0
    .wavefront_size: 64
  - .args:
      - .actual_access:  read_only
        .address_space:  global
        .offset:         0
        .size:           8
        .value_kind:     global_buffer
      - .actual_access:  read_only
        .address_space:  global
        .offset:         8
        .size:           8
        .value_kind:     global_buffer
      - .actual_access:  read_only
        .address_space:  global
        .offset:         16
        .size:           8
        .value_kind:     global_buffer
      - .actual_access:  read_only
        .address_space:  global
        .offset:         24
        .size:           8
        .value_kind:     global_buffer
      - .address_space:  global
        .offset:         32
        .size:           8
        .value_kind:     global_buffer
      - .offset:         40
        .size:           4
        .value_kind:     by_value
      - .offset:         44
        .size:           4
        .value_kind:     by_value
      - .offset:         48
        .size:           4
        .value_kind:     by_value
      - .offset:         52
        .size:           4
        .value_kind:     by_value
      - .offset:         56
        .size:           1
        .value_kind:     by_value
      - .actual_access:  read_only
        .address_space:  global
        .offset:         64
        .size:           8
        .value_kind:     global_buffer
    .group_segment_fixed_size: 256
    .kernarg_segment_align: 8
    .kernarg_segment_size: 72
    .language:       OpenCL C
    .language_version:
      - 2
      - 0
    .max_flat_workgroup_size: 1024
    .name:           _ZN4vllm4gptq33gemm_half_q_half_gptq_3bit_kernelILb1ELi1EEEvPK6__halfPKjS6_S4_PS2_iiiibPKi
    .private_segment_fixed_size: 72
    .sgpr_count:     48
    .sgpr_spill_count: 0
    .symbol:         _ZN4vllm4gptq33gemm_half_q_half_gptq_3bit_kernelILb1ELi1EEEvPK6__halfPKjS6_S4_PS2_iiiibPKi.kd
    .uniform_work_group_size: 1
    .uses_dynamic_stack: false
    .vgpr_count:     64
    .vgpr_spill_count: 23
    .wavefront_size: 64
  - .args:
      - .actual_access:  read_only
        .address_space:  global
        .offset:         0
        .size:           8
        .value_kind:     global_buffer
      - .actual_access:  read_only
        .address_space:  global
        .offset:         8
        .size:           8
        .value_kind:     global_buffer
      - .actual_access:  read_only
        .address_space:  global
        .offset:         16
        .size:           8
        .value_kind:     global_buffer
      - .actual_access:  read_only
        .address_space:  global
        .offset:         24
        .size:           8
        .value_kind:     global_buffer
      - .address_space:  global
        .offset:         32
        .size:           8
        .value_kind:     global_buffer
      - .offset:         40
        .size:           4
        .value_kind:     by_value
      - .offset:         44
        .size:           4
        .value_kind:     by_value
      - .offset:         48
        .size:           4
        .value_kind:     by_value
      - .offset:         52
        .size:           4
        .value_kind:     by_value
      - .offset:         56
        .size:           1
        .value_kind:     by_value
      - .actual_access:  read_only
        .address_space:  global
        .offset:         64
        .size:           8
        .value_kind:     global_buffer
    .group_segment_fixed_size: 256
    .kernarg_segment_align: 8
    .kernarg_segment_size: 72
    .language:       OpenCL C
    .language_version:
      - 2
      - 0
    .max_flat_workgroup_size: 1024
    .name:           _ZN4vllm4gptq33gemm_half_q_half_gptq_4bit_kernelILb1ELi1EEEvPK6__halfPKjS6_S4_PS2_iiiibPKi
    .private_segment_fixed_size: 0
    .sgpr_count:     28
    .sgpr_spill_count: 0
    .symbol:         _ZN4vllm4gptq33gemm_half_q_half_gptq_4bit_kernelILb1ELi1EEEvPK6__halfPKjS6_S4_PS2_iiiibPKi.kd
    .uniform_work_group_size: 1
    .uses_dynamic_stack: false
    .vgpr_count:     47
    .vgpr_spill_count: 0
    .wavefront_size: 64
  - .args:
      - .actual_access:  read_only
        .address_space:  global
        .offset:         0
        .size:           8
        .value_kind:     global_buffer
      - .actual_access:  read_only
        .address_space:  global
        .offset:         8
        .size:           8
        .value_kind:     global_buffer
      - .actual_access:  read_only
        .address_space:  global
        .offset:         16
        .size:           8
        .value_kind:     global_buffer
      - .actual_access:  read_only
        .address_space:  global
        .offset:         24
        .size:           8
        .value_kind:     global_buffer
      - .address_space:  global
        .offset:         32
        .size:           8
        .value_kind:     global_buffer
      - .offset:         40
        .size:           4
        .value_kind:     by_value
      - .offset:         44
        .size:           4
        .value_kind:     by_value
      - .offset:         48
        .size:           4
        .value_kind:     by_value
      - .offset:         52
        .size:           4
        .value_kind:     by_value
      - .offset:         56
        .size:           1
        .value_kind:     by_value
      - .actual_access:  read_only
        .address_space:  global
        .offset:         64
        .size:           8
        .value_kind:     global_buffer
    .group_segment_fixed_size: 256
    .kernarg_segment_align: 8
    .kernarg_segment_size: 72
    .language:       OpenCL C
    .language_version:
      - 2
      - 0
    .max_flat_workgroup_size: 1024
    .name:           _ZN4vllm4gptq33gemm_half_q_half_gptq_8bit_kernelILb1ELi1EEEvPK6__halfPKjS6_S4_PS2_iiiibPKi
    .private_segment_fixed_size: 40
    .sgpr_count:     32
    .sgpr_spill_count: 0
    .symbol:         _ZN4vllm4gptq33gemm_half_q_half_gptq_8bit_kernelILb1ELi1EEEvPK6__halfPKjS6_S4_PS2_iiiibPKi.kd
    .uniform_work_group_size: 1
    .uses_dynamic_stack: false
    .vgpr_count:     64
    .vgpr_spill_count: 12
    .wavefront_size: 64
  - .args:
      - .actual_access:  read_only
        .address_space:  global
        .offset:         0
        .size:           8
        .value_kind:     global_buffer
      - .actual_access:  read_only
        .address_space:  global
        .offset:         8
        .size:           8
        .value_kind:     global_buffer
      - .actual_access:  read_only
        .address_space:  global
        .offset:         16
        .size:           8
        .value_kind:     global_buffer
      - .actual_access:  read_only
        .address_space:  global
        .offset:         24
        .size:           8
        .value_kind:     global_buffer
      - .address_space:  global
        .offset:         32
        .size:           8
        .value_kind:     global_buffer
      - .offset:         40
        .size:           4
        .value_kind:     by_value
      - .offset:         44
        .size:           4
        .value_kind:     by_value
      - .offset:         48
        .size:           4
        .value_kind:     by_value
      - .offset:         52
        .size:           4
        .value_kind:     by_value
      - .offset:         56
        .size:           1
        .value_kind:     by_value
      - .actual_access:  read_only
        .address_space:  global
        .offset:         64
        .size:           8
        .value_kind:     global_buffer
    .group_segment_fixed_size: 512
    .kernarg_segment_align: 8
    .kernarg_segment_size: 72
    .language:       OpenCL C
    .language_version:
      - 2
      - 0
    .max_flat_workgroup_size: 1024
    .name:           _ZN4vllm4gptq33gemm_half_q_half_gptq_2bit_kernelILb1ELi2EEEvPK6__halfPKjS6_S4_PS2_iiiibPKi
    .private_segment_fixed_size: 0
    .sgpr_count:     30
    .sgpr_spill_count: 0
    .symbol:         _ZN4vllm4gptq33gemm_half_q_half_gptq_2bit_kernelILb1ELi2EEEvPK6__halfPKjS6_S4_PS2_iiiibPKi.kd
    .uniform_work_group_size: 1
    .uses_dynamic_stack: false
    .vgpr_count:     64
    .vgpr_spill_count: 0
    .wavefront_size: 64
  - .args:
      - .actual_access:  read_only
        .address_space:  global
        .offset:         0
        .size:           8
        .value_kind:     global_buffer
      - .actual_access:  read_only
        .address_space:  global
        .offset:         8
        .size:           8
        .value_kind:     global_buffer
      - .actual_access:  read_only
        .address_space:  global
        .offset:         16
        .size:           8
        .value_kind:     global_buffer
      - .actual_access:  read_only
        .address_space:  global
        .offset:         24
        .size:           8
        .value_kind:     global_buffer
      - .address_space:  global
        .offset:         32
        .size:           8
        .value_kind:     global_buffer
      - .offset:         40
        .size:           4
        .value_kind:     by_value
      - .offset:         44
        .size:           4
        .value_kind:     by_value
      - .offset:         48
        .size:           4
        .value_kind:     by_value
      - .offset:         52
        .size:           4
        .value_kind:     by_value
      - .offset:         56
        .size:           1
        .value_kind:     by_value
      - .actual_access:  read_only
        .address_space:  global
        .offset:         64
        .size:           8
        .value_kind:     global_buffer
    .group_segment_fixed_size: 512
    .kernarg_segment_align: 8
    .kernarg_segment_size: 72
    .language:       OpenCL C
    .language_version:
      - 2
      - 0
    .max_flat_workgroup_size: 1024
    .name:           _ZN4vllm4gptq33gemm_half_q_half_gptq_3bit_kernelILb1ELi2EEEvPK6__halfPKjS6_S4_PS2_iiiibPKi
    .private_segment_fixed_size: 120
    .sgpr_count:     48
    .sgpr_spill_count: 0
    .symbol:         _ZN4vllm4gptq33gemm_half_q_half_gptq_3bit_kernelILb1ELi2EEEvPK6__halfPKjS6_S4_PS2_iiiibPKi.kd
    .uniform_work_group_size: 1
    .uses_dynamic_stack: false
    .vgpr_count:     64
    .vgpr_spill_count: 35
    .wavefront_size: 64
  - .args:
      - .actual_access:  read_only
        .address_space:  global
        .offset:         0
        .size:           8
        .value_kind:     global_buffer
      - .actual_access:  read_only
        .address_space:  global
        .offset:         8
        .size:           8
        .value_kind:     global_buffer
      - .actual_access:  read_only
        .address_space:  global
        .offset:         16
        .size:           8
        .value_kind:     global_buffer
      - .actual_access:  read_only
        .address_space:  global
        .offset:         24
        .size:           8
        .value_kind:     global_buffer
      - .address_space:  global
        .offset:         32
        .size:           8
        .value_kind:     global_buffer
      - .offset:         40
        .size:           4
        .value_kind:     by_value
      - .offset:         44
        .size:           4
        .value_kind:     by_value
      - .offset:         48
        .size:           4
        .value_kind:     by_value
      - .offset:         52
        .size:           4
        .value_kind:     by_value
      - .offset:         56
        .size:           1
        .value_kind:     by_value
      - .actual_access:  read_only
        .address_space:  global
        .offset:         64
        .size:           8
        .value_kind:     global_buffer
    .group_segment_fixed_size: 512
    .kernarg_segment_align: 8
    .kernarg_segment_size: 72
    .language:       OpenCL C
    .language_version:
      - 2
      - 0
    .max_flat_workgroup_size: 1024
    .name:           _ZN4vllm4gptq33gemm_half_q_half_gptq_4bit_kernelILb1ELi2EEEvPK6__halfPKjS6_S4_PS2_iiiibPKi
    .private_segment_fixed_size: 0
    .sgpr_count:     30
    .sgpr_spill_count: 0
    .symbol:         _ZN4vllm4gptq33gemm_half_q_half_gptq_4bit_kernelILb1ELi2EEEvPK6__halfPKjS6_S4_PS2_iiiibPKi.kd
    .uniform_work_group_size: 1
    .uses_dynamic_stack: false
    .vgpr_count:     53
    .vgpr_spill_count: 0
    .wavefront_size: 64
  - .args:
      - .actual_access:  read_only
        .address_space:  global
        .offset:         0
        .size:           8
        .value_kind:     global_buffer
      - .actual_access:  read_only
        .address_space:  global
        .offset:         8
        .size:           8
        .value_kind:     global_buffer
      - .actual_access:  read_only
        .address_space:  global
        .offset:         16
        .size:           8
        .value_kind:     global_buffer
      - .actual_access:  read_only
        .address_space:  global
        .offset:         24
        .size:           8
        .value_kind:     global_buffer
      - .address_space:  global
        .offset:         32
        .size:           8
        .value_kind:     global_buffer
      - .offset:         40
        .size:           4
        .value_kind:     by_value
      - .offset:         44
        .size:           4
        .value_kind:     by_value
      - .offset:         48
        .size:           4
        .value_kind:     by_value
      - .offset:         52
        .size:           4
        .value_kind:     by_value
      - .offset:         56
        .size:           1
        .value_kind:     by_value
      - .actual_access:  read_only
        .address_space:  global
        .offset:         64
        .size:           8
        .value_kind:     global_buffer
    .group_segment_fixed_size: 512
    .kernarg_segment_align: 8
    .kernarg_segment_size: 72
    .language:       OpenCL C
    .language_version:
      - 2
      - 0
    .max_flat_workgroup_size: 1024
    .name:           _ZN4vllm4gptq33gemm_half_q_half_gptq_8bit_kernelILb1ELi2EEEvPK6__halfPKjS6_S4_PS2_iiiibPKi
    .private_segment_fixed_size: 72
    .sgpr_count:     36
    .sgpr_spill_count: 0
    .symbol:         _ZN4vllm4gptq33gemm_half_q_half_gptq_8bit_kernelILb1ELi2EEEvPK6__halfPKjS6_S4_PS2_iiiibPKi.kd
    .uniform_work_group_size: 1
    .uses_dynamic_stack: false
    .vgpr_count:     64
    .vgpr_spill_count: 20
    .wavefront_size: 64
  - .args:
      - .actual_access:  read_only
        .address_space:  global
        .offset:         0
        .size:           8
        .value_kind:     global_buffer
      - .actual_access:  read_only
        .address_space:  global
        .offset:         8
        .size:           8
        .value_kind:     global_buffer
      - .actual_access:  read_only
        .address_space:  global
        .offset:         16
        .size:           8
        .value_kind:     global_buffer
      - .actual_access:  read_only
        .address_space:  global
        .offset:         24
        .size:           8
        .value_kind:     global_buffer
      - .address_space:  global
        .offset:         32
        .size:           8
        .value_kind:     global_buffer
      - .offset:         40
        .size:           4
        .value_kind:     by_value
      - .offset:         44
        .size:           4
        .value_kind:     by_value
      - .offset:         48
        .size:           4
        .value_kind:     by_value
      - .offset:         52
        .size:           4
        .value_kind:     by_value
      - .offset:         56
        .size:           1
        .value_kind:     by_value
      - .actual_access:  read_only
        .address_space:  global
        .offset:         64
        .size:           8
        .value_kind:     global_buffer
    .group_segment_fixed_size: 768
    .kernarg_segment_align: 8
    .kernarg_segment_size: 72
    .language:       OpenCL C
    .language_version:
      - 2
      - 0
    .max_flat_workgroup_size: 1024
    .name:           _ZN4vllm4gptq33gemm_half_q_half_gptq_2bit_kernelILb1ELi3EEEvPK6__halfPKjS6_S4_PS2_iiiibPKi
    .private_segment_fixed_size: 20
    .sgpr_count:     36
    .sgpr_spill_count: 0
    .symbol:         _ZN4vllm4gptq33gemm_half_q_half_gptq_2bit_kernelILb1ELi3EEEvPK6__halfPKjS6_S4_PS2_iiiibPKi.kd
    .uniform_work_group_size: 1
    .uses_dynamic_stack: false
    .vgpr_count:     64
    .vgpr_spill_count: 6
    .wavefront_size: 64
  - .args:
      - .actual_access:  read_only
        .address_space:  global
        .offset:         0
        .size:           8
        .value_kind:     global_buffer
      - .actual_access:  read_only
        .address_space:  global
        .offset:         8
        .size:           8
        .value_kind:     global_buffer
      - .actual_access:  read_only
        .address_space:  global
        .offset:         16
        .size:           8
        .value_kind:     global_buffer
      - .actual_access:  read_only
        .address_space:  global
        .offset:         24
        .size:           8
        .value_kind:     global_buffer
      - .address_space:  global
        .offset:         32
        .size:           8
        .value_kind:     global_buffer
      - .offset:         40
        .size:           4
        .value_kind:     by_value
      - .offset:         44
        .size:           4
        .value_kind:     by_value
      - .offset:         48
        .size:           4
        .value_kind:     by_value
      - .offset:         52
        .size:           4
        .value_kind:     by_value
      - .offset:         56
        .size:           1
        .value_kind:     by_value
      - .actual_access:  read_only
        .address_space:  global
        .offset:         64
        .size:           8
        .value_kind:     global_buffer
    .group_segment_fixed_size: 768
    .kernarg_segment_align: 8
    .kernarg_segment_size: 72
    .language:       OpenCL C
    .language_version:
      - 2
      - 0
    .max_flat_workgroup_size: 1024
    .name:           _ZN4vllm4gptq33gemm_half_q_half_gptq_3bit_kernelILb1ELi3EEEvPK6__halfPKjS6_S4_PS2_iiiibPKi
    .private_segment_fixed_size: 320
    .sgpr_count:     48
    .sgpr_spill_count: 0
    .symbol:         _ZN4vllm4gptq33gemm_half_q_half_gptq_3bit_kernelILb1ELi3EEEvPK6__halfPKjS6_S4_PS2_iiiibPKi.kd
    .uniform_work_group_size: 1
    .uses_dynamic_stack: false
    .vgpr_count:     64
    .vgpr_spill_count: 96
    .wavefront_size: 64
  - .args:
      - .actual_access:  read_only
        .address_space:  global
        .offset:         0
        .size:           8
        .value_kind:     global_buffer
      - .actual_access:  read_only
        .address_space:  global
        .offset:         8
        .size:           8
        .value_kind:     global_buffer
      - .actual_access:  read_only
        .address_space:  global
        .offset:         16
        .size:           8
        .value_kind:     global_buffer
      - .actual_access:  read_only
        .address_space:  global
        .offset:         24
        .size:           8
        .value_kind:     global_buffer
      - .address_space:  global
        .offset:         32
        .size:           8
        .value_kind:     global_buffer
      - .offset:         40
        .size:           4
        .value_kind:     by_value
      - .offset:         44
        .size:           4
        .value_kind:     by_value
      - .offset:         48
        .size:           4
        .value_kind:     by_value
      - .offset:         52
        .size:           4
        .value_kind:     by_value
      - .offset:         56
        .size:           1
        .value_kind:     by_value
      - .actual_access:  read_only
        .address_space:  global
        .offset:         64
        .size:           8
        .value_kind:     global_buffer
    .group_segment_fixed_size: 768
    .kernarg_segment_align: 8
    .kernarg_segment_size: 72
    .language:       OpenCL C
    .language_version:
      - 2
      - 0
    .max_flat_workgroup_size: 1024
    .name:           _ZN4vllm4gptq33gemm_half_q_half_gptq_4bit_kernelILb1ELi3EEEvPK6__halfPKjS6_S4_PS2_iiiibPKi
    .private_segment_fixed_size: 0
    .sgpr_count:     30
    .sgpr_spill_count: 0
    .symbol:         _ZN4vllm4gptq33gemm_half_q_half_gptq_4bit_kernelILb1ELi3EEEvPK6__halfPKjS6_S4_PS2_iiiibPKi.kd
    .uniform_work_group_size: 1
    .uses_dynamic_stack: false
    .vgpr_count:     57
    .vgpr_spill_count: 0
    .wavefront_size: 64
  - .args:
      - .actual_access:  read_only
        .address_space:  global
        .offset:         0
        .size:           8
        .value_kind:     global_buffer
      - .actual_access:  read_only
        .address_space:  global
        .offset:         8
        .size:           8
        .value_kind:     global_buffer
      - .actual_access:  read_only
        .address_space:  global
        .offset:         16
        .size:           8
        .value_kind:     global_buffer
      - .actual_access:  read_only
        .address_space:  global
        .offset:         24
        .size:           8
        .value_kind:     global_buffer
      - .address_space:  global
        .offset:         32
        .size:           8
        .value_kind:     global_buffer
      - .offset:         40
        .size:           4
        .value_kind:     by_value
      - .offset:         44
        .size:           4
        .value_kind:     by_value
      - .offset:         48
        .size:           4
        .value_kind:     by_value
      - .offset:         52
        .size:           4
        .value_kind:     by_value
      - .offset:         56
        .size:           1
        .value_kind:     by_value
      - .actual_access:  read_only
        .address_space:  global
        .offset:         64
        .size:           8
        .value_kind:     global_buffer
    .group_segment_fixed_size: 768
    .kernarg_segment_align: 8
    .kernarg_segment_size: 72
    .language:       OpenCL C
    .language_version:
      - 2
      - 0
    .max_flat_workgroup_size: 1024
    .name:           _ZN4vllm4gptq33gemm_half_q_half_gptq_8bit_kernelILb1ELi3EEEvPK6__halfPKjS6_S4_PS2_iiiibPKi
    .private_segment_fixed_size: 92
    .sgpr_count:     36
    .sgpr_spill_count: 0
    .symbol:         _ZN4vllm4gptq33gemm_half_q_half_gptq_8bit_kernelILb1ELi3EEEvPK6__halfPKjS6_S4_PS2_iiiibPKi.kd
    .uniform_work_group_size: 1
    .uses_dynamic_stack: false
    .vgpr_count:     64
    .vgpr_spill_count: 31
    .wavefront_size: 64
  - .args:
      - .actual_access:  read_only
        .address_space:  global
        .offset:         0
        .size:           8
        .value_kind:     global_buffer
      - .actual_access:  read_only
        .address_space:  global
        .offset:         8
        .size:           8
        .value_kind:     global_buffer
      - .actual_access:  read_only
        .address_space:  global
        .offset:         16
        .size:           8
        .value_kind:     global_buffer
      - .actual_access:  read_only
        .address_space:  global
        .offset:         24
        .size:           8
        .value_kind:     global_buffer
      - .address_space:  global
        .offset:         32
        .size:           8
        .value_kind:     global_buffer
      - .offset:         40
        .size:           4
        .value_kind:     by_value
      - .offset:         44
        .size:           4
        .value_kind:     by_value
      - .offset:         48
        .size:           4
        .value_kind:     by_value
      - .offset:         52
        .size:           4
        .value_kind:     by_value
      - .offset:         56
        .size:           1
        .value_kind:     by_value
      - .actual_access:  read_only
        .address_space:  global
        .offset:         64
        .size:           8
        .value_kind:     global_buffer
    .group_segment_fixed_size: 1024
    .kernarg_segment_align: 8
    .kernarg_segment_size: 72
    .language:       OpenCL C
    .language_version:
      - 2
      - 0
    .max_flat_workgroup_size: 1024
    .name:           _ZN4vllm4gptq33gemm_half_q_half_gptq_2bit_kernelILb1ELi4EEEvPK6__halfPKjS6_S4_PS2_iiiibPKi
    .private_segment_fixed_size: 36
    .sgpr_count:     36
    .sgpr_spill_count: 0
    .symbol:         _ZN4vllm4gptq33gemm_half_q_half_gptq_2bit_kernelILb1ELi4EEEvPK6__halfPKjS6_S4_PS2_iiiibPKi.kd
    .uniform_work_group_size: 1
    .uses_dynamic_stack: false
    .vgpr_count:     64
    .vgpr_spill_count: 10
    .wavefront_size: 64
  - .args:
      - .actual_access:  read_only
        .address_space:  global
        .offset:         0
        .size:           8
        .value_kind:     global_buffer
      - .actual_access:  read_only
        .address_space:  global
        .offset:         8
        .size:           8
        .value_kind:     global_buffer
      - .actual_access:  read_only
        .address_space:  global
        .offset:         16
        .size:           8
        .value_kind:     global_buffer
      - .actual_access:  read_only
        .address_space:  global
        .offset:         24
        .size:           8
        .value_kind:     global_buffer
      - .address_space:  global
        .offset:         32
        .size:           8
        .value_kind:     global_buffer
      - .offset:         40
        .size:           4
        .value_kind:     by_value
      - .offset:         44
        .size:           4
        .value_kind:     by_value
      - .offset:         48
        .size:           4
        .value_kind:     by_value
      - .offset:         52
        .size:           4
        .value_kind:     by_value
      - .offset:         56
        .size:           1
        .value_kind:     by_value
      - .actual_access:  read_only
        .address_space:  global
        .offset:         64
        .size:           8
        .value_kind:     global_buffer
    .group_segment_fixed_size: 1024
    .kernarg_segment_align: 8
    .kernarg_segment_size: 72
    .language:       OpenCL C
    .language_version:
      - 2
      - 0
    .max_flat_workgroup_size: 1024
    .name:           _ZN4vllm4gptq33gemm_half_q_half_gptq_3bit_kernelILb1ELi4EEEvPK6__halfPKjS6_S4_PS2_iiiibPKi
    .private_segment_fixed_size: 264
    .sgpr_count:     48
    .sgpr_spill_count: 0
    .symbol:         _ZN4vllm4gptq33gemm_half_q_half_gptq_3bit_kernelILb1ELi4EEEvPK6__halfPKjS6_S4_PS2_iiiibPKi.kd
    .uniform_work_group_size: 1
    .uses_dynamic_stack: false
    .vgpr_count:     64
    .vgpr_spill_count: 82
    .wavefront_size: 64
  - .args:
      - .actual_access:  read_only
        .address_space:  global
        .offset:         0
        .size:           8
        .value_kind:     global_buffer
      - .actual_access:  read_only
        .address_space:  global
        .offset:         8
        .size:           8
        .value_kind:     global_buffer
      - .actual_access:  read_only
        .address_space:  global
        .offset:         16
        .size:           8
        .value_kind:     global_buffer
      - .actual_access:  read_only
        .address_space:  global
        .offset:         24
        .size:           8
        .value_kind:     global_buffer
      - .address_space:  global
        .offset:         32
        .size:           8
        .value_kind:     global_buffer
      - .offset:         40
        .size:           4
        .value_kind:     by_value
      - .offset:         44
        .size:           4
        .value_kind:     by_value
      - .offset:         48
        .size:           4
        .value_kind:     by_value
      - .offset:         52
        .size:           4
        .value_kind:     by_value
      - .offset:         56
        .size:           1
        .value_kind:     by_value
      - .actual_access:  read_only
        .address_space:  global
        .offset:         64
        .size:           8
        .value_kind:     global_buffer
    .group_segment_fixed_size: 1024
    .kernarg_segment_align: 8
    .kernarg_segment_size: 72
    .language:       OpenCL C
    .language_version:
      - 2
      - 0
    .max_flat_workgroup_size: 1024
    .name:           _ZN4vllm4gptq33gemm_half_q_half_gptq_4bit_kernelILb1ELi4EEEvPK6__halfPKjS6_S4_PS2_iiiibPKi
    .private_segment_fixed_size: 0
    .sgpr_count:     30
    .sgpr_spill_count: 0
    .symbol:         _ZN4vllm4gptq33gemm_half_q_half_gptq_4bit_kernelILb1ELi4EEEvPK6__halfPKjS6_S4_PS2_iiiibPKi.kd
    .uniform_work_group_size: 1
    .uses_dynamic_stack: false
    .vgpr_count:     61
    .vgpr_spill_count: 0
    .wavefront_size: 64
  - .args:
      - .actual_access:  read_only
        .address_space:  global
        .offset:         0
        .size:           8
        .value_kind:     global_buffer
      - .actual_access:  read_only
        .address_space:  global
        .offset:         8
        .size:           8
        .value_kind:     global_buffer
      - .actual_access:  read_only
        .address_space:  global
        .offset:         16
        .size:           8
        .value_kind:     global_buffer
      - .actual_access:  read_only
        .address_space:  global
        .offset:         24
        .size:           8
        .value_kind:     global_buffer
      - .address_space:  global
        .offset:         32
        .size:           8
        .value_kind:     global_buffer
      - .offset:         40
        .size:           4
        .value_kind:     by_value
      - .offset:         44
        .size:           4
        .value_kind:     by_value
      - .offset:         48
        .size:           4
        .value_kind:     by_value
      - .offset:         52
        .size:           4
        .value_kind:     by_value
      - .offset:         56
        .size:           1
        .value_kind:     by_value
      - .actual_access:  read_only
        .address_space:  global
        .offset:         64
        .size:           8
        .value_kind:     global_buffer
    .group_segment_fixed_size: 1024
    .kernarg_segment_align: 8
    .kernarg_segment_size: 72
    .language:       OpenCL C
    .language_version:
      - 2
      - 0
    .max_flat_workgroup_size: 1024
    .name:           _ZN4vllm4gptq33gemm_half_q_half_gptq_8bit_kernelILb1ELi4EEEvPK6__halfPKjS6_S4_PS2_iiiibPKi
    .private_segment_fixed_size: 104
    .sgpr_count:     36
    .sgpr_spill_count: 0
    .symbol:         _ZN4vllm4gptq33gemm_half_q_half_gptq_8bit_kernelILb1ELi4EEEvPK6__halfPKjS6_S4_PS2_iiiibPKi.kd
    .uniform_work_group_size: 1
    .uses_dynamic_stack: false
    .vgpr_count:     64
    .vgpr_spill_count: 46
    .wavefront_size: 64
  - .args:
      - .actual_access:  read_only
        .address_space:  global
        .offset:         0
        .size:           8
        .value_kind:     global_buffer
      - .actual_access:  read_only
        .address_space:  global
        .offset:         8
        .size:           8
        .value_kind:     global_buffer
      - .actual_access:  read_only
        .address_space:  global
        .offset:         16
        .size:           8
        .value_kind:     global_buffer
      - .actual_access:  read_only
        .address_space:  global
        .offset:         24
        .size:           8
        .value_kind:     global_buffer
      - .address_space:  global
        .offset:         32
        .size:           8
        .value_kind:     global_buffer
      - .offset:         40
        .size:           4
        .value_kind:     by_value
      - .offset:         44
        .size:           4
        .value_kind:     by_value
      - .offset:         48
        .size:           4
        .value_kind:     by_value
      - .offset:         52
        .size:           4
        .value_kind:     by_value
      - .offset:         56
        .size:           1
        .value_kind:     by_value
      - .actual_access:  read_only
        .address_space:  global
        .offset:         64
        .size:           8
        .value_kind:     global_buffer
    .group_segment_fixed_size: 1280
    .kernarg_segment_align: 8
    .kernarg_segment_size: 72
    .language:       OpenCL C
    .language_version:
      - 2
      - 0
    .max_flat_workgroup_size: 1024
    .name:           _ZN4vllm4gptq33gemm_half_q_half_gptq_2bit_kernelILb1ELi5EEEvPK6__halfPKjS6_S4_PS2_iiiibPKi
    .private_segment_fixed_size: 48
    .sgpr_count:     36
    .sgpr_spill_count: 0
    .symbol:         _ZN4vllm4gptq33gemm_half_q_half_gptq_2bit_kernelILb1ELi5EEEvPK6__halfPKjS6_S4_PS2_iiiibPKi.kd
    .uniform_work_group_size: 1
    .uses_dynamic_stack: false
    .vgpr_count:     64
    .vgpr_spill_count: 15
    .wavefront_size: 64
  - .args:
      - .actual_access:  read_only
        .address_space:  global
        .offset:         0
        .size:           8
        .value_kind:     global_buffer
      - .actual_access:  read_only
        .address_space:  global
        .offset:         8
        .size:           8
        .value_kind:     global_buffer
      - .actual_access:  read_only
        .address_space:  global
        .offset:         16
        .size:           8
        .value_kind:     global_buffer
      - .actual_access:  read_only
        .address_space:  global
        .offset:         24
        .size:           8
        .value_kind:     global_buffer
      - .address_space:  global
        .offset:         32
        .size:           8
        .value_kind:     global_buffer
      - .offset:         40
        .size:           4
        .value_kind:     by_value
      - .offset:         44
        .size:           4
        .value_kind:     by_value
      - .offset:         48
        .size:           4
        .value_kind:     by_value
      - .offset:         52
        .size:           4
        .value_kind:     by_value
      - .offset:         56
        .size:           1
        .value_kind:     by_value
      - .actual_access:  read_only
        .address_space:  global
        .offset:         64
        .size:           8
        .value_kind:     global_buffer
    .group_segment_fixed_size: 1280
    .kernarg_segment_align: 8
    .kernarg_segment_size: 72
    .language:       OpenCL C
    .language_version:
      - 2
      - 0
    .max_flat_workgroup_size: 1024
    .name:           _ZN4vllm4gptq33gemm_half_q_half_gptq_3bit_kernelILb1ELi5EEEvPK6__halfPKjS6_S4_PS2_iiiibPKi
    .private_segment_fixed_size: 252
    .sgpr_count:     48
    .sgpr_spill_count: 0
    .symbol:         _ZN4vllm4gptq33gemm_half_q_half_gptq_3bit_kernelILb1ELi5EEEvPK6__halfPKjS6_S4_PS2_iiiibPKi.kd
    .uniform_work_group_size: 1
    .uses_dynamic_stack: false
    .vgpr_count:     64
    .vgpr_spill_count: 80
    .wavefront_size: 64
  - .args:
      - .actual_access:  read_only
        .address_space:  global
        .offset:         0
        .size:           8
        .value_kind:     global_buffer
      - .actual_access:  read_only
        .address_space:  global
        .offset:         8
        .size:           8
        .value_kind:     global_buffer
      - .actual_access:  read_only
        .address_space:  global
        .offset:         16
        .size:           8
        .value_kind:     global_buffer
      - .actual_access:  read_only
        .address_space:  global
        .offset:         24
        .size:           8
        .value_kind:     global_buffer
      - .address_space:  global
        .offset:         32
        .size:           8
        .value_kind:     global_buffer
      - .offset:         40
        .size:           4
        .value_kind:     by_value
      - .offset:         44
        .size:           4
        .value_kind:     by_value
      - .offset:         48
        .size:           4
        .value_kind:     by_value
      - .offset:         52
        .size:           4
        .value_kind:     by_value
      - .offset:         56
        .size:           1
        .value_kind:     by_value
      - .actual_access:  read_only
        .address_space:  global
        .offset:         64
        .size:           8
        .value_kind:     global_buffer
    .group_segment_fixed_size: 1280
    .kernarg_segment_align: 8
    .kernarg_segment_size: 72
    .language:       OpenCL C
    .language_version:
      - 2
      - 0
    .max_flat_workgroup_size: 1024
    .name:           _ZN4vllm4gptq33gemm_half_q_half_gptq_4bit_kernelILb1ELi5EEEvPK6__halfPKjS6_S4_PS2_iiiibPKi
    .private_segment_fixed_size: 8
    .sgpr_count:     36
    .sgpr_spill_count: 0
    .symbol:         _ZN4vllm4gptq33gemm_half_q_half_gptq_4bit_kernelILb1ELi5EEEvPK6__halfPKjS6_S4_PS2_iiiibPKi.kd
    .uniform_work_group_size: 1
    .uses_dynamic_stack: false
    .vgpr_count:     64
    .vgpr_spill_count: 1
    .wavefront_size: 64
  - .args:
      - .actual_access:  read_only
        .address_space:  global
        .offset:         0
        .size:           8
        .value_kind:     global_buffer
      - .actual_access:  read_only
        .address_space:  global
        .offset:         8
        .size:           8
        .value_kind:     global_buffer
      - .actual_access:  read_only
        .address_space:  global
        .offset:         16
        .size:           8
        .value_kind:     global_buffer
      - .actual_access:  read_only
        .address_space:  global
        .offset:         24
        .size:           8
        .value_kind:     global_buffer
      - .address_space:  global
        .offset:         32
        .size:           8
        .value_kind:     global_buffer
      - .offset:         40
        .size:           4
        .value_kind:     by_value
      - .offset:         44
        .size:           4
        .value_kind:     by_value
      - .offset:         48
        .size:           4
        .value_kind:     by_value
      - .offset:         52
        .size:           4
        .value_kind:     by_value
      - .offset:         56
        .size:           1
        .value_kind:     by_value
      - .actual_access:  read_only
        .address_space:  global
        .offset:         64
        .size:           8
        .value_kind:     global_buffer
    .group_segment_fixed_size: 1280
    .kernarg_segment_align: 8
    .kernarg_segment_size: 72
    .language:       OpenCL C
    .language_version:
      - 2
      - 0
    .max_flat_workgroup_size: 1024
    .name:           _ZN4vllm4gptq33gemm_half_q_half_gptq_8bit_kernelILb1ELi5EEEvPK6__halfPKjS6_S4_PS2_iiiibPKi
    .private_segment_fixed_size: 120
    .sgpr_count:     36
    .sgpr_spill_count: 0
    .symbol:         _ZN4vllm4gptq33gemm_half_q_half_gptq_8bit_kernelILb1ELi5EEEvPK6__halfPKjS6_S4_PS2_iiiibPKi.kd
    .uniform_work_group_size: 1
    .uses_dynamic_stack: false
    .vgpr_count:     64
    .vgpr_spill_count: 57
    .wavefront_size: 64
  - .args:
      - .actual_access:  read_only
        .address_space:  global
        .offset:         0
        .size:           8
        .value_kind:     global_buffer
      - .actual_access:  read_only
        .address_space:  global
        .offset:         8
        .size:           8
        .value_kind:     global_buffer
      - .actual_access:  read_only
        .address_space:  global
        .offset:         16
        .size:           8
        .value_kind:     global_buffer
      - .actual_access:  read_only
        .address_space:  global
        .offset:         24
        .size:           8
        .value_kind:     global_buffer
      - .address_space:  global
        .offset:         32
        .size:           8
        .value_kind:     global_buffer
      - .offset:         40
        .size:           4
        .value_kind:     by_value
      - .offset:         44
        .size:           4
        .value_kind:     by_value
      - .offset:         48
        .size:           4
        .value_kind:     by_value
      - .offset:         52
        .size:           4
        .value_kind:     by_value
      - .offset:         56
        .size:           1
        .value_kind:     by_value
      - .actual_access:  read_only
        .address_space:  global
        .offset:         64
        .size:           8
        .value_kind:     global_buffer
    .group_segment_fixed_size: 1536
    .kernarg_segment_align: 8
    .kernarg_segment_size: 72
    .language:       OpenCL C
    .language_version:
      - 2
      - 0
    .max_flat_workgroup_size: 1024
    .name:           _ZN4vllm4gptq33gemm_half_q_half_gptq_2bit_kernelILb1ELi6EEEvPK6__halfPKjS6_S4_PS2_iiiibPKi
    .private_segment_fixed_size: 72
    .sgpr_count:     36
    .sgpr_spill_count: 0
    .symbol:         _ZN4vllm4gptq33gemm_half_q_half_gptq_2bit_kernelILb1ELi6EEEvPK6__halfPKjS6_S4_PS2_iiiibPKi.kd
    .uniform_work_group_size: 1
    .uses_dynamic_stack: false
    .vgpr_count:     64
    .vgpr_spill_count: 23
    .wavefront_size: 64
  - .args:
      - .actual_access:  read_only
        .address_space:  global
        .offset:         0
        .size:           8
        .value_kind:     global_buffer
      - .actual_access:  read_only
        .address_space:  global
        .offset:         8
        .size:           8
        .value_kind:     global_buffer
      - .actual_access:  read_only
        .address_space:  global
        .offset:         16
        .size:           8
        .value_kind:     global_buffer
      - .actual_access:  read_only
        .address_space:  global
        .offset:         24
        .size:           8
        .value_kind:     global_buffer
      - .address_space:  global
        .offset:         32
        .size:           8
        .value_kind:     global_buffer
      - .offset:         40
        .size:           4
        .value_kind:     by_value
      - .offset:         44
        .size:           4
        .value_kind:     by_value
      - .offset:         48
        .size:           4
        .value_kind:     by_value
      - .offset:         52
        .size:           4
        .value_kind:     by_value
      - .offset:         56
        .size:           1
        .value_kind:     by_value
      - .actual_access:  read_only
        .address_space:  global
        .offset:         64
        .size:           8
        .value_kind:     global_buffer
    .group_segment_fixed_size: 1536
    .kernarg_segment_align: 8
    .kernarg_segment_size: 72
    .language:       OpenCL C
    .language_version:
      - 2
      - 0
    .max_flat_workgroup_size: 1024
    .name:           _ZN4vllm4gptq33gemm_half_q_half_gptq_3bit_kernelILb1ELi6EEEvPK6__halfPKjS6_S4_PS2_iiiibPKi
    .private_segment_fixed_size: 260
    .sgpr_count:     48
    .sgpr_spill_count: 0
    .symbol:         _ZN4vllm4gptq33gemm_half_q_half_gptq_3bit_kernelILb1ELi6EEEvPK6__halfPKjS6_S4_PS2_iiiibPKi.kd
    .uniform_work_group_size: 1
    .uses_dynamic_stack: false
    .vgpr_count:     64
    .vgpr_spill_count: 79
    .wavefront_size: 64
  - .args:
      - .actual_access:  read_only
        .address_space:  global
        .offset:         0
        .size:           8
        .value_kind:     global_buffer
      - .actual_access:  read_only
        .address_space:  global
        .offset:         8
        .size:           8
        .value_kind:     global_buffer
      - .actual_access:  read_only
        .address_space:  global
        .offset:         16
        .size:           8
        .value_kind:     global_buffer
      - .actual_access:  read_only
        .address_space:  global
        .offset:         24
        .size:           8
        .value_kind:     global_buffer
      - .address_space:  global
        .offset:         32
        .size:           8
        .value_kind:     global_buffer
      - .offset:         40
        .size:           4
        .value_kind:     by_value
      - .offset:         44
        .size:           4
        .value_kind:     by_value
      - .offset:         48
        .size:           4
        .value_kind:     by_value
      - .offset:         52
        .size:           4
        .value_kind:     by_value
      - .offset:         56
        .size:           1
        .value_kind:     by_value
      - .actual_access:  read_only
        .address_space:  global
        .offset:         64
        .size:           8
        .value_kind:     global_buffer
    .group_segment_fixed_size: 1536
    .kernarg_segment_align: 8
    .kernarg_segment_size: 72
    .language:       OpenCL C
    .language_version:
      - 2
      - 0
    .max_flat_workgroup_size: 1024
    .name:           _ZN4vllm4gptq33gemm_half_q_half_gptq_4bit_kernelILb1ELi6EEEvPK6__halfPKjS6_S4_PS2_iiiibPKi
    .private_segment_fixed_size: 24
    .sgpr_count:     36
    .sgpr_spill_count: 0
    .symbol:         _ZN4vllm4gptq33gemm_half_q_half_gptq_4bit_kernelILb1ELi6EEEvPK6__halfPKjS6_S4_PS2_iiiibPKi.kd
    .uniform_work_group_size: 1
    .uses_dynamic_stack: false
    .vgpr_count:     64
    .vgpr_spill_count: 7
    .wavefront_size: 64
  - .args:
      - .actual_access:  read_only
        .address_space:  global
        .offset:         0
        .size:           8
        .value_kind:     global_buffer
      - .actual_access:  read_only
        .address_space:  global
        .offset:         8
        .size:           8
        .value_kind:     global_buffer
      - .actual_access:  read_only
        .address_space:  global
        .offset:         16
        .size:           8
        .value_kind:     global_buffer
      - .actual_access:  read_only
        .address_space:  global
        .offset:         24
        .size:           8
        .value_kind:     global_buffer
      - .address_space:  global
        .offset:         32
        .size:           8
        .value_kind:     global_buffer
      - .offset:         40
        .size:           4
        .value_kind:     by_value
      - .offset:         44
        .size:           4
        .value_kind:     by_value
      - .offset:         48
        .size:           4
        .value_kind:     by_value
      - .offset:         52
        .size:           4
        .value_kind:     by_value
      - .offset:         56
        .size:           1
        .value_kind:     by_value
      - .actual_access:  read_only
        .address_space:  global
        .offset:         64
        .size:           8
        .value_kind:     global_buffer
    .group_segment_fixed_size: 1536
    .kernarg_segment_align: 8
    .kernarg_segment_size: 72
    .language:       OpenCL C
    .language_version:
      - 2
      - 0
    .max_flat_workgroup_size: 1024
    .name:           _ZN4vllm4gptq33gemm_half_q_half_gptq_8bit_kernelILb1ELi6EEEvPK6__halfPKjS6_S4_PS2_iiiibPKi
    .private_segment_fixed_size: 136
    .sgpr_count:     36
    .sgpr_spill_count: 0
    .symbol:         _ZN4vllm4gptq33gemm_half_q_half_gptq_8bit_kernelILb1ELi6EEEvPK6__halfPKjS6_S4_PS2_iiiibPKi.kd
    .uniform_work_group_size: 1
    .uses_dynamic_stack: false
    .vgpr_count:     64
    .vgpr_spill_count: 73
    .wavefront_size: 64
  - .args:
      - .actual_access:  read_only
        .address_space:  global
        .offset:         0
        .size:           8
        .value_kind:     global_buffer
      - .actual_access:  read_only
        .address_space:  global
        .offset:         8
        .size:           8
        .value_kind:     global_buffer
      - .actual_access:  read_only
        .address_space:  global
        .offset:         16
        .size:           8
        .value_kind:     global_buffer
      - .actual_access:  read_only
        .address_space:  global
        .offset:         24
        .size:           8
        .value_kind:     global_buffer
      - .address_space:  global
        .offset:         32
        .size:           8
        .value_kind:     global_buffer
      - .offset:         40
        .size:           4
        .value_kind:     by_value
      - .offset:         44
        .size:           4
        .value_kind:     by_value
      - .offset:         48
        .size:           4
        .value_kind:     by_value
      - .offset:         52
        .size:           4
        .value_kind:     by_value
      - .offset:         56
        .size:           1
        .value_kind:     by_value
      - .actual_access:  read_only
        .address_space:  global
        .offset:         64
        .size:           8
        .value_kind:     global_buffer
    .group_segment_fixed_size: 1792
    .kernarg_segment_align: 8
    .kernarg_segment_size: 72
    .language:       OpenCL C
    .language_version:
      - 2
      - 0
    .max_flat_workgroup_size: 1024
    .name:           _ZN4vllm4gptq33gemm_half_q_half_gptq_2bit_kernelILb1ELi7EEEvPK6__halfPKjS6_S4_PS2_iiiibPKi
    .private_segment_fixed_size: 96
    .sgpr_count:     36
    .sgpr_spill_count: 0
    .symbol:         _ZN4vllm4gptq33gemm_half_q_half_gptq_2bit_kernelILb1ELi7EEEvPK6__halfPKjS6_S4_PS2_iiiibPKi.kd
    .uniform_work_group_size: 1
    .uses_dynamic_stack: false
    .vgpr_count:     64
    .vgpr_spill_count: 29
    .wavefront_size: 64
  - .args:
      - .actual_access:  read_only
        .address_space:  global
        .offset:         0
        .size:           8
        .value_kind:     global_buffer
      - .actual_access:  read_only
        .address_space:  global
        .offset:         8
        .size:           8
        .value_kind:     global_buffer
      - .actual_access:  read_only
        .address_space:  global
        .offset:         16
        .size:           8
        .value_kind:     global_buffer
      - .actual_access:  read_only
        .address_space:  global
        .offset:         24
        .size:           8
        .value_kind:     global_buffer
      - .address_space:  global
        .offset:         32
        .size:           8
        .value_kind:     global_buffer
      - .offset:         40
        .size:           4
        .value_kind:     by_value
      - .offset:         44
        .size:           4
        .value_kind:     by_value
      - .offset:         48
        .size:           4
        .value_kind:     by_value
      - .offset:         52
        .size:           4
        .value_kind:     by_value
      - .offset:         56
        .size:           1
        .value_kind:     by_value
      - .actual_access:  read_only
        .address_space:  global
        .offset:         64
        .size:           8
        .value_kind:     global_buffer
    .group_segment_fixed_size: 1792
    .kernarg_segment_align: 8
    .kernarg_segment_size: 72
    .language:       OpenCL C
    .language_version:
      - 2
      - 0
    .max_flat_workgroup_size: 1024
    .name:           _ZN4vllm4gptq33gemm_half_q_half_gptq_3bit_kernelILb1ELi7EEEvPK6__halfPKjS6_S4_PS2_iiiibPKi
    .private_segment_fixed_size: 272
    .sgpr_count:     48
    .sgpr_spill_count: 0
    .symbol:         _ZN4vllm4gptq33gemm_half_q_half_gptq_3bit_kernelILb1ELi7EEEvPK6__halfPKjS6_S4_PS2_iiiibPKi.kd
    .uniform_work_group_size: 1
    .uses_dynamic_stack: false
    .vgpr_count:     64
    .vgpr_spill_count: 81
    .wavefront_size: 64
  - .args:
      - .actual_access:  read_only
        .address_space:  global
        .offset:         0
        .size:           8
        .value_kind:     global_buffer
      - .actual_access:  read_only
        .address_space:  global
        .offset:         8
        .size:           8
        .value_kind:     global_buffer
      - .actual_access:  read_only
        .address_space:  global
        .offset:         16
        .size:           8
        .value_kind:     global_buffer
      - .actual_access:  read_only
        .address_space:  global
        .offset:         24
        .size:           8
        .value_kind:     global_buffer
      - .address_space:  global
        .offset:         32
        .size:           8
        .value_kind:     global_buffer
      - .offset:         40
        .size:           4
        .value_kind:     by_value
      - .offset:         44
        .size:           4
        .value_kind:     by_value
      - .offset:         48
        .size:           4
        .value_kind:     by_value
      - .offset:         52
        .size:           4
        .value_kind:     by_value
      - .offset:         56
        .size:           1
        .value_kind:     by_value
      - .actual_access:  read_only
        .address_space:  global
        .offset:         64
        .size:           8
        .value_kind:     global_buffer
    .group_segment_fixed_size: 1792
    .kernarg_segment_align: 8
    .kernarg_segment_size: 72
    .language:       OpenCL C
    .language_version:
      - 2
      - 0
    .max_flat_workgroup_size: 1024
    .name:           _ZN4vllm4gptq33gemm_half_q_half_gptq_4bit_kernelILb1ELi7EEEvPK6__halfPKjS6_S4_PS2_iiiibPKi
    .private_segment_fixed_size: 44
    .sgpr_count:     36
    .sgpr_spill_count: 0
    .symbol:         _ZN4vllm4gptq33gemm_half_q_half_gptq_4bit_kernelILb1ELi7EEEvPK6__halfPKjS6_S4_PS2_iiiibPKi.kd
    .uniform_work_group_size: 1
    .uses_dynamic_stack: false
    .vgpr_count:     64
    .vgpr_spill_count: 13
    .wavefront_size: 64
  - .args:
      - .actual_access:  read_only
        .address_space:  global
        .offset:         0
        .size:           8
        .value_kind:     global_buffer
      - .actual_access:  read_only
        .address_space:  global
        .offset:         8
        .size:           8
        .value_kind:     global_buffer
      - .actual_access:  read_only
        .address_space:  global
        .offset:         16
        .size:           8
        .value_kind:     global_buffer
      - .actual_access:  read_only
        .address_space:  global
        .offset:         24
        .size:           8
        .value_kind:     global_buffer
      - .address_space:  global
        .offset:         32
        .size:           8
        .value_kind:     global_buffer
      - .offset:         40
        .size:           4
        .value_kind:     by_value
      - .offset:         44
        .size:           4
        .value_kind:     by_value
      - .offset:         48
        .size:           4
        .value_kind:     by_value
      - .offset:         52
        .size:           4
        .value_kind:     by_value
      - .offset:         56
        .size:           1
        .value_kind:     by_value
      - .actual_access:  read_only
        .address_space:  global
        .offset:         64
        .size:           8
        .value_kind:     global_buffer
    .group_segment_fixed_size: 1792
    .kernarg_segment_align: 8
    .kernarg_segment_size: 72
    .language:       OpenCL C
    .language_version:
      - 2
      - 0
    .max_flat_workgroup_size: 1024
    .name:           _ZN4vllm4gptq33gemm_half_q_half_gptq_8bit_kernelILb1ELi7EEEvPK6__halfPKjS6_S4_PS2_iiiibPKi
    .private_segment_fixed_size: 168
    .sgpr_count:     36
    .sgpr_spill_count: 0
    .symbol:         _ZN4vllm4gptq33gemm_half_q_half_gptq_8bit_kernelILb1ELi7EEEvPK6__halfPKjS6_S4_PS2_iiiibPKi.kd
    .uniform_work_group_size: 1
    .uses_dynamic_stack: false
    .vgpr_count:     64
    .vgpr_spill_count: 90
    .wavefront_size: 64
  - .args:
      - .actual_access:  read_only
        .address_space:  global
        .offset:         0
        .size:           8
        .value_kind:     global_buffer
      - .actual_access:  read_only
        .address_space:  global
        .offset:         8
        .size:           8
        .value_kind:     global_buffer
      - .actual_access:  read_only
        .address_space:  global
        .offset:         16
        .size:           8
        .value_kind:     global_buffer
      - .actual_access:  read_only
        .address_space:  global
        .offset:         24
        .size:           8
        .value_kind:     global_buffer
      - .address_space:  global
        .offset:         32
        .size:           8
        .value_kind:     global_buffer
      - .offset:         40
        .size:           4
        .value_kind:     by_value
      - .offset:         44
        .size:           4
        .value_kind:     by_value
      - .offset:         48
        .size:           4
        .value_kind:     by_value
      - .offset:         52
        .size:           4
        .value_kind:     by_value
      - .offset:         56
        .size:           1
        .value_kind:     by_value
      - .actual_access:  read_only
        .address_space:  global
        .offset:         64
        .size:           8
        .value_kind:     global_buffer
    .group_segment_fixed_size: 2048
    .kernarg_segment_align: 8
    .kernarg_segment_size: 72
    .language:       OpenCL C
    .language_version:
      - 2
      - 0
    .max_flat_workgroup_size: 1024
    .name:           _ZN4vllm4gptq33gemm_half_q_half_gptq_2bit_kernelILb1ELi8EEEvPK6__halfPKjS6_S4_PS2_iiiibPKi
    .private_segment_fixed_size: 160
    .sgpr_count:     36
    .sgpr_spill_count: 0
    .symbol:         _ZN4vllm4gptq33gemm_half_q_half_gptq_2bit_kernelILb1ELi8EEEvPK6__halfPKjS6_S4_PS2_iiiibPKi.kd
    .uniform_work_group_size: 1
    .uses_dynamic_stack: false
    .vgpr_count:     64
    .vgpr_spill_count: 45
    .wavefront_size: 64
  - .args:
      - .actual_access:  read_only
        .address_space:  global
        .offset:         0
        .size:           8
        .value_kind:     global_buffer
      - .actual_access:  read_only
        .address_space:  global
        .offset:         8
        .size:           8
        .value_kind:     global_buffer
      - .actual_access:  read_only
        .address_space:  global
        .offset:         16
        .size:           8
        .value_kind:     global_buffer
      - .actual_access:  read_only
        .address_space:  global
        .offset:         24
        .size:           8
        .value_kind:     global_buffer
      - .address_space:  global
        .offset:         32
        .size:           8
        .value_kind:     global_buffer
      - .offset:         40
        .size:           4
        .value_kind:     by_value
      - .offset:         44
        .size:           4
        .value_kind:     by_value
      - .offset:         48
        .size:           4
        .value_kind:     by_value
      - .offset:         52
        .size:           4
        .value_kind:     by_value
      - .offset:         56
        .size:           1
        .value_kind:     by_value
      - .actual_access:  read_only
        .address_space:  global
        .offset:         64
        .size:           8
        .value_kind:     global_buffer
    .group_segment_fixed_size: 2048
    .kernarg_segment_align: 8
    .kernarg_segment_size: 72
    .language:       OpenCL C
    .language_version:
      - 2
      - 0
    .max_flat_workgroup_size: 1024
    .name:           _ZN4vllm4gptq33gemm_half_q_half_gptq_3bit_kernelILb1ELi8EEEvPK6__halfPKjS6_S4_PS2_iiiibPKi
    .private_segment_fixed_size: 332
    .sgpr_count:     48
    .sgpr_spill_count: 0
    .symbol:         _ZN4vllm4gptq33gemm_half_q_half_gptq_3bit_kernelILb1ELi8EEEvPK6__halfPKjS6_S4_PS2_iiiibPKi.kd
    .uniform_work_group_size: 1
    .uses_dynamic_stack: false
    .vgpr_count:     64
    .vgpr_spill_count: 104
    .wavefront_size: 64
  - .args:
      - .actual_access:  read_only
        .address_space:  global
        .offset:         0
        .size:           8
        .value_kind:     global_buffer
      - .actual_access:  read_only
        .address_space:  global
        .offset:         8
        .size:           8
        .value_kind:     global_buffer
      - .actual_access:  read_only
        .address_space:  global
        .offset:         16
        .size:           8
        .value_kind:     global_buffer
      - .actual_access:  read_only
        .address_space:  global
        .offset:         24
        .size:           8
        .value_kind:     global_buffer
      - .address_space:  global
        .offset:         32
        .size:           8
        .value_kind:     global_buffer
      - .offset:         40
        .size:           4
        .value_kind:     by_value
      - .offset:         44
        .size:           4
        .value_kind:     by_value
      - .offset:         48
        .size:           4
        .value_kind:     by_value
      - .offset:         52
        .size:           4
        .value_kind:     by_value
      - .offset:         56
        .size:           1
        .value_kind:     by_value
      - .actual_access:  read_only
        .address_space:  global
        .offset:         64
        .size:           8
        .value_kind:     global_buffer
    .group_segment_fixed_size: 2048
    .kernarg_segment_align: 8
    .kernarg_segment_size: 72
    .language:       OpenCL C
    .language_version:
      - 2
      - 0
    .max_flat_workgroup_size: 1024
    .name:           _ZN4vllm4gptq33gemm_half_q_half_gptq_4bit_kernelILb1ELi8EEEvPK6__halfPKjS6_S4_PS2_iiiibPKi
    .private_segment_fixed_size: 88
    .sgpr_count:     36
    .sgpr_spill_count: 0
    .symbol:         _ZN4vllm4gptq33gemm_half_q_half_gptq_4bit_kernelILb1ELi8EEEvPK6__halfPKjS6_S4_PS2_iiiibPKi.kd
    .uniform_work_group_size: 1
    .uses_dynamic_stack: false
    .vgpr_count:     64
    .vgpr_spill_count: 33
    .wavefront_size: 64
  - .args:
      - .actual_access:  read_only
        .address_space:  global
        .offset:         0
        .size:           8
        .value_kind:     global_buffer
      - .actual_access:  read_only
        .address_space:  global
        .offset:         8
        .size:           8
        .value_kind:     global_buffer
      - .actual_access:  read_only
        .address_space:  global
        .offset:         16
        .size:           8
        .value_kind:     global_buffer
      - .actual_access:  read_only
        .address_space:  global
        .offset:         24
        .size:           8
        .value_kind:     global_buffer
      - .address_space:  global
        .offset:         32
        .size:           8
        .value_kind:     global_buffer
      - .offset:         40
        .size:           4
        .value_kind:     by_value
      - .offset:         44
        .size:           4
        .value_kind:     by_value
      - .offset:         48
        .size:           4
        .value_kind:     by_value
      - .offset:         52
        .size:           4
        .value_kind:     by_value
      - .offset:         56
        .size:           1
        .value_kind:     by_value
      - .actual_access:  read_only
        .address_space:  global
        .offset:         64
        .size:           8
        .value_kind:     global_buffer
    .group_segment_fixed_size: 2048
    .kernarg_segment_align: 8
    .kernarg_segment_size: 72
    .language:       OpenCL C
    .language_version:
      - 2
      - 0
    .max_flat_workgroup_size: 1024
    .name:           _ZN4vllm4gptq33gemm_half_q_half_gptq_8bit_kernelILb1ELi8EEEvPK6__halfPKjS6_S4_PS2_iiiibPKi
    .private_segment_fixed_size: 196
    .sgpr_count:     36
    .sgpr_spill_count: 0
    .symbol:         _ZN4vllm4gptq33gemm_half_q_half_gptq_8bit_kernelILb1ELi8EEEvPK6__halfPKjS6_S4_PS2_iiiibPKi.kd
    .uniform_work_group_size: 1
    .uses_dynamic_stack: false
    .vgpr_count:     64
    .vgpr_spill_count: 101
    .wavefront_size: 64
  - .args:
      - .actual_access:  read_only
        .address_space:  global
        .offset:         0
        .size:           8
        .value_kind:     global_buffer
      - .actual_access:  read_only
        .address_space:  global
        .offset:         8
        .size:           8
        .value_kind:     global_buffer
      - .actual_access:  read_only
        .address_space:  global
        .offset:         16
        .size:           8
        .value_kind:     global_buffer
      - .actual_access:  read_only
        .address_space:  global
        .offset:         24
        .size:           8
        .value_kind:     global_buffer
      - .offset:         32
        .size:           4
        .value_kind:     by_value
      - .offset:         36
        .size:           4
        .value_kind:     by_value
      - .offset:         40
        .size:           4
        .value_kind:     by_value
      - .offset:         44
        .size:           1
        .value_kind:     by_value
      - .actual_access:  write_only
        .address_space:  global
        .offset:         48
        .size:           8
        .value_kind:     global_buffer
    .group_segment_fixed_size: 0
    .kernarg_segment_align: 8
    .kernarg_segment_size: 56
    .language:       OpenCL C
    .language_version:
      - 2
      - 0
    .max_flat_workgroup_size: 1024
    .name:           _ZN4vllm4gptq23reconstruct_gptq_kernelINS0_17MatrixView_q4_rowELi4EEEvPKjPK6__halfS4_PKiiiibPS5_
    .private_segment_fixed_size: 0
    .sgpr_count:     24
    .sgpr_spill_count: 0
    .symbol:         _ZN4vllm4gptq23reconstruct_gptq_kernelINS0_17MatrixView_q4_rowELi4EEEvPKjPK6__halfS4_PKiiiibPS5_.kd
    .uniform_work_group_size: 1
    .uses_dynamic_stack: false
    .vgpr_count:     29
    .vgpr_spill_count: 0
    .wavefront_size: 64
  - .args:
      - .actual_access:  read_only
        .address_space:  global
        .offset:         0
        .size:           8
        .value_kind:     global_buffer
      - .actual_access:  read_only
        .address_space:  global
        .offset:         8
        .size:           8
        .value_kind:     global_buffer
      - .actual_access:  read_only
        .address_space:  global
        .offset:         16
        .size:           8
        .value_kind:     global_buffer
      - .actual_access:  read_only
        .address_space:  global
        .offset:         24
        .size:           8
        .value_kind:     global_buffer
      - .offset:         32
        .size:           4
        .value_kind:     by_value
      - .offset:         36
        .size:           4
        .value_kind:     by_value
      - .offset:         40
        .size:           4
        .value_kind:     by_value
      - .offset:         44
        .size:           1
        .value_kind:     by_value
      - .actual_access:  write_only
        .address_space:  global
        .offset:         48
        .size:           8
        .value_kind:     global_buffer
    .group_segment_fixed_size: 0
    .kernarg_segment_align: 8
    .kernarg_segment_size: 56
    .language:       OpenCL C
    .language_version:
      - 2
      - 0
    .max_flat_workgroup_size: 1024
    .name:           _ZN4vllm4gptq23reconstruct_gptq_kernelINS0_17MatrixView_q2_rowELi2EEEvPKjPK6__halfS4_PKiiiibPS5_
    .private_segment_fixed_size: 0
    .sgpr_count:     32
    .sgpr_spill_count: 0
    .symbol:         _ZN4vllm4gptq23reconstruct_gptq_kernelINS0_17MatrixView_q2_rowELi2EEEvPKjPK6__halfS4_PKiiiibPS5_.kd
    .uniform_work_group_size: 1
    .uses_dynamic_stack: false
    .vgpr_count:     12
    .vgpr_spill_count: 0
    .wavefront_size: 64
  - .args:
      - .actual_access:  read_only
        .address_space:  global
        .offset:         0
        .size:           8
        .value_kind:     global_buffer
      - .actual_access:  read_only
        .address_space:  global
        .offset:         8
        .size:           8
        .value_kind:     global_buffer
      - .actual_access:  read_only
        .address_space:  global
        .offset:         16
        .size:           8
        .value_kind:     global_buffer
      - .actual_access:  read_only
        .address_space:  global
        .offset:         24
        .size:           8
        .value_kind:     global_buffer
      - .offset:         32
        .size:           4
        .value_kind:     by_value
      - .offset:         36
        .size:           4
        .value_kind:     by_value
      - .offset:         40
        .size:           4
        .value_kind:     by_value
      - .offset:         44
        .size:           1
        .value_kind:     by_value
      - .actual_access:  write_only
        .address_space:  global
        .offset:         48
        .size:           8
        .value_kind:     global_buffer
    .group_segment_fixed_size: 0
    .kernarg_segment_align: 8
    .kernarg_segment_size: 56
    .language:       OpenCL C
    .language_version:
      - 2
      - 0
    .max_flat_workgroup_size: 1024
    .name:           _ZN4vllm4gptq23reconstruct_gptq_kernelINS0_17MatrixView_q8_rowELi8EEEvPKjPK6__halfS4_PKiiiibPS5_
    .private_segment_fixed_size: 0
    .sgpr_count:     24
    .sgpr_spill_count: 0
    .symbol:         _ZN4vllm4gptq23reconstruct_gptq_kernelINS0_17MatrixView_q8_rowELi8EEEvPKjPK6__halfS4_PKiiiibPS5_.kd
    .uniform_work_group_size: 1
    .uses_dynamic_stack: false
    .vgpr_count:     15
    .vgpr_spill_count: 0
    .wavefront_size: 64
amdhsa.target:   amdgcn-amd-amdhsa--gfx906
amdhsa.version:
  - 1
  - 2
...

	.end_amdgpu_metadata
